;; amdgpu-corpus repo=ROCm/aiter kind=compiled arch=gfx90a opt=O3
	.text
	.amdgcn_target "amdgcn-amd-amdhsa--gfx90a"
	.amdhsa_code_object_version 6
	.section	.text._ZN7ck_tileL11flush_cacheEv,"axG",@progbits,_ZN7ck_tileL11flush_cacheEv,comdat
	.globl	_ZN7ck_tileL11flush_cacheEv     ; -- Begin function _ZN7ck_tileL11flush_cacheEv
	.p2align	8
	.type	_ZN7ck_tileL11flush_cacheEv,@function
_ZN7ck_tileL11flush_cacheEv:            ; @_ZN7ck_tileL11flush_cacheEv
; %bb.0:
	;;#ASMSTART
	s_icache_inv 
	s_nop 0 
	s_nop 0 
	;; [unrolled: 1-line block ×16, first 2 shown]
	
	;;#ASMEND
	s_endpgm
	.section	.rodata,"a",@progbits
	.p2align	6, 0x0
	.amdhsa_kernel _ZN7ck_tileL11flush_cacheEv
		.amdhsa_group_segment_fixed_size 0
		.amdhsa_private_segment_fixed_size 0
		.amdhsa_kernarg_size 0
		.amdhsa_user_sgpr_count 4
		.amdhsa_user_sgpr_private_segment_buffer 1
		.amdhsa_user_sgpr_dispatch_ptr 0
		.amdhsa_user_sgpr_queue_ptr 0
		.amdhsa_user_sgpr_kernarg_segment_ptr 0
		.amdhsa_user_sgpr_dispatch_id 0
		.amdhsa_user_sgpr_flat_scratch_init 0
		.amdhsa_user_sgpr_kernarg_preload_length 0
		.amdhsa_user_sgpr_kernarg_preload_offset 0
		.amdhsa_user_sgpr_private_segment_size 0
		.amdhsa_uses_dynamic_stack 0
		.amdhsa_system_sgpr_private_segment_wavefront_offset 0
		.amdhsa_system_sgpr_workgroup_id_x 1
		.amdhsa_system_sgpr_workgroup_id_y 0
		.amdhsa_system_sgpr_workgroup_id_z 0
		.amdhsa_system_sgpr_workgroup_info 0
		.amdhsa_system_vgpr_workitem_id 0
		.amdhsa_next_free_vgpr 1
		.amdhsa_next_free_sgpr 0
		.amdhsa_accum_offset 4
		.amdhsa_reserve_vcc 0
		.amdhsa_reserve_flat_scratch 0
		.amdhsa_float_round_mode_32 0
		.amdhsa_float_round_mode_16_64 0
		.amdhsa_float_denorm_mode_32 3
		.amdhsa_float_denorm_mode_16_64 3
		.amdhsa_dx10_clamp 1
		.amdhsa_ieee_mode 1
		.amdhsa_fp16_overflow 0
		.amdhsa_tg_split 0
		.amdhsa_exception_fp_ieee_invalid_op 0
		.amdhsa_exception_fp_denorm_src 0
		.amdhsa_exception_fp_ieee_div_zero 0
		.amdhsa_exception_fp_ieee_overflow 0
		.amdhsa_exception_fp_ieee_underflow 0
		.amdhsa_exception_fp_ieee_inexact 0
		.amdhsa_exception_int_div_zero 0
	.end_amdhsa_kernel
	.section	.text._ZN7ck_tileL11flush_cacheEv,"axG",@progbits,_ZN7ck_tileL11flush_cacheEv,comdat
.Lfunc_end0:
	.size	_ZN7ck_tileL11flush_cacheEv, .Lfunc_end0-_ZN7ck_tileL11flush_cacheEv
                                        ; -- End function
	.section	.AMDGPU.csdata,"",@progbits
; Kernel info:
; codeLenInByte = 140
; NumSgprs: 4
; NumVgprs: 0
; NumAgprs: 0
; TotalNumVgprs: 0
; ScratchSize: 0
; MemoryBound: 0
; FloatMode: 240
; IeeeMode: 1
; LDSByteSize: 0 bytes/workgroup (compile time only)
; SGPRBlocks: 0
; VGPRBlocks: 0
; NumSGPRsForWavesPerEU: 4
; NumVGPRsForWavesPerEU: 1
; AccumOffset: 4
; Occupancy: 8
; WaveLimiterHint : 0
; COMPUTE_PGM_RSRC2:SCRATCH_EN: 0
; COMPUTE_PGM_RSRC2:USER_SGPR: 4
; COMPUTE_PGM_RSRC2:TRAP_HANDLER: 0
; COMPUTE_PGM_RSRC2:TGID_X_EN: 1
; COMPUTE_PGM_RSRC2:TGID_Y_EN: 0
; COMPUTE_PGM_RSRC2:TGID_Z_EN: 0
; COMPUTE_PGM_RSRC2:TIDIG_COMP_CNT: 0
; COMPUTE_PGM_RSRC3_GFX90A:ACCUM_OFFSET: 0
; COMPUTE_PGM_RSRC3_GFX90A:TG_SPLIT: 0
	.section	.text._ZN5aiter28grouped_topk_opt_sort_kernelIfDv4_fLi8ELb1ELb1ELb0EEEvPT_PKS2_PfPimiiiif,"axG",@progbits,_ZN5aiter28grouped_topk_opt_sort_kernelIfDv4_fLi8ELb1ELb1ELb0EEEvPT_PKS2_PfPimiiiif,comdat
	.protected	_ZN5aiter28grouped_topk_opt_sort_kernelIfDv4_fLi8ELb1ELb1ELb0EEEvPT_PKS2_PfPimiiiif ; -- Begin function _ZN5aiter28grouped_topk_opt_sort_kernelIfDv4_fLi8ELb1ELb1ELb0EEEvPT_PKS2_PfPimiiiif
	.globl	_ZN5aiter28grouped_topk_opt_sort_kernelIfDv4_fLi8ELb1ELb1ELb0EEEvPT_PKS2_PfPimiiiif
	.p2align	8
	.type	_ZN5aiter28grouped_topk_opt_sort_kernelIfDv4_fLi8ELb1ELb1ELb0EEEvPT_PKS2_PfPimiiiif,@function
_ZN5aiter28grouped_topk_opt_sort_kernelIfDv4_fLi8ELb1ELb1ELb0EEEvPT_PKS2_PfPimiiiif: ; @_ZN5aiter28grouped_topk_opt_sort_kernelIfDv4_fLi8ELb1ELb1ELb0EEEvPT_PKS2_PfPimiiiif
; %bb.0:
	s_load_dwordx4 s[16:19], s[4:5], 0x28
	s_load_dwordx4 s[12:15], s[4:5], 0x0
	v_lshlrev_b32_e32 v19, 4, v0
	v_bfe_u32 v15, v0, 1, 1
	v_and_b32_e32 v14, 1, v0
	s_waitcnt lgkmcnt(0)
	s_lshl_b32 s1, s16, 2
	s_mul_i32 s0, s6, s16
	s_add_i32 s7, s1, 0
	s_ashr_i32 s1, s0, 31
	s_lshl_b64 s[0:1], s[0:1], 2
	s_add_u32 s0, s12, s0
	s_addc_u32 s1, s13, s1
	global_load_dwordx4 v[6:9], v19, s[0:1]
	global_load_dwordx4 v[2:5], v19, s[14:15]
	v_mov_b32_e32 v1, 0xff800000
	v_mov_b32_e32 v11, 0x7f800000
	v_bfe_u32 v12, v0, 2, 1
	v_cmp_eq_u32_e32 vcc, v14, v15
	v_cndmask_b32_e32 v16, v1, v11, vcc
	v_cmp_eq_u32_e32 vcc, v15, v12
	s_mov_b32 s0, 0x652b82fe
	v_and_b32_e32 v20, 4, v0
	v_cndmask_b32_e32 v17, v1, v11, vcc
	v_cmp_eq_u32_e32 vcc, v14, v12
	s_mov_b32 s1, 0xbff71547
	v_cndmask_b32_e32 v18, v1, v11, vcc
	v_cmp_eq_u32_e32 vcc, 0, v20
	s_mov_b32 s8, 0xc2fc0000
	v_mov_b32_e32 v24, 0x42800000
	v_cndmask_b32_e32 v27, v1, v11, vcc
	v_mov_b32_e32 v25, 0x1f800000
	s_mov_b32 s10, 0xff800000
	v_mbcnt_lo_u32_b32 v10, -1, 0
	v_mbcnt_hi_u32_b32 v10, -1, v10
	v_lshlrev_b32_e32 v26, 3, v0
	v_and_b32_e32 v13, 64, v10
	v_add_u32_e32 v19, 0, v19
	s_waitcnt vmcnt(1)
	v_cvt_f64_f32_e32 v[20:21], v6
	v_cvt_f64_f32_e32 v[6:7], v7
	;; [unrolled: 1-line block ×3, first 2 shown]
	v_mul_f64 v[20:21], v[20:21], s[0:1]
	v_mul_f64 v[6:7], v[6:7], s[0:1]
	v_cvt_f64_f32_e32 v[8:9], v9
	v_mul_f64 v[22:23], v[22:23], s[0:1]
	v_cvt_f32_f64_e32 v20, v[20:21]
	v_cvt_f32_f64_e32 v6, v[6:7]
	v_mul_f64 v[8:9], v[8:9], s[0:1]
	v_cvt_f32_f64_e32 v7, v[22:23]
	v_cmp_gt_f32_e32 vcc, s8, v20
	v_cmp_gt_f32_e64 s[0:1], s8, v6
	v_cvt_f32_f64_e32 v8, v[8:9]
	v_cndmask_b32_e32 v9, 0, v24, vcc
	v_cndmask_b32_e64 v21, 0, v24, s[0:1]
	v_cmp_gt_f32_e64 s[2:3], s8, v7
	v_cndmask_b32_e64 v22, 0, v24, s[2:3]
	v_cmp_gt_f32_e64 s[8:9], s8, v8
	v_add_f32_e32 v9, v20, v9
	v_add_f32_e32 v6, v6, v21
	v_cndmask_b32_e64 v23, 0, v24, s[8:9]
	v_add_f32_e32 v7, v7, v22
	v_exp_f32_e32 v9, v9
	v_exp_f32_e32 v6, v6
	v_add_f32_e32 v8, v8, v23
	v_exp_f32_e32 v7, v7
	v_exp_f32_e32 v8, v8
	v_cndmask_b32_e32 v20, 1.0, v25, vcc
	v_cndmask_b32_e64 v21, 1.0, v25, s[0:1]
	v_cndmask_b32_e64 v22, 1.0, v25, s[2:3]
	v_fma_f32 v9, v9, v20, 1.0
	v_fma_f32 v20, v6, v21, 1.0
	v_cndmask_b32_e64 v23, 1.0, v25, s[8:9]
	v_fma_f32 v21, v7, v22, 1.0
	v_rcp_f32_e32 v6, v9
	v_rcp_f32_e32 v7, v20
	v_fma_f32 v22, v8, v23, 1.0
	v_rcp_f32_e32 v8, v21
	v_rcp_f32_e32 v9, v22
	s_waitcnt vmcnt(0)
	v_pk_add_f32 v[2:3], v[2:3], v[6:7]
	v_cmp_o_f32_e32 vcc, v3, v3
	v_cndmask_b32_e32 v3, v1, v3, vcc
	v_pk_add_f32 v[4:5], v[4:5], v[8:9]
	v_cmp_o_f32_e32 vcc, v2, v2
	v_cndmask_b32_e32 v2, v1, v2, vcc
	v_cmp_o_f32_e32 vcc, v5, v5
	v_cndmask_b32_e32 v5, v1, v5, vcc
	;; [unrolled: 2-line block ×3, first 2 shown]
	v_med3_f32 v6, v3, v2, s10
	v_max_f32_e32 v7, v3, v2
	v_med3_f32 v6, v4, v7, v6
	v_max_f32_e32 v7, v4, v7
	v_med3_f32 v6, v5, v7, v6
	v_max_f32_e32 v7, v5, v7
	v_and_or_b32 v20, v26, 56, v13
	v_mov_b32_dpp v9, v6 quad_perm:[1,0,3,2] row_mask:0xf bank_mask:0xf bound_ctrl:1
	v_max_f32_e32 v9, v9, v9
	v_mov_b32_dpp v8, v7 quad_perm:[1,0,3,2] row_mask:0xf bank_mask:0xf bound_ctrl:1
	v_max_f32_e32 v6, v9, v6
	v_med3_f32 v6, v8, v7, v6
	v_max_f32_e32 v21, v8, v8
	v_max_f32_e32 v9, v21, v7
	v_mov_b32_dpp v8, v6 quad_perm:[2,3,0,1] row_mask:0xf bank_mask:0xf bound_ctrl:1
	v_max_f32_e32 v8, v8, v8
	v_mov_b32_dpp v7, v9 quad_perm:[2,3,0,1] row_mask:0xf bank_mask:0xf bound_ctrl:1
	v_max_f32_e32 v6, v8, v6
	v_max_f32_e32 v21, v7, v7
	v_med3_f32 v6, v7, v9, v6
	v_max_f32_e32 v21, v21, v9
	v_lshlrev_b32_e32 v20, 2, v20
	v_mov_b32_dpp v9, v6 row_half_mirror row_mask:0xf bank_mask:0xf bound_ctrl:1
	v_mov_b32_dpp v8, v21 row_half_mirror row_mask:0xf bank_mask:0xf bound_ctrl:1
	v_max_f32_e32 v9, v9, v9
	v_max_f32_e32 v7, v8, v8
	;; [unrolled: 1-line block ×4, first 2 shown]
	v_med3_f32 v6, v8, v21, v6
	v_add_f32_e32 v6, v7, v6
	ds_bpermute_b32 v9, v20, v6
	v_cmp_eq_u32_e32 vcc, 0, v15
	v_cndmask_b32_e32 v6, v1, v11, vcc
	v_cmp_eq_u32_e32 vcc, 0, v14
	v_cndmask_b32_e32 v7, v1, v11, vcc
	s_waitcnt lgkmcnt(0)
	v_mov_b32_dpp v20, v9 quad_perm:[1,0,3,2] row_mask:0xf bank_mask:0xf bound_ctrl:1
	v_med3_f32 v20, v9, v20, v16
	v_lshlrev_b32_e32 v8, 2, v13
	ds_write_b128 v19, v[2:5]
	v_mov_b32_dpp v21, v20 quad_perm:[2,3,0,1] row_mask:0xf bank_mask:0xf bound_ctrl:1
	v_med3_f32 v20, v20, v21, v17
	s_nop 1
	v_mov_b32_dpp v21, v20 quad_perm:[1,0,3,2] row_mask:0xf bank_mask:0xf bound_ctrl:1
	v_med3_f32 v20, v20, v21, v18
	s_nop 1
	v_mov_b32_dpp v21, v20 row_shl:4 row_mask:0xf bank_mask:0x5 bound_ctrl:1
	s_nop 1
	v_mov_b32_dpp v21, v20 row_shr:4 row_mask:0xf bank_mask:0xa bound_ctrl:1
	v_med3_f32 v20, v20, v21, v27
	s_nop 1
	v_mov_b32_dpp v21, v20 quad_perm:[2,3,0,1] row_mask:0xf bank_mask:0xf bound_ctrl:1
	v_med3_f32 v20, v20, v21, v6
	s_nop 1
	v_mov_b32_dpp v21, v20 quad_perm:[1,0,3,2] row_mask:0xf bank_mask:0xf bound_ctrl:1
	v_med3_f32 v20, v20, v21, v7
	ds_bpermute_b32 v20, v8, v20 offset:12
	v_bfe_i32 v21, v10, 3, 1
	s_waitcnt lgkmcnt(0)
	v_cmp_gt_f32_e32 vcc, v9, v20
	v_cndmask_b32_e64 v2, 0, 1, vcc
	s_nop 1
	v_mov_b32_dpp v2, v2 row_shr:1 row_mask:0xf bank_mask:0xf bound_ctrl:1
	v_addc_co_u32_e64 v3, s[0:1], 0, v2, vcc
	s_nop 1
	v_mov_b32_dpp v3, v3 row_shr:2 row_mask:0xf bank_mask:0xf bound_ctrl:1
	v_addc_co_u32_e32 v2, vcc, v3, v2, vcc
	v_cmp_eq_f32_e32 vcc, v9, v20
	s_nop 0
	v_add_u32_dpp v2, v2, v2 row_shr:4 row_mask:0xf bank_mask:0xf bound_ctrl:1
	s_nop 1
	v_add_u32_dpp v2, v2, v2 row_shr:8 row_mask:0xf bank_mask:0xf bound_ctrl:1
	s_nop 1
	v_and_b32_dpp v3, v2, v21 row_newbcast:7 row_mask:0xf bank_mask:0xf bound_ctrl:1
	v_sub_u32_e32 v2, v2, v3
	v_cndmask_b32_e64 v3, 0, 1, vcc
	v_readlane_b32 s2, v2, 7
	s_nop 0
	v_mov_b32_dpp v3, v3 row_shr:1 row_mask:0xf bank_mask:0xf bound_ctrl:1
	v_addc_co_u32_e64 v4, s[0:1], 0, v3, vcc
	s_nop 1
	v_mov_b32_dpp v4, v4 row_shr:2 row_mask:0xf bank_mask:0xf bound_ctrl:1
	v_addc_co_u32_e64 v3, s[0:1], v4, v3, vcc
	s_nop 1
	v_add_u32_dpp v3, v3, v3 row_shr:4 row_mask:0xf bank_mask:0xf bound_ctrl:1
	s_nop 1
	v_add_u32_dpp v3, v3, v3 row_shr:8 row_mask:0xf bank_mask:0xf bound_ctrl:1
	s_nop 1
	v_and_b32_dpp v4, v3, v21 row_newbcast:7 row_mask:0xf bank_mask:0xf bound_ctrl:1
	v_add_u32_e32 v3, s2, v3
	v_sub_u32_e32 v3, v3, v4
	v_cndmask_b32_e32 v2, v2, v3, vcc
	v_cmp_ge_f32_e32 vcc, v9, v20
	v_cmp_ge_i32_e64 s[0:1], s18, v2
	s_and_b64 s[0:1], vcc, s[0:1]
	v_cmp_gt_u32_e32 vcc, 8, v0
	s_and_b64 s[2:3], vcc, s[0:1]
	s_and_saveexec_b64 s[0:1], s[2:3]
	s_cbranch_execz .LBB1_2
; %bb.1:
	v_lshl_add_u32 v2, v2, 2, s7
	ds_write_b32 v2, v0 offset:28
.LBB1_2:
	s_or_b64 exec, exec, s[0:1]
	v_lshrrev_b32_e32 v2, 3, v0
	v_and_b32_e32 v2, 0x7c, v2
	v_add_u32_e32 v2, s7, v2
	s_waitcnt lgkmcnt(0)
	s_barrier
	ds_read_b32 v2, v2 offset:32
	v_add_u32_e32 v3, 64, v0
	v_and_b32_e32 v9, 31, v0
	v_lshrrev_b32_e32 v3, 3, v3
	v_and_b32_e32 v3, 0xfc, v3
	s_waitcnt lgkmcnt(0)
	v_lshl_or_b32 v4, v2, 5, v9
	v_add_u32_e32 v3, s7, v3
	v_lshl_add_u32 v2, v4, 2, 0
	ds_read_b32 v3, v3 offset:32
	ds_read_b32 v5, v2
	v_bfe_u32 v21, v0, 3, 1
	v_cmp_eq_u32_e32 vcc, v12, v21
	v_cndmask_b32_e32 v22, v1, v11, vcc
	v_cmp_eq_u32_e32 vcc, v15, v21
	s_waitcnt lgkmcnt(0)
	v_mov_b32_dpp v19, v5 quad_perm:[1,0,3,2] row_mask:0xf bank_mask:0xf bound_ctrl:1
	v_med3_f32 v19, v5, v19, v16
	v_cndmask_b32_e32 v23, v1, v11, vcc
	v_cmp_eq_u32_e32 vcc, v14, v21
	v_mov_b32_dpp v20, v19 quad_perm:[2,3,0,1] row_mask:0xf bank_mask:0xf bound_ctrl:1
	v_med3_f32 v19, v19, v20, v17
	v_cndmask_b32_e32 v24, v1, v11, vcc
	v_bfe_u32 v25, v0, 4, 1
	v_mov_b32_dpp v20, v19 quad_perm:[1,0,3,2] row_mask:0xf bank_mask:0xf bound_ctrl:1
	v_med3_f32 v19, v19, v20, v18
	v_cmp_eq_u32_e32 vcc, v21, v25
	v_cndmask_b32_e32 v26, v1, v11, vcc
	v_mov_b32_dpp v20, v19 row_shl:4 row_mask:0xf bank_mask:0x5 bound_ctrl:1
	v_lshl_or_b32 v2, v3, 5, v9
	v_lshl_add_u32 v3, v2, 2, 0
	v_mov_b32_dpp v20, v19 row_shr:4 row_mask:0xf bank_mask:0xa bound_ctrl:1
	v_med3_f32 v19, v19, v20, v22
	v_cmp_eq_u32_e32 vcc, v12, v25
	ds_read_b32 v3, v3
	v_mov_b32_dpp v20, v19 quad_perm:[2,3,0,1] row_mask:0xf bank_mask:0xf bound_ctrl:1
	v_med3_f32 v19, v19, v20, v23
	v_cndmask_b32_e32 v27, v1, v11, vcc
	v_cmp_eq_u32_e32 vcc, v15, v25
	v_mov_b32_dpp v20, v19 quad_perm:[1,0,3,2] row_mask:0xf bank_mask:0xf bound_ctrl:1
	v_med3_f32 v19, v19, v20, v24
	v_cndmask_b32_e32 v15, v1, v11, vcc
	v_cmp_eq_u32_e32 vcc, v14, v25
	v_mov_b32_dpp v20, v19 row_shl:8 row_mask:0xf bank_mask:0x3 bound_ctrl:1
	v_cndmask_b32_e32 v14, v1, v11, vcc
	v_cmp_gt_u32_e32 vcc, 32, v0
	v_mov_b32_dpp v20, v19 row_shr:8 row_mask:0xf bank_mask:0xc bound_ctrl:1
	v_med3_f32 v19, v19, v20, v26
	v_cmp_lt_u32_e64 s[2:3], 15, v10
	s_lshl_b32 s8, s17, 2
	v_mov_b32_dpp v20, v19 row_shl:4 row_mask:0xf bank_mask:0x5 bound_ctrl:1
	s_add_i32 s12, s7, s8
	s_add_i32 s13, s7, 64
	v_mov_b32_dpp v20, v19 row_shr:4 row_mask:0xf bank_mask:0xa bound_ctrl:1
	v_med3_f32 v19, v19, v20, v27
	s_add_i32 s16, s12, 64
	s_nop 0
	v_mov_b32_dpp v20, v19 quad_perm:[2,3,0,1] row_mask:0xf bank_mask:0xf bound_ctrl:1
	v_med3_f32 v19, v19, v20, v15
	s_nop 1
	v_mov_b32_dpp v20, v19 quad_perm:[1,0,3,2] row_mask:0xf bank_mask:0xf bound_ctrl:1
	v_med3_f32 v19, v19, v20, v14
	s_waitcnt lgkmcnt(0)
	v_mov_b32_dpp v20, v3 quad_perm:[1,0,3,2] row_mask:0xf bank_mask:0xf bound_ctrl:1
	v_med3_f32 v16, v3, v20, v16
	s_nop 1
	v_mov_b32_dpp v20, v16 quad_perm:[2,3,0,1] row_mask:0xf bank_mask:0xf bound_ctrl:1
	v_med3_f32 v16, v16, v20, v17
	s_nop 1
	;; [unrolled: 3-line block ×3, first 2 shown]
	v_mov_b32_dpp v17, v16 row_shl:4 row_mask:0xf bank_mask:0x5 bound_ctrl:1
	s_nop 1
	v_mov_b32_dpp v17, v16 row_shr:4 row_mask:0xf bank_mask:0xa bound_ctrl:1
	v_med3_f32 v16, v16, v17, v22
	s_nop 1
	v_mov_b32_dpp v17, v16 quad_perm:[2,3,0,1] row_mask:0xf bank_mask:0xf bound_ctrl:1
	v_med3_f32 v16, v16, v17, v23
	s_nop 1
	v_mov_b32_dpp v17, v16 quad_perm:[1,0,3,2] row_mask:0xf bank_mask:0xf bound_ctrl:1
	v_med3_f32 v16, v16, v17, v24
	s_nop 1
	v_mov_b32_dpp v17, v16 row_shl:8 row_mask:0xf bank_mask:0x3 bound_ctrl:1
	s_nop 1
	v_mov_b32_dpp v17, v16 row_shr:8 row_mask:0xf bank_mask:0xc bound_ctrl:1
	v_med3_f32 v16, v16, v17, v26
	s_nop 1
	v_mov_b32_dpp v17, v16 row_shl:4 row_mask:0xf bank_mask:0x5 bound_ctrl:1
	s_nop 1
	v_mov_b32_dpp v17, v16 row_shr:4 row_mask:0xf bank_mask:0xa bound_ctrl:1
	v_med3_f32 v16, v16, v17, v27
	s_nop 1
	v_mov_b32_dpp v17, v16 quad_perm:[2,3,0,1] row_mask:0xf bank_mask:0xf bound_ctrl:1
	v_med3_f32 v16, v16, v17, v15
	s_nop 1
	v_mov_b32_dpp v17, v16 quad_perm:[1,0,3,2] row_mask:0xf bank_mask:0xf bound_ctrl:1
	v_med3_f32 v16, v16, v17, v14
	v_lshlrev_b32_e32 v17, 1, v0
	v_bfi_b32 v18, 48, v17, v9
	v_or_b32_e32 v18, v13, v18
	v_lshlrev_b32_e32 v18, 2, v18
	ds_bpermute_b32 v19, v18, v19
	ds_bpermute_b32 v16, v18, v16
	v_xor_b32_e32 v9, v9, v17
	v_and_b32_e32 v9, 48, v9
	s_waitcnt lgkmcnt(0)
	v_cndmask_b32_e32 v16, v16, v19, vcc
	s_nop 1
	v_mov_b32_dpp v17, v16 row_shl:8 row_mask:0xf bank_mask:0x3 bound_ctrl:1
	v_cmp_eq_u32_e32 vcc, 0, v21
	s_nop 0
	v_mov_b32_dpp v17, v16 row_shr:8 row_mask:0xf bank_mask:0xc bound_ctrl:1
	v_med3_f32 v16, v16, v17, v26
	s_nop 1
	v_mov_b32_dpp v17, v16 row_shl:4 row_mask:0xf bank_mask:0x5 bound_ctrl:1
	s_nop 1
	v_mov_b32_dpp v17, v16 row_shr:4 row_mask:0xf bank_mask:0xa bound_ctrl:1
	v_med3_f32 v16, v16, v17, v27
	s_nop 1
	v_mov_b32_dpp v17, v16 quad_perm:[2,3,0,1] row_mask:0xf bank_mask:0xf bound_ctrl:1
	v_med3_f32 v16, v16, v17, v15
	s_nop 1
	v_mov_b32_dpp v17, v16 quad_perm:[1,0,3,2] row_mask:0xf bank_mask:0xf bound_ctrl:1
	v_med3_f32 v16, v16, v17, v14
	v_and_b32_e32 v17, 63, v0
	v_xor_b32_e32 v9, v9, v17
	v_or_b32_e32 v9, v13, v9
	v_lshlrev_b32_e32 v9, 2, v9
	ds_bpermute_b32 v13, v9, v16
	s_waitcnt lgkmcnt(0)
	s_nop 0
	v_mov_b32_dpp v16, v13 row_shl:8 row_mask:0xf bank_mask:0x3 bound_ctrl:1
	s_nop 1
	v_mov_b32_dpp v16, v13 row_shr:8 row_mask:0xf bank_mask:0xc bound_ctrl:1
	v_med3_f32 v13, v13, v16, v26
	s_nop 1
	v_mov_b32_dpp v16, v13 row_shl:4 row_mask:0xf bank_mask:0x5 bound_ctrl:1
	s_nop 1
	v_mov_b32_dpp v16, v13 row_shr:4 row_mask:0xf bank_mask:0xa bound_ctrl:1
	v_med3_f32 v13, v13, v16, v27
	s_nop 1
	v_mov_b32_dpp v16, v13 quad_perm:[2,3,0,1] row_mask:0xf bank_mask:0xf bound_ctrl:1
	v_med3_f32 v13, v13, v16, v15
	s_nop 1
	v_mov_b32_dpp v15, v13 quad_perm:[1,0,3,2] row_mask:0xf bank_mask:0xf bound_ctrl:1
	v_med3_f32 v13, v13, v15, v14
	ds_bpermute_b32 v9, v9, v13
	v_cndmask_b32_e32 v14, v1, v11, vcc
	v_cmp_eq_u32_e32 vcc, 0, v12
	v_cndmask_b32_e32 v1, v1, v11, vcc
	s_waitcnt lgkmcnt(0)
	v_mov_b32_dpp v13, v9 row_shl:8 row_mask:0xf bank_mask:0x3 bound_ctrl:1
	s_nop 1
	v_mov_b32_dpp v13, v9 row_shr:8 row_mask:0xf bank_mask:0xc bound_ctrl:1
	v_med3_f32 v9, v9, v13, v14
	s_nop 1
	v_mov_b32_dpp v13, v9 row_shl:4 row_mask:0xf bank_mask:0x5 bound_ctrl:1
	s_nop 1
	v_mov_b32_dpp v13, v9 row_shr:4 row_mask:0xf bank_mask:0xa bound_ctrl:1
	v_med3_f32 v1, v9, v13, v1
	s_nop 1
	v_mov_b32_dpp v9, v1 quad_perm:[2,3,0,1] row_mask:0xf bank_mask:0xf bound_ctrl:1
	v_med3_f32 v1, v1, v9, v6
	s_nop 1
	v_mov_b32_dpp v6, v1 quad_perm:[1,0,3,2] row_mask:0xf bank_mask:0xf bound_ctrl:1
	v_med3_f32 v1, v1, v6, v7
	ds_bpermute_b32 v1, v8, v1 offset:28
	v_lshlrev_b32_e32 v6, 2, v10
	v_and_b32_e32 v6, 0xc0, v6
	v_add_u32_e32 v7, -4, v6
	v_add_u32_e32 v11, 0xffffffbc, v6
	s_waitcnt lgkmcnt(0)
	v_cmp_gt_f32_e32 vcc, v5, v1
	v_cndmask_b32_e64 v8, 0, 1, vcc
	v_cmp_eq_f32_e64 s[8:9], v5, v1
	s_nop 0
	v_mov_b32_dpp v8, v8 row_shr:1 row_mask:0xf bank_mask:0xf bound_ctrl:1
	v_addc_co_u32_e64 v9, s[0:1], 0, v8, vcc
	s_nop 1
	v_mov_b32_dpp v9, v9 row_shr:2 row_mask:0xf bank_mask:0xf bound_ctrl:1
	v_addc_co_u32_e32 v8, vcc, v9, v8, vcc
	v_cmp_gt_f32_e32 vcc, v3, v1
	s_nop 0
	v_add_u32_dpp v8, v8, v8 row_shr:4 row_mask:0xf bank_mask:0xf bound_ctrl:1
	s_nop 1
	v_add_u32_dpp v8, v8, v8 row_shr:8 row_mask:0xf bank_mask:0xf bound_ctrl:1
	ds_bpermute_b32 v9, v7, v8
	s_waitcnt lgkmcnt(0)
	v_cndmask_b32_e64 v6, 0, v9, s[2:3]
	v_cndmask_b32_e64 v9, 0, 1, vcc
	v_add_u32_e32 v6, v6, v8
	ds_bpermute_b32 v8, v11, v6
	v_mov_b32_dpp v9, v9 row_shr:1 row_mask:0xf bank_mask:0xf bound_ctrl:1
	v_addc_co_u32_e64 v12, s[0:1], 0, v9, vcc
	s_nop 1
	v_mov_b32_dpp v12, v12 row_shr:2 row_mask:0xf bank_mask:0xf bound_ctrl:1
	v_addc_co_u32_e32 v9, vcc, v12, v9, vcc
	v_cmp_lt_u32_e32 vcc, 31, v10
	s_nop 0
	v_add_u32_dpp v9, v9, v9 row_shr:4 row_mask:0xf bank_mask:0xf bound_ctrl:1
	s_waitcnt lgkmcnt(0)
	v_cndmask_b32_e32 v8, 0, v8, vcc
	v_add_u32_e32 v14, v6, v8
	v_add_u32_dpp v9, v9, v9 row_shr:8 row_mask:0xf bank_mask:0xf bound_ctrl:1
	ds_bpermute_b32 v12, v7, v9
	s_waitcnt lgkmcnt(0)
	v_cndmask_b32_e64 v10, 0, v12, s[2:3]
	v_cndmask_b32_e64 v12, 0, 1, s[8:9]
	v_add_u32_e32 v9, v10, v9
	ds_bpermute_b32 v10, v11, v9
	v_mov_b32_dpp v12, v12 row_shr:1 row_mask:0xf bank_mask:0xf bound_ctrl:1
	v_addc_co_u32_e64 v13, s[0:1], 0, v12, s[8:9]
	s_waitcnt lgkmcnt(0)
	v_cndmask_b32_e32 v6, 0, v10, vcc
	v_mov_b32_dpp v13, v13 row_shr:2 row_mask:0xf bank_mask:0xf bound_ctrl:1
	v_addc_co_u32_e64 v12, s[0:1], v13, v12, s[8:9]
	v_readlane_b32 s0, v14, 63
	s_nop 0
	v_add_u32_dpp v12, v12, v12 row_shr:4 row_mask:0xf bank_mask:0xf bound_ctrl:1
	v_add3_u32 v6, v9, s0, v6
	v_cmp_eq_f32_e64 s[0:1], v3, v1
	v_add_u32_dpp v12, v12, v12 row_shr:8 row_mask:0xf bank_mask:0xf bound_ctrl:1
	ds_bpermute_b32 v13, v7, v12
	v_cndmask_b32_e64 v10, 0, 1, s[0:1]
	s_waitcnt lgkmcnt(0)
	v_cndmask_b32_e64 v8, 0, v13, s[2:3]
	v_mov_b32_dpp v10, v10 row_shr:1 row_mask:0xf bank_mask:0xf bound_ctrl:1
	v_add_u32_e32 v8, v8, v12
	v_addc_co_u32_e64 v12, s[10:11], 0, v10, s[0:1]
	ds_bpermute_b32 v9, v11, v8
	s_nop 0
	v_mov_b32_dpp v12, v12 row_shr:2 row_mask:0xf bank_mask:0xf bound_ctrl:1
	v_addc_co_u32_e64 v10, s[10:11], v12, v10, s[0:1]
	v_readlane_b32 s10, v6, 63
	s_nop 0
	v_add_u32_dpp v10, v10, v10 row_shr:4 row_mask:0xf bank_mask:0xf bound_ctrl:1
	s_waitcnt lgkmcnt(0)
	v_cndmask_b32_e32 v9, 0, v9, vcc
	v_add3_u32 v9, v8, s10, v9
	v_add_u32_dpp v10, v10, v10 row_shr:8 row_mask:0xf bank_mask:0xf bound_ctrl:1
	ds_bpermute_b32 v7, v7, v10
	v_readlane_b32 s10, v9, 63
	v_cndmask_b32_e64 v9, v14, v9, s[8:9]
	v_cmp_ge_i32_e64 s[8:9], s17, v9
	s_waitcnt lgkmcnt(0)
	v_cndmask_b32_e64 v7, 0, v7, s[2:3]
	v_add_u32_e32 v7, v7, v10
	ds_bpermute_b32 v8, v11, v7
	v_cmp_ge_f32_e64 s[2:3], v5, v1
	s_and_b64 s[8:9], s[2:3], s[8:9]
	s_and_saveexec_b64 s[2:3], s[8:9]
	s_cbranch_execz .LBB1_4
; %bb.3:
	v_lshl_add_u32 v9, v9, 2, -4
	v_add_u32_e32 v10, s16, v9
	v_add_u32_e32 v9, s13, v9
	ds_write_b32 v9, v4
	ds_write_b32 v10, v5
.LBB1_4:
	s_or_b64 exec, exec, s[2:3]
	s_waitcnt lgkmcnt(0)
	v_cndmask_b32_e32 v4, 0, v8, vcc
	v_add3_u32 v4, v7, s10, v4
	v_cndmask_b32_e64 v4, v6, v4, s[0:1]
	v_cmp_ge_f32_e32 vcc, v3, v1
	v_cmp_ge_i32_e64 s[0:1], s17, v4
	s_and_b64 s[2:3], vcc, s[0:1]
	s_and_saveexec_b64 s[0:1], s[2:3]
	s_cbranch_execz .LBB1_6
; %bb.5:
	v_lshl_add_u32 v1, v4, 2, -4
	v_add_u32_e32 v4, s16, v1
	v_add_u32_e32 v1, s13, v1
	ds_write_b32 v1, v2
	ds_write_b32 v4, v3
.LBB1_6:
	s_or_b64 exec, exec, s[0:1]
	v_cmp_gt_u32_e32 vcc, s17, v0
	s_waitcnt lgkmcnt(0)
	s_barrier
	s_and_saveexec_b64 s[0:1], vcc
	s_cbranch_execz .LBB1_8
; %bb.7:
	v_lshlrev_b32_e32 v4, 2, v0
	v_add_u32_e32 v0, s7, v4
	ds_read_b32 v0, v0 offset:64
	v_mov_b32_e32 v5, s15
	s_load_dwordx2 s[8:9], s[4:5], 0x20
	s_waitcnt lgkmcnt(0)
	v_ashrrev_i32_e32 v1, 31, v0
	v_lshlrev_b64 v[2:3], 2, v[0:1]
	v_add_co_u32_e32 v2, vcc, s14, v2
	v_addc_co_u32_e32 v3, vcc, v5, v3, vcc
	global_load_dword v1, v[2:3], off
	v_add_u32_e32 v2, s12, v4
	ds_read_b32 v2, v2 offset:64
	s_load_dwordx4 s[0:3], s[4:5], 0x10
	s_load_dword s7, s[4:5], 0x38
	s_ashr_i32 s4, s6, 31
	s_mul_i32 s5, s6, s9
	s_mul_hi_u32 s9, s6, s8
	s_mul_i32 s10, s4, s8
	s_add_i32 s5, s9, s5
	s_mul_i32 s4, s6, s8
	s_add_i32 s5, s5, s10
	s_lshl_b64 s[4:5], s[4:5], 2
	s_waitcnt lgkmcnt(0)
	s_add_u32 s0, s0, s4
	s_addc_u32 s1, s1, s5
	s_add_u32 s2, s2, s4
	s_addc_u32 s3, s3, s5
	s_waitcnt vmcnt(0)
	v_sub_f32_e32 v1, v2, v1
	s_nop 1
	v_mov_b32_dpp v2, v1 quad_perm:[1,0,3,2] row_mask:0xf bank_mask:0xf
	v_add_f32_e32 v2, v1, v2
	v_mul_f32_e32 v1, s7, v1
	s_nop 0
	v_mov_b32_dpp v3, v2 quad_perm:[2,3,0,1] row_mask:0xf bank_mask:0xf
	v_add_f32_e32 v2, v2, v3
	s_nop 1
	v_mov_b32_dpp v3, v2 row_half_mirror row_mask:0xf bank_mask:0xf
	v_add_f32_e32 v2, v2, v3
	v_rcp_f32_e32 v2, v2
	v_mul_f32_e32 v1, v1, v2
	global_store_dword v4, v1, s[0:1]
	global_store_dword v4, v0, s[2:3]
.LBB1_8:
	s_endpgm
	.section	.rodata,"a",@progbits
	.p2align	6, 0x0
	.amdhsa_kernel _ZN5aiter28grouped_topk_opt_sort_kernelIfDv4_fLi8ELb1ELb1ELb0EEEvPT_PKS2_PfPimiiiif
		.amdhsa_group_segment_fixed_size 0
		.amdhsa_private_segment_fixed_size 0
		.amdhsa_kernarg_size 60
		.amdhsa_user_sgpr_count 6
		.amdhsa_user_sgpr_private_segment_buffer 1
		.amdhsa_user_sgpr_dispatch_ptr 0
		.amdhsa_user_sgpr_queue_ptr 0
		.amdhsa_user_sgpr_kernarg_segment_ptr 1
		.amdhsa_user_sgpr_dispatch_id 0
		.amdhsa_user_sgpr_flat_scratch_init 0
		.amdhsa_user_sgpr_kernarg_preload_length 0
		.amdhsa_user_sgpr_kernarg_preload_offset 0
		.amdhsa_user_sgpr_private_segment_size 0
		.amdhsa_uses_dynamic_stack 0
		.amdhsa_system_sgpr_private_segment_wavefront_offset 0
		.amdhsa_system_sgpr_workgroup_id_x 1
		.amdhsa_system_sgpr_workgroup_id_y 0
		.amdhsa_system_sgpr_workgroup_id_z 0
		.amdhsa_system_sgpr_workgroup_info 0
		.amdhsa_system_vgpr_workitem_id 0
		.amdhsa_next_free_vgpr 28
		.amdhsa_next_free_sgpr 20
		.amdhsa_accum_offset 28
		.amdhsa_reserve_vcc 1
		.amdhsa_reserve_flat_scratch 0
		.amdhsa_float_round_mode_32 0
		.amdhsa_float_round_mode_16_64 0
		.amdhsa_float_denorm_mode_32 3
		.amdhsa_float_denorm_mode_16_64 3
		.amdhsa_dx10_clamp 1
		.amdhsa_ieee_mode 1
		.amdhsa_fp16_overflow 0
		.amdhsa_tg_split 0
		.amdhsa_exception_fp_ieee_invalid_op 0
		.amdhsa_exception_fp_denorm_src 0
		.amdhsa_exception_fp_ieee_div_zero 0
		.amdhsa_exception_fp_ieee_overflow 0
		.amdhsa_exception_fp_ieee_underflow 0
		.amdhsa_exception_fp_ieee_inexact 0
		.amdhsa_exception_int_div_zero 0
	.end_amdhsa_kernel
	.section	.text._ZN5aiter28grouped_topk_opt_sort_kernelIfDv4_fLi8ELb1ELb1ELb0EEEvPT_PKS2_PfPimiiiif,"axG",@progbits,_ZN5aiter28grouped_topk_opt_sort_kernelIfDv4_fLi8ELb1ELb1ELb0EEEvPT_PKS2_PfPimiiiif,comdat
.Lfunc_end1:
	.size	_ZN5aiter28grouped_topk_opt_sort_kernelIfDv4_fLi8ELb1ELb1ELb0EEEvPT_PKS2_PfPimiiiif, .Lfunc_end1-_ZN5aiter28grouped_topk_opt_sort_kernelIfDv4_fLi8ELb1ELb1ELb0EEEvPT_PKS2_PfPimiiiif
                                        ; -- End function
	.section	.AMDGPU.csdata,"",@progbits
; Kernel info:
; codeLenInByte = 3084
; NumSgprs: 24
; NumVgprs: 28
; NumAgprs: 0
; TotalNumVgprs: 28
; ScratchSize: 0
; MemoryBound: 0
; FloatMode: 240
; IeeeMode: 1
; LDSByteSize: 0 bytes/workgroup (compile time only)
; SGPRBlocks: 2
; VGPRBlocks: 3
; NumSGPRsForWavesPerEU: 24
; NumVGPRsForWavesPerEU: 28
; AccumOffset: 28
; Occupancy: 8
; WaveLimiterHint : 0
; COMPUTE_PGM_RSRC2:SCRATCH_EN: 0
; COMPUTE_PGM_RSRC2:USER_SGPR: 6
; COMPUTE_PGM_RSRC2:TRAP_HANDLER: 0
; COMPUTE_PGM_RSRC2:TGID_X_EN: 1
; COMPUTE_PGM_RSRC2:TGID_Y_EN: 0
; COMPUTE_PGM_RSRC2:TGID_Z_EN: 0
; COMPUTE_PGM_RSRC2:TIDIG_COMP_CNT: 0
; COMPUTE_PGM_RSRC3_GFX90A:ACCUM_OFFSET: 6
; COMPUTE_PGM_RSRC3_GFX90A:TG_SPLIT: 0
	.section	.text._ZN5aiter28grouped_topk_opt_sort_kernelIN3c104HalfEDv4_fLi8ELb1ELb1ELb0EEEvPT_PKS4_PfPimiiiif,"axG",@progbits,_ZN5aiter28grouped_topk_opt_sort_kernelIN3c104HalfEDv4_fLi8ELb1ELb1ELb0EEEvPT_PKS4_PfPimiiiif,comdat
	.protected	_ZN5aiter28grouped_topk_opt_sort_kernelIN3c104HalfEDv4_fLi8ELb1ELb1ELb0EEEvPT_PKS4_PfPimiiiif ; -- Begin function _ZN5aiter28grouped_topk_opt_sort_kernelIN3c104HalfEDv4_fLi8ELb1ELb1ELb0EEEvPT_PKS4_PfPimiiiif
	.globl	_ZN5aiter28grouped_topk_opt_sort_kernelIN3c104HalfEDv4_fLi8ELb1ELb1ELb0EEEvPT_PKS4_PfPimiiiif
	.p2align	8
	.type	_ZN5aiter28grouped_topk_opt_sort_kernelIN3c104HalfEDv4_fLi8ELb1ELb1ELb0EEEvPT_PKS4_PfPimiiiif,@function
_ZN5aiter28grouped_topk_opt_sort_kernelIN3c104HalfEDv4_fLi8ELb1ELb1ELb0EEEvPT_PKS4_PfPimiiiif: ; @_ZN5aiter28grouped_topk_opt_sort_kernelIN3c104HalfEDv4_fLi8ELb1ELb1ELb0EEEvPT_PKS4_PfPimiiiif
; %bb.0:
	s_load_dwordx4 s[16:19], s[4:5], 0x28
	s_load_dwordx4 s[12:15], s[4:5], 0x0
	v_lshlrev_b32_e32 v15, 3, v0
	v_bfe_u32 v11, v0, 1, 1
	v_and_b32_e32 v10, 1, v0
	s_waitcnt lgkmcnt(0)
	s_lshl_b32 s1, s16, 2
	s_mul_i32 s0, s6, s16
	s_add_i32 s7, s1, 0
	s_ashr_i32 s1, s0, 31
	s_lshl_b64 s[0:1], s[0:1], 1
	s_add_u32 s0, s12, s0
	s_addc_u32 s1, s13, s1
	global_load_dwordx2 v[2:3], v15, s[14:15]
	global_load_dwordx2 v[4:5], v15, s[0:1]
	s_mov_b32 s0, 0x652b82fe
	v_mov_b32_e32 v1, 0xff800000
	v_mov_b32_e32 v7, 0x7f800000
	v_bfe_u32 v8, v0, 2, 1
	v_cmp_eq_u32_e32 vcc, v10, v11
	s_mov_b32 s1, 0xbff71547
	v_cndmask_b32_e32 v12, v1, v7, vcc
	v_cmp_eq_u32_e32 vcc, v11, v8
	v_and_b32_e32 v16, 4, v0
	v_cndmask_b32_e32 v13, v1, v7, vcc
	v_cmp_eq_u32_e32 vcc, v10, v8
	s_mov_b32 s8, 0xc2fc0000
	v_cndmask_b32_e32 v14, v1, v7, vcc
	v_cmp_eq_u32_e32 vcc, 0, v16
	v_mov_b32_e32 v24, 0x42800000
	v_cndmask_b32_e32 v26, v1, v7, vcc
	v_mov_b32_e32 v25, 0x1f800000
	s_mov_b32 s10, 0xff800000
	v_mbcnt_lo_u32_b32 v6, -1, 0
	v_mbcnt_hi_u32_b32 v6, -1, v6
	v_and_b32_e32 v9, 64, v6
	v_and_or_b32 v15, v15, 56, v9
	v_lshlrev_b32_e32 v15, 2, v15
	s_waitcnt vmcnt(1)
	v_cvt_f32_f16_e32 v16, v2
	s_waitcnt vmcnt(0)
	v_cvt_f32_f16_e32 v18, v4
	v_cvt_f32_f16_sdwa v19, v4 dst_sel:DWORD dst_unused:UNUSED_PAD src0_sel:WORD_1
	v_cvt_f32_f16_e32 v20, v5
	v_cvt_f32_f16_sdwa v22, v5 dst_sel:DWORD dst_unused:UNUSED_PAD src0_sel:WORD_1
	v_cvt_f64_f32_e32 v[4:5], v18
	v_cvt_f64_f32_e32 v[18:19], v19
	v_mul_f64 v[4:5], v[4:5], s[0:1]
	v_mul_f64 v[18:19], v[18:19], s[0:1]
	v_cvt_f64_f32_e32 v[20:21], v20
	v_cvt_f64_f32_e32 v[22:23], v22
	v_cvt_f32_f64_e32 v4, v[4:5]
	v_cvt_f32_f64_e32 v5, v[18:19]
	v_mul_f64 v[20:21], v[20:21], s[0:1]
	v_mul_f64 v[22:23], v[22:23], s[0:1]
	v_cmp_gt_f32_e32 vcc, s8, v4
	v_cmp_gt_f32_e64 s[0:1], s8, v5
	v_cvt_f32_f64_e32 v18, v[20:21]
	v_cvt_f32_f64_e32 v19, v[22:23]
	v_cndmask_b32_e32 v20, 0, v24, vcc
	v_cndmask_b32_e64 v21, 0, v24, s[0:1]
	v_cmp_gt_f32_e64 s[2:3], s8, v18
	v_cmp_gt_f32_e64 s[8:9], s8, v19
	v_add_f32_e32 v4, v4, v20
	v_add_f32_e32 v5, v5, v21
	v_cndmask_b32_e64 v22, 0, v24, s[2:3]
	v_cndmask_b32_e64 v23, 0, v24, s[8:9]
	v_exp_f32_e32 v4, v4
	v_exp_f32_e32 v5, v5
	v_add_f32_e32 v18, v18, v22
	v_add_f32_e32 v19, v19, v23
	v_exp_f32_e32 v18, v18
	v_exp_f32_e32 v19, v19
	v_cndmask_b32_e32 v20, 1.0, v25, vcc
	v_cndmask_b32_e64 v21, 1.0, v25, s[0:1]
	v_fma_f32 v4, v4, v20, 1.0
	v_fma_f32 v5, v5, v21, 1.0
	v_cvt_f32_f16_sdwa v17, v2 dst_sel:DWORD dst_unused:UNUSED_PAD src0_sel:WORD_1
	v_cndmask_b32_e64 v22, 1.0, v25, s[2:3]
	v_cndmask_b32_e64 v23, 1.0, v25, s[8:9]
	v_rcp_f32_e32 v4, v4
	v_rcp_f32_e32 v5, v5
	v_fma_f32 v18, v18, v22, 1.0
	v_fma_f32 v19, v19, v23, 1.0
	v_cvt_f32_f16_e32 v2, v3
	v_cvt_f32_f16_sdwa v3, v3 dst_sel:DWORD dst_unused:UNUSED_PAD src0_sel:WORD_1
	v_rcp_f32_e32 v18, v18
	v_rcp_f32_e32 v19, v19
	v_pk_add_f32 v[4:5], v[4:5], v[16:17]
	v_cmp_o_f32_e32 vcc, v5, v5
	v_pk_add_f32 v[16:17], v[18:19], v[2:3]
	v_cndmask_b32_e32 v3, v1, v5, vcc
	v_cmp_o_f32_e32 vcc, v4, v4
	v_cndmask_b32_e32 v2, v1, v4, vcc
	v_cmp_o_f32_e32 vcc, v17, v17
	;; [unrolled: 2-line block ×3, first 2 shown]
	v_cndmask_b32_e32 v4, v1, v16, vcc
	v_med3_f32 v16, v3, v2, s10
	v_max_f32_e32 v17, v3, v2
	v_med3_f32 v16, v4, v17, v16
	v_max_f32_e32 v17, v4, v17
	;; [unrolled: 2-line block ×3, first 2 shown]
	v_cmp_eq_u32_e32 vcc, 0, v11
	v_mov_b32_dpp v19, v16 quad_perm:[1,0,3,2] row_mask:0xf bank_mask:0xf bound_ctrl:1
	v_max_f32_e32 v19, v19, v19
	v_mov_b32_dpp v18, v17 quad_perm:[1,0,3,2] row_mask:0xf bank_mask:0xf bound_ctrl:1
	v_max_f32_e32 v16, v19, v16
	v_med3_f32 v16, v18, v17, v16
	v_max_f32_e32 v20, v18, v18
	v_max_f32_e32 v19, v20, v17
	v_mov_b32_dpp v18, v16 quad_perm:[2,3,0,1] row_mask:0xf bank_mask:0xf bound_ctrl:1
	v_max_f32_e32 v18, v18, v18
	v_mov_b32_dpp v17, v19 quad_perm:[2,3,0,1] row_mask:0xf bank_mask:0xf bound_ctrl:1
	v_max_f32_e32 v16, v18, v16
	v_max_f32_e32 v20, v17, v17
	v_med3_f32 v16, v17, v19, v16
	v_max_f32_e32 v20, v20, v19
	s_nop 0
	v_mov_b32_dpp v19, v16 row_half_mirror row_mask:0xf bank_mask:0xf bound_ctrl:1
	v_mov_b32_dpp v18, v20 row_half_mirror row_mask:0xf bank_mask:0xf bound_ctrl:1
	v_max_f32_e32 v19, v19, v19
	v_max_f32_e32 v17, v18, v18
	;; [unrolled: 1-line block ×4, first 2 shown]
	v_med3_f32 v16, v18, v20, v16
	v_add_f32_e32 v16, v17, v16
	ds_bpermute_b32 v18, v15, v16
	v_cndmask_b32_e32 v15, v1, v7, vcc
	v_cmp_eq_u32_e32 vcc, 0, v10
	v_cndmask_b32_e32 v16, v1, v7, vcc
	v_lshlrev_b32_e32 v17, 2, v9
	s_waitcnt lgkmcnt(0)
	v_mov_b32_dpp v19, v18 quad_perm:[1,0,3,2] row_mask:0xf bank_mask:0xf bound_ctrl:1
	v_med3_f32 v19, v18, v19, v12
	s_nop 1
	v_mov_b32_dpp v20, v19 quad_perm:[2,3,0,1] row_mask:0xf bank_mask:0xf bound_ctrl:1
	v_med3_f32 v19, v19, v20, v13
	s_nop 1
	;; [unrolled: 3-line block ×3, first 2 shown]
	v_mov_b32_dpp v20, v19 row_shl:4 row_mask:0xf bank_mask:0x5 bound_ctrl:1
	s_nop 1
	v_mov_b32_dpp v20, v19 row_shr:4 row_mask:0xf bank_mask:0xa bound_ctrl:1
	v_med3_f32 v19, v19, v20, v26
	s_nop 1
	v_mov_b32_dpp v20, v19 quad_perm:[2,3,0,1] row_mask:0xf bank_mask:0xf bound_ctrl:1
	v_med3_f32 v19, v19, v20, v15
	s_nop 1
	v_mov_b32_dpp v20, v19 quad_perm:[1,0,3,2] row_mask:0xf bank_mask:0xf bound_ctrl:1
	v_med3_f32 v19, v19, v20, v16
	ds_bpermute_b32 v19, v17, v19 offset:12
	v_lshl_add_u32 v20, v0, 4, 0
	ds_write_b128 v20, v[2:5]
	s_waitcnt lgkmcnt(1)
	v_cmp_gt_f32_e32 vcc, v18, v19
	v_cndmask_b32_e64 v2, 0, 1, vcc
	s_nop 1
	v_mov_b32_dpp v2, v2 row_shr:1 row_mask:0xf bank_mask:0xf bound_ctrl:1
	v_addc_co_u32_e64 v3, s[0:1], 0, v2, vcc
	s_nop 1
	v_mov_b32_dpp v3, v3 row_shr:2 row_mask:0xf bank_mask:0xf bound_ctrl:1
	v_addc_co_u32_e32 v2, vcc, v3, v2, vcc
	v_bfe_i32 v3, v6, 3, 1
	s_nop 0
	v_add_u32_dpp v2, v2, v2 row_shr:4 row_mask:0xf bank_mask:0xf bound_ctrl:1
	v_cmp_eq_f32_e32 vcc, v18, v19
	s_nop 0
	v_add_u32_dpp v2, v2, v2 row_shr:8 row_mask:0xf bank_mask:0xf bound_ctrl:1
	s_nop 1
	v_and_b32_dpp v4, v2, v3 row_newbcast:7 row_mask:0xf bank_mask:0xf bound_ctrl:1
	v_sub_u32_e32 v2, v2, v4
	v_cndmask_b32_e64 v4, 0, 1, vcc
	v_readlane_b32 s2, v2, 7
	s_nop 0
	v_mov_b32_dpp v4, v4 row_shr:1 row_mask:0xf bank_mask:0xf bound_ctrl:1
	v_addc_co_u32_e64 v5, s[0:1], 0, v4, vcc
	s_nop 1
	v_mov_b32_dpp v5, v5 row_shr:2 row_mask:0xf bank_mask:0xf bound_ctrl:1
	v_addc_co_u32_e64 v4, s[0:1], v5, v4, vcc
	s_nop 1
	v_add_u32_dpp v4, v4, v4 row_shr:4 row_mask:0xf bank_mask:0xf bound_ctrl:1
	s_nop 1
	v_add_u32_dpp v4, v4, v4 row_shr:8 row_mask:0xf bank_mask:0xf bound_ctrl:1
	s_nop 1
	v_and_b32_dpp v3, v4, v3 row_newbcast:7 row_mask:0xf bank_mask:0xf bound_ctrl:1
	v_add_u32_e32 v4, s2, v4
	v_sub_u32_e32 v3, v4, v3
	v_cndmask_b32_e32 v2, v2, v3, vcc
	v_cmp_ge_f32_e32 vcc, v18, v19
	v_cmp_ge_i32_e64 s[0:1], s18, v2
	s_and_b64 s[0:1], vcc, s[0:1]
	v_cmp_gt_u32_e32 vcc, 8, v0
	s_and_b64 s[2:3], vcc, s[0:1]
	s_and_saveexec_b64 s[0:1], s[2:3]
	s_cbranch_execz .LBB2_2
; %bb.1:
	v_lshl_add_u32 v2, v2, 2, s7
	ds_write_b32 v2, v0 offset:28
.LBB2_2:
	s_or_b64 exec, exec, s[0:1]
	v_lshrrev_b32_e32 v2, 3, v0
	v_and_b32_e32 v2, 0x7c, v2
	v_add_u32_e32 v2, s7, v2
	s_waitcnt lgkmcnt(0)
	s_barrier
	ds_read_b32 v2, v2 offset:32
	v_add_u32_e32 v3, 64, v0
	v_and_b32_e32 v18, 31, v0
	v_lshrrev_b32_e32 v3, 3, v3
	v_and_b32_e32 v3, 0xfc, v3
	s_waitcnt lgkmcnt(0)
	v_lshl_or_b32 v4, v2, 5, v18
	v_add_u32_e32 v3, s7, v3
	v_lshl_add_u32 v2, v4, 2, 0
	ds_read_b32 v3, v3 offset:32
	ds_read_b32 v5, v2
	v_bfe_u32 v21, v0, 3, 1
	v_cmp_eq_u32_e32 vcc, v8, v21
	v_cndmask_b32_e32 v22, v1, v7, vcc
	v_cmp_eq_u32_e32 vcc, v11, v21
	s_waitcnt lgkmcnt(0)
	v_mov_b32_dpp v19, v5 quad_perm:[1,0,3,2] row_mask:0xf bank_mask:0xf bound_ctrl:1
	v_med3_f32 v19, v5, v19, v12
	v_cndmask_b32_e32 v23, v1, v7, vcc
	v_cmp_eq_u32_e32 vcc, v10, v21
	v_mov_b32_dpp v20, v19 quad_perm:[2,3,0,1] row_mask:0xf bank_mask:0xf bound_ctrl:1
	v_med3_f32 v19, v19, v20, v13
	v_cndmask_b32_e32 v24, v1, v7, vcc
	v_bfe_u32 v25, v0, 4, 1
	v_mov_b32_dpp v20, v19 quad_perm:[1,0,3,2] row_mask:0xf bank_mask:0xf bound_ctrl:1
	v_med3_f32 v19, v19, v20, v14
	v_cmp_eq_u32_e32 vcc, v21, v25
	v_cndmask_b32_e32 v26, v1, v7, vcc
	v_mov_b32_dpp v20, v19 row_shl:4 row_mask:0xf bank_mask:0x5 bound_ctrl:1
	v_lshl_or_b32 v2, v3, 5, v18
	v_lshl_add_u32 v3, v2, 2, 0
	v_mov_b32_dpp v20, v19 row_shr:4 row_mask:0xf bank_mask:0xa bound_ctrl:1
	v_med3_f32 v19, v19, v20, v22
	v_cmp_eq_u32_e32 vcc, v8, v25
	ds_read_b32 v3, v3
	v_mov_b32_dpp v20, v19 quad_perm:[2,3,0,1] row_mask:0xf bank_mask:0xf bound_ctrl:1
	v_med3_f32 v19, v19, v20, v23
	v_cndmask_b32_e32 v27, v1, v7, vcc
	v_cmp_eq_u32_e32 vcc, v11, v25
	v_mov_b32_dpp v20, v19 quad_perm:[1,0,3,2] row_mask:0xf bank_mask:0xf bound_ctrl:1
	v_med3_f32 v19, v19, v20, v24
	v_cndmask_b32_e32 v11, v1, v7, vcc
	v_cmp_eq_u32_e32 vcc, v10, v25
	v_mov_b32_dpp v20, v19 row_shl:8 row_mask:0xf bank_mask:0x3 bound_ctrl:1
	v_cndmask_b32_e32 v10, v1, v7, vcc
	v_cmp_gt_u32_e32 vcc, 32, v0
	v_mov_b32_dpp v20, v19 row_shr:8 row_mask:0xf bank_mask:0xc bound_ctrl:1
	v_med3_f32 v19, v19, v20, v26
	v_cmp_lt_u32_e64 s[2:3], 15, v6
	s_lshl_b32 s8, s17, 2
	v_mov_b32_dpp v20, v19 row_shl:4 row_mask:0xf bank_mask:0x5 bound_ctrl:1
	s_add_i32 s12, s7, s8
	s_add_i32 s13, s7, 64
	v_mov_b32_dpp v20, v19 row_shr:4 row_mask:0xf bank_mask:0xa bound_ctrl:1
	v_med3_f32 v19, v19, v20, v27
	s_add_i32 s16, s12, 64
	s_nop 0
	v_mov_b32_dpp v20, v19 quad_perm:[2,3,0,1] row_mask:0xf bank_mask:0xf bound_ctrl:1
	v_med3_f32 v19, v19, v20, v11
	s_nop 1
	v_mov_b32_dpp v20, v19 quad_perm:[1,0,3,2] row_mask:0xf bank_mask:0xf bound_ctrl:1
	v_med3_f32 v19, v19, v20, v10
	s_waitcnt lgkmcnt(0)
	v_mov_b32_dpp v20, v3 quad_perm:[1,0,3,2] row_mask:0xf bank_mask:0xf bound_ctrl:1
	v_med3_f32 v12, v3, v20, v12
	s_nop 1
	v_mov_b32_dpp v20, v12 quad_perm:[2,3,0,1] row_mask:0xf bank_mask:0xf bound_ctrl:1
	v_med3_f32 v12, v12, v20, v13
	s_nop 1
	;; [unrolled: 3-line block ×3, first 2 shown]
	v_mov_b32_dpp v13, v12 row_shl:4 row_mask:0xf bank_mask:0x5 bound_ctrl:1
	s_nop 1
	v_mov_b32_dpp v13, v12 row_shr:4 row_mask:0xf bank_mask:0xa bound_ctrl:1
	v_med3_f32 v12, v12, v13, v22
	s_nop 1
	v_mov_b32_dpp v13, v12 quad_perm:[2,3,0,1] row_mask:0xf bank_mask:0xf bound_ctrl:1
	v_med3_f32 v12, v12, v13, v23
	s_nop 1
	v_mov_b32_dpp v13, v12 quad_perm:[1,0,3,2] row_mask:0xf bank_mask:0xf bound_ctrl:1
	v_med3_f32 v12, v12, v13, v24
	s_nop 1
	v_mov_b32_dpp v13, v12 row_shl:8 row_mask:0xf bank_mask:0x3 bound_ctrl:1
	s_nop 1
	v_mov_b32_dpp v13, v12 row_shr:8 row_mask:0xf bank_mask:0xc bound_ctrl:1
	v_med3_f32 v12, v12, v13, v26
	s_nop 1
	v_mov_b32_dpp v13, v12 row_shl:4 row_mask:0xf bank_mask:0x5 bound_ctrl:1
	s_nop 1
	v_mov_b32_dpp v13, v12 row_shr:4 row_mask:0xf bank_mask:0xa bound_ctrl:1
	v_med3_f32 v12, v12, v13, v27
	s_nop 1
	v_mov_b32_dpp v13, v12 quad_perm:[2,3,0,1] row_mask:0xf bank_mask:0xf bound_ctrl:1
	v_med3_f32 v12, v12, v13, v11
	s_nop 1
	v_mov_b32_dpp v13, v12 quad_perm:[1,0,3,2] row_mask:0xf bank_mask:0xf bound_ctrl:1
	v_med3_f32 v12, v12, v13, v10
	v_lshlrev_b32_e32 v13, 1, v0
	v_bfi_b32 v14, 48, v13, v18
	v_or_b32_e32 v14, v9, v14
	v_lshlrev_b32_e32 v14, 2, v14
	ds_bpermute_b32 v19, v14, v19
	ds_bpermute_b32 v12, v14, v12
	v_xor_b32_e32 v13, v18, v13
	v_and_b32_e32 v13, 48, v13
	s_waitcnt lgkmcnt(0)
	v_cndmask_b32_e32 v12, v12, v19, vcc
	s_nop 1
	v_mov_b32_dpp v14, v12 row_shl:8 row_mask:0xf bank_mask:0x3 bound_ctrl:1
	v_cmp_eq_u32_e32 vcc, 0, v21
	s_nop 0
	v_mov_b32_dpp v14, v12 row_shr:8 row_mask:0xf bank_mask:0xc bound_ctrl:1
	v_med3_f32 v12, v12, v14, v26
	s_nop 1
	v_mov_b32_dpp v14, v12 row_shl:4 row_mask:0xf bank_mask:0x5 bound_ctrl:1
	s_nop 1
	v_mov_b32_dpp v14, v12 row_shr:4 row_mask:0xf bank_mask:0xa bound_ctrl:1
	v_med3_f32 v12, v12, v14, v27
	s_nop 1
	v_mov_b32_dpp v14, v12 quad_perm:[2,3,0,1] row_mask:0xf bank_mask:0xf bound_ctrl:1
	v_med3_f32 v12, v12, v14, v11
	s_nop 1
	v_mov_b32_dpp v14, v12 quad_perm:[1,0,3,2] row_mask:0xf bank_mask:0xf bound_ctrl:1
	v_med3_f32 v12, v12, v14, v10
	v_and_b32_e32 v14, 63, v0
	v_xor_b32_e32 v13, v13, v14
	v_or_b32_e32 v9, v9, v13
	v_lshlrev_b32_e32 v9, 2, v9
	ds_bpermute_b32 v12, v9, v12
	s_waitcnt lgkmcnt(0)
	s_nop 0
	v_mov_b32_dpp v13, v12 row_shl:8 row_mask:0xf bank_mask:0x3 bound_ctrl:1
	s_nop 1
	v_mov_b32_dpp v13, v12 row_shr:8 row_mask:0xf bank_mask:0xc bound_ctrl:1
	v_med3_f32 v12, v12, v13, v26
	s_nop 1
	v_mov_b32_dpp v13, v12 row_shl:4 row_mask:0xf bank_mask:0x5 bound_ctrl:1
	s_nop 1
	v_mov_b32_dpp v13, v12 row_shr:4 row_mask:0xf bank_mask:0xa bound_ctrl:1
	v_med3_f32 v12, v12, v13, v27
	s_nop 1
	v_mov_b32_dpp v13, v12 quad_perm:[2,3,0,1] row_mask:0xf bank_mask:0xf bound_ctrl:1
	v_med3_f32 v11, v12, v13, v11
	s_nop 1
	v_mov_b32_dpp v12, v11 quad_perm:[1,0,3,2] row_mask:0xf bank_mask:0xf bound_ctrl:1
	v_med3_f32 v10, v11, v12, v10
	ds_bpermute_b32 v9, v9, v10
	v_cndmask_b32_e32 v11, v1, v7, vcc
	v_cmp_eq_u32_e32 vcc, 0, v8
	v_cndmask_b32_e32 v1, v1, v7, vcc
	s_waitcnt lgkmcnt(0)
	v_mov_b32_dpp v10, v9 row_shl:8 row_mask:0xf bank_mask:0x3 bound_ctrl:1
	s_nop 1
	v_mov_b32_dpp v10, v9 row_shr:8 row_mask:0xf bank_mask:0xc bound_ctrl:1
	v_med3_f32 v9, v9, v10, v11
	s_nop 1
	v_mov_b32_dpp v10, v9 row_shl:4 row_mask:0xf bank_mask:0x5 bound_ctrl:1
	s_nop 1
	v_mov_b32_dpp v10, v9 row_shr:4 row_mask:0xf bank_mask:0xa bound_ctrl:1
	v_med3_f32 v1, v9, v10, v1
	s_nop 1
	v_mov_b32_dpp v7, v1 quad_perm:[2,3,0,1] row_mask:0xf bank_mask:0xf bound_ctrl:1
	v_med3_f32 v1, v1, v7, v15
	s_nop 1
	v_mov_b32_dpp v7, v1 quad_perm:[1,0,3,2] row_mask:0xf bank_mask:0xf bound_ctrl:1
	v_med3_f32 v1, v1, v7, v16
	ds_bpermute_b32 v1, v17, v1 offset:28
	v_lshlrev_b32_e32 v7, 2, v6
	v_and_b32_e32 v7, 0xc0, v7
	v_add_u32_e32 v8, -4, v7
	v_add_u32_e32 v11, 0xffffffbc, v7
	s_waitcnt lgkmcnt(0)
	v_cmp_gt_f32_e32 vcc, v5, v1
	v_cndmask_b32_e64 v9, 0, 1, vcc
	v_cmp_eq_f32_e64 s[8:9], v5, v1
	s_nop 0
	v_mov_b32_dpp v9, v9 row_shr:1 row_mask:0xf bank_mask:0xf bound_ctrl:1
	v_addc_co_u32_e64 v10, s[0:1], 0, v9, vcc
	s_nop 1
	v_mov_b32_dpp v10, v10 row_shr:2 row_mask:0xf bank_mask:0xf bound_ctrl:1
	v_addc_co_u32_e32 v9, vcc, v10, v9, vcc
	v_cmp_gt_f32_e32 vcc, v3, v1
	s_nop 0
	v_add_u32_dpp v9, v9, v9 row_shr:4 row_mask:0xf bank_mask:0xf bound_ctrl:1
	s_nop 1
	v_add_u32_dpp v9, v9, v9 row_shr:8 row_mask:0xf bank_mask:0xf bound_ctrl:1
	ds_bpermute_b32 v10, v8, v9
	s_waitcnt lgkmcnt(0)
	v_cndmask_b32_e64 v7, 0, v10, s[2:3]
	v_cndmask_b32_e64 v10, 0, 1, vcc
	v_add_u32_e32 v7, v7, v9
	ds_bpermute_b32 v9, v11, v7
	v_mov_b32_dpp v10, v10 row_shr:1 row_mask:0xf bank_mask:0xf bound_ctrl:1
	v_addc_co_u32_e64 v12, s[0:1], 0, v10, vcc
	s_nop 1
	v_mov_b32_dpp v12, v12 row_shr:2 row_mask:0xf bank_mask:0xf bound_ctrl:1
	v_addc_co_u32_e32 v10, vcc, v12, v10, vcc
	v_cmp_lt_u32_e32 vcc, 31, v6
	s_nop 0
	v_add_u32_dpp v10, v10, v10 row_shr:4 row_mask:0xf bank_mask:0xf bound_ctrl:1
	s_waitcnt lgkmcnt(0)
	v_cndmask_b32_e32 v6, 0, v9, vcc
	v_add_u32_e32 v14, v7, v6
	v_add_u32_dpp v10, v10, v10 row_shr:8 row_mask:0xf bank_mask:0xf bound_ctrl:1
	ds_bpermute_b32 v12, v8, v10
	s_waitcnt lgkmcnt(0)
	v_cndmask_b32_e64 v9, 0, v12, s[2:3]
	v_cndmask_b32_e64 v12, 0, 1, s[8:9]
	v_add_u32_e32 v9, v9, v10
	ds_bpermute_b32 v10, v11, v9
	v_mov_b32_dpp v12, v12 row_shr:1 row_mask:0xf bank_mask:0xf bound_ctrl:1
	v_addc_co_u32_e64 v13, s[0:1], 0, v12, s[8:9]
	s_waitcnt lgkmcnt(0)
	v_cndmask_b32_e32 v6, 0, v10, vcc
	v_mov_b32_dpp v13, v13 row_shr:2 row_mask:0xf bank_mask:0xf bound_ctrl:1
	v_addc_co_u32_e64 v12, s[0:1], v13, v12, s[8:9]
	v_readlane_b32 s0, v14, 63
	s_nop 0
	v_add_u32_dpp v12, v12, v12 row_shr:4 row_mask:0xf bank_mask:0xf bound_ctrl:1
	v_add3_u32 v6, v9, s0, v6
	v_cmp_eq_f32_e64 s[0:1], v3, v1
	v_add_u32_dpp v12, v12, v12 row_shr:8 row_mask:0xf bank_mask:0xf bound_ctrl:1
	ds_bpermute_b32 v13, v8, v12
	v_cndmask_b32_e64 v10, 0, 1, s[0:1]
	s_waitcnt lgkmcnt(0)
	v_cndmask_b32_e64 v7, 0, v13, s[2:3]
	v_mov_b32_dpp v10, v10 row_shr:1 row_mask:0xf bank_mask:0xf bound_ctrl:1
	v_add_u32_e32 v7, v7, v12
	v_addc_co_u32_e64 v12, s[10:11], 0, v10, s[0:1]
	ds_bpermute_b32 v9, v11, v7
	s_nop 0
	v_mov_b32_dpp v12, v12 row_shr:2 row_mask:0xf bank_mask:0xf bound_ctrl:1
	v_addc_co_u32_e64 v10, s[10:11], v12, v10, s[0:1]
	v_readlane_b32 s10, v6, 63
	s_nop 0
	v_add_u32_dpp v10, v10, v10 row_shr:4 row_mask:0xf bank_mask:0xf bound_ctrl:1
	s_waitcnt lgkmcnt(0)
	v_cndmask_b32_e32 v9, 0, v9, vcc
	v_add3_u32 v9, v7, s10, v9
	v_add_u32_dpp v10, v10, v10 row_shr:8 row_mask:0xf bank_mask:0xf bound_ctrl:1
	ds_bpermute_b32 v8, v8, v10
	v_readlane_b32 s10, v9, 63
	v_cndmask_b32_e64 v9, v14, v9, s[8:9]
	v_cmp_ge_i32_e64 s[8:9], s17, v9
	s_waitcnt lgkmcnt(0)
	v_cndmask_b32_e64 v7, 0, v8, s[2:3]
	v_add_u32_e32 v7, v7, v10
	ds_bpermute_b32 v8, v11, v7
	v_cmp_ge_f32_e64 s[2:3], v5, v1
	s_and_b64 s[8:9], s[2:3], s[8:9]
	s_and_saveexec_b64 s[2:3], s[8:9]
	s_cbranch_execz .LBB2_4
; %bb.3:
	v_lshl_add_u32 v9, v9, 2, -4
	v_add_u32_e32 v10, s16, v9
	v_add_u32_e32 v9, s13, v9
	ds_write_b32 v9, v4
	ds_write_b32 v10, v5
.LBB2_4:
	s_or_b64 exec, exec, s[2:3]
	s_waitcnt lgkmcnt(0)
	v_cndmask_b32_e32 v4, 0, v8, vcc
	v_add3_u32 v4, v7, s10, v4
	v_cndmask_b32_e64 v4, v6, v4, s[0:1]
	v_cmp_ge_f32_e32 vcc, v3, v1
	v_cmp_ge_i32_e64 s[0:1], s17, v4
	s_and_b64 s[2:3], vcc, s[0:1]
	s_and_saveexec_b64 s[0:1], s[2:3]
	s_cbranch_execz .LBB2_6
; %bb.5:
	v_lshl_add_u32 v1, v4, 2, -4
	v_add_u32_e32 v4, s16, v1
	v_add_u32_e32 v1, s13, v1
	ds_write_b32 v1, v2
	ds_write_b32 v4, v3
.LBB2_6:
	s_or_b64 exec, exec, s[0:1]
	v_cmp_gt_u32_e32 vcc, s17, v0
	s_waitcnt lgkmcnt(0)
	s_barrier
	s_and_saveexec_b64 s[0:1], vcc
	s_cbranch_execz .LBB2_8
; %bb.7:
	v_lshlrev_b32_e32 v4, 2, v0
	v_add_u32_e32 v0, s7, v4
	ds_read_b32 v0, v0 offset:64
	v_mov_b32_e32 v5, s15
	s_load_dwordx2 s[8:9], s[4:5], 0x20
	s_waitcnt lgkmcnt(0)
	v_ashrrev_i32_e32 v1, 31, v0
	v_lshlrev_b64 v[2:3], 1, v[0:1]
	v_add_co_u32_e32 v2, vcc, s14, v2
	v_addc_co_u32_e32 v3, vcc, v5, v3, vcc
	global_load_ushort v1, v[2:3], off
	v_add_u32_e32 v2, s12, v4
	ds_read_b32 v2, v2 offset:64
	s_load_dwordx4 s[0:3], s[4:5], 0x10
	s_load_dword s7, s[4:5], 0x38
	s_ashr_i32 s4, s6, 31
	s_mul_i32 s5, s6, s9
	s_mul_hi_u32 s9, s6, s8
	s_mul_i32 s10, s4, s8
	s_add_i32 s5, s9, s5
	s_mul_i32 s4, s6, s8
	s_add_i32 s5, s5, s10
	s_lshl_b64 s[4:5], s[4:5], 2
	s_waitcnt lgkmcnt(0)
	s_add_u32 s0, s0, s4
	s_addc_u32 s1, s1, s5
	s_add_u32 s2, s2, s4
	s_addc_u32 s3, s3, s5
	s_waitcnt vmcnt(0)
	v_cvt_f32_f16_e32 v1, v1
	v_sub_f32_e32 v1, v2, v1
	s_nop 1
	v_mov_b32_dpp v2, v1 quad_perm:[1,0,3,2] row_mask:0xf bank_mask:0xf
	v_add_f32_e32 v2, v1, v2
	v_mul_f32_e32 v1, s7, v1
	s_nop 0
	v_mov_b32_dpp v3, v2 quad_perm:[2,3,0,1] row_mask:0xf bank_mask:0xf
	v_add_f32_e32 v2, v2, v3
	s_nop 1
	v_mov_b32_dpp v3, v2 row_half_mirror row_mask:0xf bank_mask:0xf
	v_add_f32_e32 v2, v2, v3
	v_rcp_f32_e32 v2, v2
	v_mul_f32_e32 v1, v1, v2
	global_store_dword v4, v1, s[0:1]
	global_store_dword v4, v0, s[2:3]
.LBB2_8:
	s_endpgm
	.section	.rodata,"a",@progbits
	.p2align	6, 0x0
	.amdhsa_kernel _ZN5aiter28grouped_topk_opt_sort_kernelIN3c104HalfEDv4_fLi8ELb1ELb1ELb0EEEvPT_PKS4_PfPimiiiif
		.amdhsa_group_segment_fixed_size 0
		.amdhsa_private_segment_fixed_size 0
		.amdhsa_kernarg_size 60
		.amdhsa_user_sgpr_count 6
		.amdhsa_user_sgpr_private_segment_buffer 1
		.amdhsa_user_sgpr_dispatch_ptr 0
		.amdhsa_user_sgpr_queue_ptr 0
		.amdhsa_user_sgpr_kernarg_segment_ptr 1
		.amdhsa_user_sgpr_dispatch_id 0
		.amdhsa_user_sgpr_flat_scratch_init 0
		.amdhsa_user_sgpr_kernarg_preload_length 0
		.amdhsa_user_sgpr_kernarg_preload_offset 0
		.amdhsa_user_sgpr_private_segment_size 0
		.amdhsa_uses_dynamic_stack 0
		.amdhsa_system_sgpr_private_segment_wavefront_offset 0
		.amdhsa_system_sgpr_workgroup_id_x 1
		.amdhsa_system_sgpr_workgroup_id_y 0
		.amdhsa_system_sgpr_workgroup_id_z 0
		.amdhsa_system_sgpr_workgroup_info 0
		.amdhsa_system_vgpr_workitem_id 0
		.amdhsa_next_free_vgpr 28
		.amdhsa_next_free_sgpr 20
		.amdhsa_accum_offset 28
		.amdhsa_reserve_vcc 1
		.amdhsa_reserve_flat_scratch 0
		.amdhsa_float_round_mode_32 0
		.amdhsa_float_round_mode_16_64 0
		.amdhsa_float_denorm_mode_32 3
		.amdhsa_float_denorm_mode_16_64 3
		.amdhsa_dx10_clamp 1
		.amdhsa_ieee_mode 1
		.amdhsa_fp16_overflow 0
		.amdhsa_tg_split 0
		.amdhsa_exception_fp_ieee_invalid_op 0
		.amdhsa_exception_fp_denorm_src 0
		.amdhsa_exception_fp_ieee_div_zero 0
		.amdhsa_exception_fp_ieee_overflow 0
		.amdhsa_exception_fp_ieee_underflow 0
		.amdhsa_exception_fp_ieee_inexact 0
		.amdhsa_exception_int_div_zero 0
	.end_amdhsa_kernel
	.section	.text._ZN5aiter28grouped_topk_opt_sort_kernelIN3c104HalfEDv4_fLi8ELb1ELb1ELb0EEEvPT_PKS4_PfPimiiiif,"axG",@progbits,_ZN5aiter28grouped_topk_opt_sort_kernelIN3c104HalfEDv4_fLi8ELb1ELb1ELb0EEEvPT_PKS4_PfPimiiiif,comdat
.Lfunc_end2:
	.size	_ZN5aiter28grouped_topk_opt_sort_kernelIN3c104HalfEDv4_fLi8ELb1ELb1ELb0EEEvPT_PKS4_PfPimiiiif, .Lfunc_end2-_ZN5aiter28grouped_topk_opt_sort_kernelIN3c104HalfEDv4_fLi8ELb1ELb1ELb0EEEvPT_PKS4_PfPimiiiif
                                        ; -- End function
	.section	.AMDGPU.csdata,"",@progbits
; Kernel info:
; codeLenInByte = 3144
; NumSgprs: 24
; NumVgprs: 28
; NumAgprs: 0
; TotalNumVgprs: 28
; ScratchSize: 0
; MemoryBound: 0
; FloatMode: 240
; IeeeMode: 1
; LDSByteSize: 0 bytes/workgroup (compile time only)
; SGPRBlocks: 2
; VGPRBlocks: 3
; NumSGPRsForWavesPerEU: 24
; NumVGPRsForWavesPerEU: 28
; AccumOffset: 28
; Occupancy: 8
; WaveLimiterHint : 0
; COMPUTE_PGM_RSRC2:SCRATCH_EN: 0
; COMPUTE_PGM_RSRC2:USER_SGPR: 6
; COMPUTE_PGM_RSRC2:TRAP_HANDLER: 0
; COMPUTE_PGM_RSRC2:TGID_X_EN: 1
; COMPUTE_PGM_RSRC2:TGID_Y_EN: 0
; COMPUTE_PGM_RSRC2:TGID_Z_EN: 0
; COMPUTE_PGM_RSRC2:TIDIG_COMP_CNT: 0
; COMPUTE_PGM_RSRC3_GFX90A:ACCUM_OFFSET: 6
; COMPUTE_PGM_RSRC3_GFX90A:TG_SPLIT: 0
	.section	.text._ZN5aiter28grouped_topk_opt_sort_kernelIN3c108BFloat16EDv4_fLi8ELb1ELb1ELb0EEEvPT_PKS4_PfPimiiiif,"axG",@progbits,_ZN5aiter28grouped_topk_opt_sort_kernelIN3c108BFloat16EDv4_fLi8ELb1ELb1ELb0EEEvPT_PKS4_PfPimiiiif,comdat
	.protected	_ZN5aiter28grouped_topk_opt_sort_kernelIN3c108BFloat16EDv4_fLi8ELb1ELb1ELb0EEEvPT_PKS4_PfPimiiiif ; -- Begin function _ZN5aiter28grouped_topk_opt_sort_kernelIN3c108BFloat16EDv4_fLi8ELb1ELb1ELb0EEEvPT_PKS4_PfPimiiiif
	.globl	_ZN5aiter28grouped_topk_opt_sort_kernelIN3c108BFloat16EDv4_fLi8ELb1ELb1ELb0EEEvPT_PKS4_PfPimiiiif
	.p2align	8
	.type	_ZN5aiter28grouped_topk_opt_sort_kernelIN3c108BFloat16EDv4_fLi8ELb1ELb1ELb0EEEvPT_PKS4_PfPimiiiif,@function
_ZN5aiter28grouped_topk_opt_sort_kernelIN3c108BFloat16EDv4_fLi8ELb1ELb1ELb0EEEvPT_PKS4_PfPimiiiif: ; @_ZN5aiter28grouped_topk_opt_sort_kernelIN3c108BFloat16EDv4_fLi8ELb1ELb1ELb0EEEvPT_PKS4_PfPimiiiif
; %bb.0:
	s_load_dwordx4 s[16:19], s[4:5], 0x28
	s_load_dwordx4 s[12:15], s[4:5], 0x0
	v_lshlrev_b32_e32 v15, 3, v0
	v_bfe_u32 v11, v0, 1, 1
	v_and_b32_e32 v10, 1, v0
	s_waitcnt lgkmcnt(0)
	s_lshl_b32 s1, s16, 2
	s_mul_i32 s0, s6, s16
	s_add_i32 s7, s1, 0
	s_ashr_i32 s1, s0, 31
	s_lshl_b64 s[0:1], s[0:1], 1
	s_add_u32 s0, s12, s0
	s_addc_u32 s1, s13, s1
	global_load_dwordx2 v[2:3], v15, s[14:15]
	global_load_dwordx2 v[4:5], v15, s[0:1]
	s_mov_b32 s0, 0x652b82fe
	s_mov_b32 s1, 0xbff71547
	v_mov_b32_e32 v1, 0xff800000
	v_mov_b32_e32 v7, 0x7f800000
	v_bfe_u32 v8, v0, 2, 1
	v_cmp_eq_u32_e32 vcc, v10, v11
	v_cndmask_b32_e32 v12, v1, v7, vcc
	v_cmp_eq_u32_e32 vcc, v11, v8
	s_mov_b32 s8, 0xc2fc0000
	v_cndmask_b32_e32 v13, v1, v7, vcc
	v_cmp_eq_u32_e32 vcc, v10, v8
	v_mov_b32_e32 v24, 0x42800000
	v_cndmask_b32_e32 v14, v1, v7, vcc
	v_mov_b32_e32 v25, 0x1f800000
	s_mov_b32 s10, 0xff800000
	v_mbcnt_lo_u32_b32 v6, -1, 0
	v_mbcnt_hi_u32_b32 v6, -1, v6
	v_and_b32_e32 v9, 64, v6
	v_and_or_b32 v15, v15, 56, v9
	v_lshlrev_b32_e32 v15, 2, v15
	v_and_b32_e32 v26, 4, v0
	s_waitcnt vmcnt(1)
	v_cvt_f32_u32_sdwa v17, v2 dst_sel:DWORD dst_unused:UNUSED_PAD src0_sel:WORD_1
	v_cvt_f32_u32_sdwa v16, v2 dst_sel:DWORD dst_unused:UNUSED_PAD src0_sel:WORD_0
	s_waitcnt vmcnt(0)
	v_and_b32_e32 v2, 0xffff, v4
	v_lshrrev_b32_e32 v4, 16, v4
	v_cvt_f32_u32_sdwa v19, v3 dst_sel:DWORD dst_unused:UNUSED_PAD src0_sel:WORD_1
	v_cvt_f32_u32_sdwa v18, v3 dst_sel:DWORD dst_unused:UNUSED_PAD src0_sel:WORD_0
	v_and_b32_e32 v20, 0xffff, v5
	v_lshrrev_b32_e32 v22, 16, v5
	v_cvt_f64_u32_e32 v[2:3], v2
	v_cvt_f64_u32_e32 v[4:5], v4
	v_mul_f64 v[2:3], v[2:3], s[0:1]
	v_mul_f64 v[4:5], v[4:5], s[0:1]
	v_cvt_f64_u32_e32 v[20:21], v20
	v_cvt_f64_u32_e32 v[22:23], v22
	v_cvt_f32_f64_e32 v2, v[2:3]
	v_cvt_f32_f64_e32 v3, v[4:5]
	v_mul_f64 v[20:21], v[20:21], s[0:1]
	v_mul_f64 v[22:23], v[22:23], s[0:1]
	v_cmp_gt_f32_e32 vcc, s8, v2
	v_cmp_gt_f32_e64 s[0:1], s8, v3
	v_cvt_f32_f64_e32 v4, v[20:21]
	v_cvt_f32_f64_e32 v5, v[22:23]
	v_cndmask_b32_e32 v20, 0, v24, vcc
	v_cndmask_b32_e64 v21, 0, v24, s[0:1]
	v_cmp_gt_f32_e64 s[2:3], s8, v4
	v_cmp_gt_f32_e64 s[8:9], s8, v5
	v_add_f32_e32 v2, v2, v20
	v_add_f32_e32 v3, v3, v21
	v_cndmask_b32_e64 v22, 0, v24, s[2:3]
	v_cndmask_b32_e64 v23, 0, v24, s[8:9]
	v_exp_f32_e32 v2, v2
	v_exp_f32_e32 v3, v3
	v_add_f32_e32 v4, v4, v22
	v_add_f32_e32 v5, v5, v23
	v_exp_f32_e32 v4, v4
	v_exp_f32_e32 v5, v5
	v_cndmask_b32_e32 v20, 1.0, v25, vcc
	v_cndmask_b32_e64 v21, 1.0, v25, s[0:1]
	v_fma_f32 v2, v2, v20, 1.0
	v_fma_f32 v3, v3, v21, 1.0
	v_cndmask_b32_e64 v22, 1.0, v25, s[2:3]
	v_cndmask_b32_e64 v23, 1.0, v25, s[8:9]
	v_rcp_f32_e32 v2, v2
	v_rcp_f32_e32 v3, v3
	v_fma_f32 v4, v4, v22, 1.0
	v_fma_f32 v5, v5, v23, 1.0
	v_rcp_f32_e32 v4, v4
	v_rcp_f32_e32 v5, v5
	v_pk_add_f32 v[2:3], v[2:3], v[16:17]
	v_cmp_o_f32_e32 vcc, v3, v3
	v_cndmask_b32_e32 v3, v1, v3, vcc
	v_pk_add_f32 v[4:5], v[4:5], v[18:19]
	v_cmp_o_f32_e32 vcc, v2, v2
	v_cndmask_b32_e32 v2, v1, v2, vcc
	v_cmp_o_f32_e32 vcc, v5, v5
	v_cndmask_b32_e32 v5, v1, v5, vcc
	v_cmp_o_f32_e32 vcc, v4, v4
	v_cndmask_b32_e32 v4, v1, v4, vcc
	v_med3_f32 v16, v3, v2, s10
	v_max_f32_e32 v17, v3, v2
	v_med3_f32 v16, v4, v17, v16
	v_max_f32_e32 v17, v4, v17
	;; [unrolled: 2-line block ×3, first 2 shown]
	v_cmp_eq_u32_e32 vcc, 0, v26
	v_mov_b32_dpp v19, v16 quad_perm:[1,0,3,2] row_mask:0xf bank_mask:0xf bound_ctrl:1
	v_max_f32_e32 v19, v19, v19
	v_mov_b32_dpp v18, v17 quad_perm:[1,0,3,2] row_mask:0xf bank_mask:0xf bound_ctrl:1
	v_max_f32_e32 v16, v19, v16
	v_med3_f32 v16, v18, v17, v16
	v_max_f32_e32 v20, v18, v18
	v_max_f32_e32 v19, v20, v17
	v_mov_b32_dpp v18, v16 quad_perm:[2,3,0,1] row_mask:0xf bank_mask:0xf bound_ctrl:1
	v_max_f32_e32 v18, v18, v18
	v_mov_b32_dpp v17, v19 quad_perm:[2,3,0,1] row_mask:0xf bank_mask:0xf bound_ctrl:1
	v_max_f32_e32 v16, v18, v16
	v_max_f32_e32 v20, v17, v17
	v_med3_f32 v16, v17, v19, v16
	v_max_f32_e32 v20, v20, v19
	s_nop 0
	v_mov_b32_dpp v19, v16 row_half_mirror row_mask:0xf bank_mask:0xf bound_ctrl:1
	v_mov_b32_dpp v18, v20 row_half_mirror row_mask:0xf bank_mask:0xf bound_ctrl:1
	v_max_f32_e32 v19, v19, v19
	v_max_f32_e32 v17, v18, v18
	;; [unrolled: 1-line block ×4, first 2 shown]
	v_med3_f32 v16, v18, v20, v16
	v_add_f32_e32 v16, v17, v16
	ds_bpermute_b32 v18, v15, v16
	v_cndmask_b32_e32 v16, v1, v7, vcc
	v_cmp_eq_u32_e32 vcc, 0, v11
	v_cndmask_b32_e32 v15, v1, v7, vcc
	v_cmp_eq_u32_e32 vcc, 0, v10
	s_waitcnt lgkmcnt(0)
	v_mov_b32_dpp v17, v18 quad_perm:[1,0,3,2] row_mask:0xf bank_mask:0xf bound_ctrl:1
	v_med3_f32 v17, v18, v17, v12
	v_lshl_add_u32 v20, v0, 4, 0
	ds_write_b128 v20, v[2:5]
	v_mov_b32_dpp v19, v17 quad_perm:[2,3,0,1] row_mask:0xf bank_mask:0xf bound_ctrl:1
	v_med3_f32 v17, v17, v19, v13
	s_nop 1
	v_mov_b32_dpp v19, v17 quad_perm:[1,0,3,2] row_mask:0xf bank_mask:0xf bound_ctrl:1
	v_med3_f32 v17, v17, v19, v14
	s_nop 1
	v_mov_b32_dpp v19, v17 row_shl:4 row_mask:0xf bank_mask:0x5 bound_ctrl:1
	s_nop 1
	v_mov_b32_dpp v19, v17 row_shr:4 row_mask:0xf bank_mask:0xa bound_ctrl:1
	v_med3_f32 v16, v17, v19, v16
	s_nop 1
	v_mov_b32_dpp v17, v16 quad_perm:[2,3,0,1] row_mask:0xf bank_mask:0xf bound_ctrl:1
	v_med3_f32 v17, v16, v17, v15
	v_cndmask_b32_e32 v16, v1, v7, vcc
	s_nop 0
	v_mov_b32_dpp v19, v17 quad_perm:[1,0,3,2] row_mask:0xf bank_mask:0xf bound_ctrl:1
	v_med3_f32 v19, v17, v19, v16
	v_lshlrev_b32_e32 v17, 2, v9
	ds_bpermute_b32 v19, v17, v19 offset:12
	s_waitcnt lgkmcnt(0)
	v_cmp_gt_f32_e32 vcc, v18, v19
	v_cndmask_b32_e64 v2, 0, 1, vcc
	s_nop 1
	v_mov_b32_dpp v2, v2 row_shr:1 row_mask:0xf bank_mask:0xf bound_ctrl:1
	v_addc_co_u32_e64 v3, s[0:1], 0, v2, vcc
	s_nop 1
	v_mov_b32_dpp v3, v3 row_shr:2 row_mask:0xf bank_mask:0xf bound_ctrl:1
	v_addc_co_u32_e32 v2, vcc, v3, v2, vcc
	v_bfe_i32 v3, v6, 3, 1
	s_nop 0
	v_add_u32_dpp v2, v2, v2 row_shr:4 row_mask:0xf bank_mask:0xf bound_ctrl:1
	v_cmp_eq_f32_e32 vcc, v18, v19
	s_nop 0
	v_add_u32_dpp v2, v2, v2 row_shr:8 row_mask:0xf bank_mask:0xf bound_ctrl:1
	s_nop 1
	v_and_b32_dpp v4, v2, v3 row_newbcast:7 row_mask:0xf bank_mask:0xf bound_ctrl:1
	v_sub_u32_e32 v2, v2, v4
	v_cndmask_b32_e64 v4, 0, 1, vcc
	v_readlane_b32 s2, v2, 7
	s_nop 0
	v_mov_b32_dpp v4, v4 row_shr:1 row_mask:0xf bank_mask:0xf bound_ctrl:1
	v_addc_co_u32_e64 v5, s[0:1], 0, v4, vcc
	s_nop 1
	v_mov_b32_dpp v5, v5 row_shr:2 row_mask:0xf bank_mask:0xf bound_ctrl:1
	v_addc_co_u32_e64 v4, s[0:1], v5, v4, vcc
	s_nop 1
	v_add_u32_dpp v4, v4, v4 row_shr:4 row_mask:0xf bank_mask:0xf bound_ctrl:1
	s_nop 1
	v_add_u32_dpp v4, v4, v4 row_shr:8 row_mask:0xf bank_mask:0xf bound_ctrl:1
	s_nop 1
	v_and_b32_dpp v3, v4, v3 row_newbcast:7 row_mask:0xf bank_mask:0xf bound_ctrl:1
	v_add_u32_e32 v4, s2, v4
	v_sub_u32_e32 v3, v4, v3
	v_cndmask_b32_e32 v2, v2, v3, vcc
	v_cmp_ge_f32_e32 vcc, v18, v19
	v_cmp_ge_i32_e64 s[0:1], s18, v2
	s_and_b64 s[0:1], vcc, s[0:1]
	v_cmp_gt_u32_e32 vcc, 8, v0
	s_and_b64 s[2:3], vcc, s[0:1]
	s_and_saveexec_b64 s[0:1], s[2:3]
	s_cbranch_execz .LBB3_2
; %bb.1:
	v_lshl_add_u32 v2, v2, 2, s7
	ds_write_b32 v2, v0 offset:28
.LBB3_2:
	s_or_b64 exec, exec, s[0:1]
	v_lshrrev_b32_e32 v2, 3, v0
	v_and_b32_e32 v2, 0x7c, v2
	v_add_u32_e32 v2, s7, v2
	s_waitcnt lgkmcnt(0)
	s_barrier
	ds_read_b32 v2, v2 offset:32
	v_add_u32_e32 v3, 64, v0
	v_and_b32_e32 v18, 31, v0
	v_lshrrev_b32_e32 v3, 3, v3
	v_and_b32_e32 v3, 0xfc, v3
	s_waitcnt lgkmcnt(0)
	v_lshl_or_b32 v4, v2, 5, v18
	v_add_u32_e32 v3, s7, v3
	v_lshl_add_u32 v2, v4, 2, 0
	ds_read_b32 v3, v3 offset:32
	ds_read_b32 v5, v2
	v_bfe_u32 v21, v0, 3, 1
	v_cmp_eq_u32_e32 vcc, v8, v21
	v_cndmask_b32_e32 v22, v1, v7, vcc
	v_cmp_eq_u32_e32 vcc, v11, v21
	s_waitcnt lgkmcnt(0)
	v_mov_b32_dpp v19, v5 quad_perm:[1,0,3,2] row_mask:0xf bank_mask:0xf bound_ctrl:1
	v_med3_f32 v19, v5, v19, v12
	v_cndmask_b32_e32 v23, v1, v7, vcc
	v_cmp_eq_u32_e32 vcc, v10, v21
	v_mov_b32_dpp v20, v19 quad_perm:[2,3,0,1] row_mask:0xf bank_mask:0xf bound_ctrl:1
	v_med3_f32 v19, v19, v20, v13
	v_cndmask_b32_e32 v24, v1, v7, vcc
	v_bfe_u32 v25, v0, 4, 1
	v_mov_b32_dpp v20, v19 quad_perm:[1,0,3,2] row_mask:0xf bank_mask:0xf bound_ctrl:1
	v_med3_f32 v19, v19, v20, v14
	v_cmp_eq_u32_e32 vcc, v21, v25
	v_cndmask_b32_e32 v26, v1, v7, vcc
	v_mov_b32_dpp v20, v19 row_shl:4 row_mask:0xf bank_mask:0x5 bound_ctrl:1
	v_lshl_or_b32 v2, v3, 5, v18
	v_lshl_add_u32 v3, v2, 2, 0
	v_mov_b32_dpp v20, v19 row_shr:4 row_mask:0xf bank_mask:0xa bound_ctrl:1
	v_med3_f32 v19, v19, v20, v22
	v_cmp_eq_u32_e32 vcc, v8, v25
	ds_read_b32 v3, v3
	v_mov_b32_dpp v20, v19 quad_perm:[2,3,0,1] row_mask:0xf bank_mask:0xf bound_ctrl:1
	v_med3_f32 v19, v19, v20, v23
	v_cndmask_b32_e32 v27, v1, v7, vcc
	v_cmp_eq_u32_e32 vcc, v11, v25
	v_mov_b32_dpp v20, v19 quad_perm:[1,0,3,2] row_mask:0xf bank_mask:0xf bound_ctrl:1
	v_med3_f32 v19, v19, v20, v24
	v_cndmask_b32_e32 v11, v1, v7, vcc
	v_cmp_eq_u32_e32 vcc, v10, v25
	v_mov_b32_dpp v20, v19 row_shl:8 row_mask:0xf bank_mask:0x3 bound_ctrl:1
	v_cndmask_b32_e32 v10, v1, v7, vcc
	v_cmp_gt_u32_e32 vcc, 32, v0
	v_mov_b32_dpp v20, v19 row_shr:8 row_mask:0xf bank_mask:0xc bound_ctrl:1
	v_med3_f32 v19, v19, v20, v26
	v_cmp_lt_u32_e64 s[2:3], 15, v6
	s_lshl_b32 s8, s17, 2
	v_mov_b32_dpp v20, v19 row_shl:4 row_mask:0xf bank_mask:0x5 bound_ctrl:1
	s_add_i32 s12, s7, s8
	s_add_i32 s13, s7, 64
	v_mov_b32_dpp v20, v19 row_shr:4 row_mask:0xf bank_mask:0xa bound_ctrl:1
	v_med3_f32 v19, v19, v20, v27
	s_add_i32 s16, s12, 64
	s_nop 0
	v_mov_b32_dpp v20, v19 quad_perm:[2,3,0,1] row_mask:0xf bank_mask:0xf bound_ctrl:1
	v_med3_f32 v19, v19, v20, v11
	s_nop 1
	v_mov_b32_dpp v20, v19 quad_perm:[1,0,3,2] row_mask:0xf bank_mask:0xf bound_ctrl:1
	v_med3_f32 v19, v19, v20, v10
	s_waitcnt lgkmcnt(0)
	v_mov_b32_dpp v20, v3 quad_perm:[1,0,3,2] row_mask:0xf bank_mask:0xf bound_ctrl:1
	v_med3_f32 v12, v3, v20, v12
	s_nop 1
	v_mov_b32_dpp v20, v12 quad_perm:[2,3,0,1] row_mask:0xf bank_mask:0xf bound_ctrl:1
	v_med3_f32 v12, v12, v20, v13
	s_nop 1
	;; [unrolled: 3-line block ×3, first 2 shown]
	v_mov_b32_dpp v13, v12 row_shl:4 row_mask:0xf bank_mask:0x5 bound_ctrl:1
	s_nop 1
	v_mov_b32_dpp v13, v12 row_shr:4 row_mask:0xf bank_mask:0xa bound_ctrl:1
	v_med3_f32 v12, v12, v13, v22
	s_nop 1
	v_mov_b32_dpp v13, v12 quad_perm:[2,3,0,1] row_mask:0xf bank_mask:0xf bound_ctrl:1
	v_med3_f32 v12, v12, v13, v23
	s_nop 1
	v_mov_b32_dpp v13, v12 quad_perm:[1,0,3,2] row_mask:0xf bank_mask:0xf bound_ctrl:1
	v_med3_f32 v12, v12, v13, v24
	s_nop 1
	v_mov_b32_dpp v13, v12 row_shl:8 row_mask:0xf bank_mask:0x3 bound_ctrl:1
	s_nop 1
	v_mov_b32_dpp v13, v12 row_shr:8 row_mask:0xf bank_mask:0xc bound_ctrl:1
	v_med3_f32 v12, v12, v13, v26
	s_nop 1
	v_mov_b32_dpp v13, v12 row_shl:4 row_mask:0xf bank_mask:0x5 bound_ctrl:1
	s_nop 1
	v_mov_b32_dpp v13, v12 row_shr:4 row_mask:0xf bank_mask:0xa bound_ctrl:1
	v_med3_f32 v12, v12, v13, v27
	s_nop 1
	v_mov_b32_dpp v13, v12 quad_perm:[2,3,0,1] row_mask:0xf bank_mask:0xf bound_ctrl:1
	v_med3_f32 v12, v12, v13, v11
	s_nop 1
	v_mov_b32_dpp v13, v12 quad_perm:[1,0,3,2] row_mask:0xf bank_mask:0xf bound_ctrl:1
	v_med3_f32 v12, v12, v13, v10
	v_lshlrev_b32_e32 v13, 1, v0
	v_bfi_b32 v14, 48, v13, v18
	v_or_b32_e32 v14, v9, v14
	v_lshlrev_b32_e32 v14, 2, v14
	ds_bpermute_b32 v19, v14, v19
	ds_bpermute_b32 v12, v14, v12
	v_xor_b32_e32 v13, v18, v13
	v_and_b32_e32 v13, 48, v13
	s_waitcnt lgkmcnt(0)
	v_cndmask_b32_e32 v12, v12, v19, vcc
	s_nop 1
	v_mov_b32_dpp v14, v12 row_shl:8 row_mask:0xf bank_mask:0x3 bound_ctrl:1
	v_cmp_eq_u32_e32 vcc, 0, v21
	s_nop 0
	v_mov_b32_dpp v14, v12 row_shr:8 row_mask:0xf bank_mask:0xc bound_ctrl:1
	v_med3_f32 v12, v12, v14, v26
	s_nop 1
	v_mov_b32_dpp v14, v12 row_shl:4 row_mask:0xf bank_mask:0x5 bound_ctrl:1
	s_nop 1
	v_mov_b32_dpp v14, v12 row_shr:4 row_mask:0xf bank_mask:0xa bound_ctrl:1
	v_med3_f32 v12, v12, v14, v27
	s_nop 1
	v_mov_b32_dpp v14, v12 quad_perm:[2,3,0,1] row_mask:0xf bank_mask:0xf bound_ctrl:1
	v_med3_f32 v12, v12, v14, v11
	s_nop 1
	v_mov_b32_dpp v14, v12 quad_perm:[1,0,3,2] row_mask:0xf bank_mask:0xf bound_ctrl:1
	v_med3_f32 v12, v12, v14, v10
	v_and_b32_e32 v14, 63, v0
	v_xor_b32_e32 v13, v13, v14
	v_or_b32_e32 v9, v9, v13
	v_lshlrev_b32_e32 v9, 2, v9
	ds_bpermute_b32 v12, v9, v12
	s_waitcnt lgkmcnt(0)
	s_nop 0
	v_mov_b32_dpp v13, v12 row_shl:8 row_mask:0xf bank_mask:0x3 bound_ctrl:1
	s_nop 1
	v_mov_b32_dpp v13, v12 row_shr:8 row_mask:0xf bank_mask:0xc bound_ctrl:1
	v_med3_f32 v12, v12, v13, v26
	s_nop 1
	v_mov_b32_dpp v13, v12 row_shl:4 row_mask:0xf bank_mask:0x5 bound_ctrl:1
	s_nop 1
	v_mov_b32_dpp v13, v12 row_shr:4 row_mask:0xf bank_mask:0xa bound_ctrl:1
	v_med3_f32 v12, v12, v13, v27
	s_nop 1
	v_mov_b32_dpp v13, v12 quad_perm:[2,3,0,1] row_mask:0xf bank_mask:0xf bound_ctrl:1
	v_med3_f32 v11, v12, v13, v11
	s_nop 1
	v_mov_b32_dpp v12, v11 quad_perm:[1,0,3,2] row_mask:0xf bank_mask:0xf bound_ctrl:1
	v_med3_f32 v10, v11, v12, v10
	ds_bpermute_b32 v9, v9, v10
	v_cndmask_b32_e32 v11, v1, v7, vcc
	v_cmp_eq_u32_e32 vcc, 0, v8
	v_cndmask_b32_e32 v1, v1, v7, vcc
	s_waitcnt lgkmcnt(0)
	v_mov_b32_dpp v10, v9 row_shl:8 row_mask:0xf bank_mask:0x3 bound_ctrl:1
	s_nop 1
	v_mov_b32_dpp v10, v9 row_shr:8 row_mask:0xf bank_mask:0xc bound_ctrl:1
	v_med3_f32 v9, v9, v10, v11
	s_nop 1
	v_mov_b32_dpp v10, v9 row_shl:4 row_mask:0xf bank_mask:0x5 bound_ctrl:1
	s_nop 1
	v_mov_b32_dpp v10, v9 row_shr:4 row_mask:0xf bank_mask:0xa bound_ctrl:1
	v_med3_f32 v1, v9, v10, v1
	s_nop 1
	v_mov_b32_dpp v7, v1 quad_perm:[2,3,0,1] row_mask:0xf bank_mask:0xf bound_ctrl:1
	v_med3_f32 v1, v1, v7, v15
	s_nop 1
	v_mov_b32_dpp v7, v1 quad_perm:[1,0,3,2] row_mask:0xf bank_mask:0xf bound_ctrl:1
	v_med3_f32 v1, v1, v7, v16
	ds_bpermute_b32 v1, v17, v1 offset:28
	v_lshlrev_b32_e32 v7, 2, v6
	v_and_b32_e32 v7, 0xc0, v7
	v_add_u32_e32 v8, -4, v7
	v_add_u32_e32 v11, 0xffffffbc, v7
	s_waitcnt lgkmcnt(0)
	v_cmp_gt_f32_e32 vcc, v5, v1
	v_cndmask_b32_e64 v9, 0, 1, vcc
	v_cmp_eq_f32_e64 s[8:9], v5, v1
	s_nop 0
	v_mov_b32_dpp v9, v9 row_shr:1 row_mask:0xf bank_mask:0xf bound_ctrl:1
	v_addc_co_u32_e64 v10, s[0:1], 0, v9, vcc
	s_nop 1
	v_mov_b32_dpp v10, v10 row_shr:2 row_mask:0xf bank_mask:0xf bound_ctrl:1
	v_addc_co_u32_e32 v9, vcc, v10, v9, vcc
	v_cmp_gt_f32_e32 vcc, v3, v1
	s_nop 0
	v_add_u32_dpp v9, v9, v9 row_shr:4 row_mask:0xf bank_mask:0xf bound_ctrl:1
	s_nop 1
	v_add_u32_dpp v9, v9, v9 row_shr:8 row_mask:0xf bank_mask:0xf bound_ctrl:1
	ds_bpermute_b32 v10, v8, v9
	s_waitcnt lgkmcnt(0)
	v_cndmask_b32_e64 v7, 0, v10, s[2:3]
	v_cndmask_b32_e64 v10, 0, 1, vcc
	v_add_u32_e32 v7, v7, v9
	ds_bpermute_b32 v9, v11, v7
	v_mov_b32_dpp v10, v10 row_shr:1 row_mask:0xf bank_mask:0xf bound_ctrl:1
	v_addc_co_u32_e64 v12, s[0:1], 0, v10, vcc
	s_nop 1
	v_mov_b32_dpp v12, v12 row_shr:2 row_mask:0xf bank_mask:0xf bound_ctrl:1
	v_addc_co_u32_e32 v10, vcc, v12, v10, vcc
	v_cmp_lt_u32_e32 vcc, 31, v6
	s_nop 0
	v_add_u32_dpp v10, v10, v10 row_shr:4 row_mask:0xf bank_mask:0xf bound_ctrl:1
	s_waitcnt lgkmcnt(0)
	v_cndmask_b32_e32 v6, 0, v9, vcc
	v_add_u32_e32 v14, v7, v6
	v_add_u32_dpp v10, v10, v10 row_shr:8 row_mask:0xf bank_mask:0xf bound_ctrl:1
	ds_bpermute_b32 v12, v8, v10
	s_waitcnt lgkmcnt(0)
	v_cndmask_b32_e64 v9, 0, v12, s[2:3]
	v_cndmask_b32_e64 v12, 0, 1, s[8:9]
	v_add_u32_e32 v9, v9, v10
	ds_bpermute_b32 v10, v11, v9
	v_mov_b32_dpp v12, v12 row_shr:1 row_mask:0xf bank_mask:0xf bound_ctrl:1
	v_addc_co_u32_e64 v13, s[0:1], 0, v12, s[8:9]
	s_waitcnt lgkmcnt(0)
	v_cndmask_b32_e32 v6, 0, v10, vcc
	v_mov_b32_dpp v13, v13 row_shr:2 row_mask:0xf bank_mask:0xf bound_ctrl:1
	v_addc_co_u32_e64 v12, s[0:1], v13, v12, s[8:9]
	v_readlane_b32 s0, v14, 63
	s_nop 0
	v_add_u32_dpp v12, v12, v12 row_shr:4 row_mask:0xf bank_mask:0xf bound_ctrl:1
	v_add3_u32 v6, v9, s0, v6
	v_cmp_eq_f32_e64 s[0:1], v3, v1
	v_add_u32_dpp v12, v12, v12 row_shr:8 row_mask:0xf bank_mask:0xf bound_ctrl:1
	ds_bpermute_b32 v13, v8, v12
	v_cndmask_b32_e64 v10, 0, 1, s[0:1]
	s_waitcnt lgkmcnt(0)
	v_cndmask_b32_e64 v7, 0, v13, s[2:3]
	v_mov_b32_dpp v10, v10 row_shr:1 row_mask:0xf bank_mask:0xf bound_ctrl:1
	v_add_u32_e32 v7, v7, v12
	v_addc_co_u32_e64 v12, s[10:11], 0, v10, s[0:1]
	ds_bpermute_b32 v9, v11, v7
	s_nop 0
	v_mov_b32_dpp v12, v12 row_shr:2 row_mask:0xf bank_mask:0xf bound_ctrl:1
	v_addc_co_u32_e64 v10, s[10:11], v12, v10, s[0:1]
	v_readlane_b32 s10, v6, 63
	s_nop 0
	v_add_u32_dpp v10, v10, v10 row_shr:4 row_mask:0xf bank_mask:0xf bound_ctrl:1
	s_waitcnt lgkmcnt(0)
	v_cndmask_b32_e32 v9, 0, v9, vcc
	v_add3_u32 v9, v7, s10, v9
	v_add_u32_dpp v10, v10, v10 row_shr:8 row_mask:0xf bank_mask:0xf bound_ctrl:1
	ds_bpermute_b32 v8, v8, v10
	v_readlane_b32 s10, v9, 63
	v_cndmask_b32_e64 v9, v14, v9, s[8:9]
	v_cmp_ge_i32_e64 s[8:9], s17, v9
	s_waitcnt lgkmcnt(0)
	v_cndmask_b32_e64 v7, 0, v8, s[2:3]
	v_add_u32_e32 v7, v7, v10
	ds_bpermute_b32 v8, v11, v7
	v_cmp_ge_f32_e64 s[2:3], v5, v1
	s_and_b64 s[8:9], s[2:3], s[8:9]
	s_and_saveexec_b64 s[2:3], s[8:9]
	s_cbranch_execz .LBB3_4
; %bb.3:
	v_lshl_add_u32 v9, v9, 2, -4
	v_add_u32_e32 v10, s16, v9
	v_add_u32_e32 v9, s13, v9
	ds_write_b32 v9, v4
	ds_write_b32 v10, v5
.LBB3_4:
	s_or_b64 exec, exec, s[2:3]
	s_waitcnt lgkmcnt(0)
	v_cndmask_b32_e32 v4, 0, v8, vcc
	v_add3_u32 v4, v7, s10, v4
	v_cndmask_b32_e64 v4, v6, v4, s[0:1]
	v_cmp_ge_f32_e32 vcc, v3, v1
	v_cmp_ge_i32_e64 s[0:1], s17, v4
	s_and_b64 s[2:3], vcc, s[0:1]
	s_and_saveexec_b64 s[0:1], s[2:3]
	s_cbranch_execz .LBB3_6
; %bb.5:
	v_lshl_add_u32 v1, v4, 2, -4
	v_add_u32_e32 v4, s16, v1
	v_add_u32_e32 v1, s13, v1
	ds_write_b32 v1, v2
	ds_write_b32 v4, v3
.LBB3_6:
	s_or_b64 exec, exec, s[0:1]
	v_cmp_gt_u32_e32 vcc, s17, v0
	s_waitcnt lgkmcnt(0)
	s_barrier
	s_and_saveexec_b64 s[0:1], vcc
	s_cbranch_execz .LBB3_8
; %bb.7:
	v_lshlrev_b32_e32 v4, 2, v0
	v_add_u32_e32 v0, s7, v4
	ds_read_b32 v0, v0 offset:64
	v_mov_b32_e32 v5, s15
	s_load_dwordx2 s[8:9], s[4:5], 0x20
	s_waitcnt lgkmcnt(0)
	v_ashrrev_i32_e32 v1, 31, v0
	v_lshlrev_b64 v[2:3], 1, v[0:1]
	v_add_co_u32_e32 v2, vcc, s14, v2
	v_addc_co_u32_e32 v3, vcc, v5, v3, vcc
	global_load_ushort v1, v[2:3], off
	v_add_u32_e32 v2, s12, v4
	ds_read_b32 v2, v2 offset:64
	s_load_dwordx4 s[0:3], s[4:5], 0x10
	s_load_dword s7, s[4:5], 0x38
	s_ashr_i32 s4, s6, 31
	s_mul_i32 s5, s6, s9
	s_mul_hi_u32 s9, s6, s8
	s_mul_i32 s10, s4, s8
	s_add_i32 s5, s9, s5
	s_mul_i32 s4, s6, s8
	s_add_i32 s5, s5, s10
	s_lshl_b64 s[4:5], s[4:5], 2
	s_waitcnt lgkmcnt(0)
	s_add_u32 s0, s0, s4
	s_addc_u32 s1, s1, s5
	s_add_u32 s2, s2, s4
	s_addc_u32 s3, s3, s5
	s_waitcnt vmcnt(0)
	v_lshrrev_b16_e32 v3, 8, v1
	v_and_b32_e32 v1, 0xff, v1
	v_lshlrev_b32_e32 v1, 16, v1
	v_lshl_or_b32 v1, v3, 24, v1
	v_sub_f32_e32 v1, v2, v1
	s_nop 1
	v_mov_b32_dpp v2, v1 quad_perm:[1,0,3,2] row_mask:0xf bank_mask:0xf
	v_add_f32_e32 v2, v1, v2
	v_mul_f32_e32 v1, s7, v1
	s_nop 0
	v_mov_b32_dpp v3, v2 quad_perm:[2,3,0,1] row_mask:0xf bank_mask:0xf
	v_add_f32_e32 v2, v2, v3
	s_nop 1
	v_mov_b32_dpp v3, v2 row_half_mirror row_mask:0xf bank_mask:0xf
	v_add_f32_e32 v2, v2, v3
	v_rcp_f32_e32 v2, v2
	v_mul_f32_e32 v1, v1, v2
	global_store_dword v4, v1, s[0:1]
	global_store_dword v4, v0, s[2:3]
.LBB3_8:
	s_endpgm
	.section	.rodata,"a",@progbits
	.p2align	6, 0x0
	.amdhsa_kernel _ZN5aiter28grouped_topk_opt_sort_kernelIN3c108BFloat16EDv4_fLi8ELb1ELb1ELb0EEEvPT_PKS4_PfPimiiiif
		.amdhsa_group_segment_fixed_size 0
		.amdhsa_private_segment_fixed_size 0
		.amdhsa_kernarg_size 60
		.amdhsa_user_sgpr_count 6
		.amdhsa_user_sgpr_private_segment_buffer 1
		.amdhsa_user_sgpr_dispatch_ptr 0
		.amdhsa_user_sgpr_queue_ptr 0
		.amdhsa_user_sgpr_kernarg_segment_ptr 1
		.amdhsa_user_sgpr_dispatch_id 0
		.amdhsa_user_sgpr_flat_scratch_init 0
		.amdhsa_user_sgpr_kernarg_preload_length 0
		.amdhsa_user_sgpr_kernarg_preload_offset 0
		.amdhsa_user_sgpr_private_segment_size 0
		.amdhsa_uses_dynamic_stack 0
		.amdhsa_system_sgpr_private_segment_wavefront_offset 0
		.amdhsa_system_sgpr_workgroup_id_x 1
		.amdhsa_system_sgpr_workgroup_id_y 0
		.amdhsa_system_sgpr_workgroup_id_z 0
		.amdhsa_system_sgpr_workgroup_info 0
		.amdhsa_system_vgpr_workitem_id 0
		.amdhsa_next_free_vgpr 28
		.amdhsa_next_free_sgpr 20
		.amdhsa_accum_offset 28
		.amdhsa_reserve_vcc 1
		.amdhsa_reserve_flat_scratch 0
		.amdhsa_float_round_mode_32 0
		.amdhsa_float_round_mode_16_64 0
		.amdhsa_float_denorm_mode_32 3
		.amdhsa_float_denorm_mode_16_64 3
		.amdhsa_dx10_clamp 1
		.amdhsa_ieee_mode 1
		.amdhsa_fp16_overflow 0
		.amdhsa_tg_split 0
		.amdhsa_exception_fp_ieee_invalid_op 0
		.amdhsa_exception_fp_denorm_src 0
		.amdhsa_exception_fp_ieee_div_zero 0
		.amdhsa_exception_fp_ieee_overflow 0
		.amdhsa_exception_fp_ieee_underflow 0
		.amdhsa_exception_fp_ieee_inexact 0
		.amdhsa_exception_int_div_zero 0
	.end_amdhsa_kernel
	.section	.text._ZN5aiter28grouped_topk_opt_sort_kernelIN3c108BFloat16EDv4_fLi8ELb1ELb1ELb0EEEvPT_PKS4_PfPimiiiif,"axG",@progbits,_ZN5aiter28grouped_topk_opt_sort_kernelIN3c108BFloat16EDv4_fLi8ELb1ELb1ELb0EEEvPT_PKS4_PfPimiiiif,comdat
.Lfunc_end3:
	.size	_ZN5aiter28grouped_topk_opt_sort_kernelIN3c108BFloat16EDv4_fLi8ELb1ELb1ELb0EEEvPT_PKS4_PfPimiiiif, .Lfunc_end3-_ZN5aiter28grouped_topk_opt_sort_kernelIN3c108BFloat16EDv4_fLi8ELb1ELb1ELb0EEEvPT_PKS4_PfPimiiiif
                                        ; -- End function
	.section	.AMDGPU.csdata,"",@progbits
; Kernel info:
; codeLenInByte = 3168
; NumSgprs: 24
; NumVgprs: 28
; NumAgprs: 0
; TotalNumVgprs: 28
; ScratchSize: 0
; MemoryBound: 0
; FloatMode: 240
; IeeeMode: 1
; LDSByteSize: 0 bytes/workgroup (compile time only)
; SGPRBlocks: 2
; VGPRBlocks: 3
; NumSGPRsForWavesPerEU: 24
; NumVGPRsForWavesPerEU: 28
; AccumOffset: 28
; Occupancy: 8
; WaveLimiterHint : 0
; COMPUTE_PGM_RSRC2:SCRATCH_EN: 0
; COMPUTE_PGM_RSRC2:USER_SGPR: 6
; COMPUTE_PGM_RSRC2:TRAP_HANDLER: 0
; COMPUTE_PGM_RSRC2:TGID_X_EN: 1
; COMPUTE_PGM_RSRC2:TGID_Y_EN: 0
; COMPUTE_PGM_RSRC2:TGID_Z_EN: 0
; COMPUTE_PGM_RSRC2:TIDIG_COMP_CNT: 0
; COMPUTE_PGM_RSRC3_GFX90A:ACCUM_OFFSET: 6
; COMPUTE_PGM_RSRC3_GFX90A:TG_SPLIT: 0
	.section	.text._ZN5aiter19grouped_topk_kernelIfDv4_fLi8ELb1ELb1ELb0EEEvPT_PKS2_PfPimiiiif,"axG",@progbits,_ZN5aiter19grouped_topk_kernelIfDv4_fLi8ELb1ELb1ELb0EEEvPT_PKS2_PfPimiiiif,comdat
	.protected	_ZN5aiter19grouped_topk_kernelIfDv4_fLi8ELb1ELb1ELb0EEEvPT_PKS2_PfPimiiiif ; -- Begin function _ZN5aiter19grouped_topk_kernelIfDv4_fLi8ELb1ELb1ELb0EEEvPT_PKS2_PfPimiiiif
	.globl	_ZN5aiter19grouped_topk_kernelIfDv4_fLi8ELb1ELb1ELb0EEEvPT_PKS2_PfPimiiiif
	.p2align	8
	.type	_ZN5aiter19grouped_topk_kernelIfDv4_fLi8ELb1ELb1ELb0EEEvPT_PKS2_PfPimiiiif,@function
_ZN5aiter19grouped_topk_kernelIfDv4_fLi8ELb1ELb1ELb0EEEvPT_PKS2_PfPimiiiif: ; @_ZN5aiter19grouped_topk_kernelIfDv4_fLi8ELb1ELb1ELb0EEEvPT_PKS2_PfPimiiiif
; %bb.0:
	s_load_dwordx4 s[12:15], s[4:5], 0x28
	s_load_dwordx4 s[16:19], s[4:5], 0x8
	s_load_dwordx2 s[20:21], s[4:5], 0x18
	s_waitcnt lgkmcnt(0)
	s_ashr_i32 s26, s12, 31
	s_lshr_b32 s0, s26, 30
	s_add_i32 s0, s12, s0
	s_ashr_i32 s7, s0, 2
	v_cmp_gt_i32_e64 s[0:1], s7, v0
	s_and_saveexec_b64 s[22:23], s[0:1]
	s_cbranch_execz .LBB4_3
; %bb.1:
	s_load_dwordx2 s[2:3], s[4:5], 0x0
	s_load_dword s10, s[4:5], 0x4c
	s_mul_i32 s8, s6, s12
	s_ashr_i32 s9, s8, 31
	s_lshl_b64 s[8:9], s[8:9], 2
	s_waitcnt lgkmcnt(0)
	s_add_u32 s15, s2, s8
	s_addc_u32 s2, s3, s9
	s_and_b32 s27, s10, 0xffff
	s_mov_b32 s3, 0
	v_lshlrev_b32_e32 v2, 4, v0
	v_mov_b32_e32 v1, 0
	s_lshl_b32 s28, s27, 4
	v_add_u32_e32 v3, 0, v2
	s_mov_b64 s[24:25], 0
	v_mov_b32_e32 v8, s2
	v_mov_b32_e32 v9, s17
	s_mov_b32 s29, 0xbfb8aa3b
	s_mov_b32 s30, 0x42ce8ed0
	;; [unrolled: 1-line block ×3, first 2 shown]
	v_mov_b32_e32 v10, 0x7f800000
	v_mov_b32_e32 v11, s3
	;; [unrolled: 1-line block ×3, first 2 shown]
.LBB4_2:                                ; =>This Inner Loop Header: Depth=1
	v_add_co_u32_e32 v4, vcc, s15, v2
	v_addc_co_u32_e32 v5, vcc, v8, v1, vcc
	v_add_co_u32_e32 v6, vcc, s16, v2
	v_addc_co_u32_e32 v7, vcc, v9, v1, vcc
	global_load_dwordx4 v[14:17], v[4:5], off
	global_load_dwordx4 v[18:21], v[6:7], off
	v_add_co_u32_e32 v2, vcc, s28, v2
	v_add_u32_e32 v12, s27, v12
	v_addc_co_u32_e32 v1, vcc, v1, v11, vcc
	v_cmp_le_i32_e32 vcc, s7, v12
	s_or_b64 s[24:25], vcc, s[24:25]
	s_waitcnt vmcnt(1)
	v_mul_f32_e32 v4, 0xbfb8aa3b, v15
	v_mul_f32_e32 v5, 0xbfb8aa3b, v14
	v_fma_f32 v13, v15, s29, -v4
	v_rndne_f32_e32 v22, v4
	v_fma_f32 v23, v14, s29, -v5
	v_rndne_f32_e32 v24, v5
	v_mul_f32_e32 v6, 0xbfb8aa3b, v17
	v_mul_f32_e32 v7, 0xbfb8aa3b, v16
	v_fmac_f32_e32 v13, 0xb2a5705f, v15
	v_sub_f32_e32 v4, v4, v22
	v_fmac_f32_e32 v23, 0xb2a5705f, v14
	v_sub_f32_e32 v5, v5, v24
	v_fma_f32 v25, v17, s29, -v6
	v_rndne_f32_e32 v26, v6
	v_fma_f32 v27, v16, s29, -v7
	v_rndne_f32_e32 v28, v7
	v_add_f32_e32 v4, v4, v13
	v_add_f32_e32 v5, v5, v23
	v_cvt_i32_f32_e32 v22, v22
	v_cvt_i32_f32_e32 v24, v24
	v_fmac_f32_e32 v25, 0xb2a5705f, v17
	v_sub_f32_e32 v6, v6, v26
	v_fmac_f32_e32 v27, 0xb2a5705f, v16
	v_sub_f32_e32 v7, v7, v28
	v_exp_f32_e32 v4, v4
	v_exp_f32_e32 v5, v5
	v_add_f32_e32 v6, v6, v25
	v_add_f32_e32 v7, v7, v27
	v_cvt_i32_f32_e32 v26, v26
	v_cvt_i32_f32_e32 v28, v28
	v_exp_f32_e32 v6, v6
	v_exp_f32_e32 v7, v7
	v_ldexp_f32 v4, v4, v22
	v_ldexp_f32 v5, v5, v24
	v_cmp_nlt_f32_e32 vcc, s30, v14
	v_cmp_nlt_f32_e64 s[10:11], s30, v15
	v_cndmask_b32_e64 v4, 0, v4, s[10:11]
	v_cndmask_b32_e32 v13, 0, v5, vcc
	v_cmp_ngt_f32_e32 vcc, s31, v14
	v_cmp_ngt_f32_e64 s[10:11], s31, v15
	v_ldexp_f32 v6, v6, v26
	v_cmp_nlt_f32_e64 s[2:3], s30, v17
	v_ldexp_f32 v7, v7, v28
	v_cmp_nlt_f32_e64 s[8:9], s30, v16
	v_cndmask_b32_e64 v5, v10, v4, s[10:11]
	v_cndmask_b32_e32 v4, v10, v13, vcc
	v_cndmask_b32_e64 v6, 0, v6, s[2:3]
	v_cmp_ngt_f32_e64 s[2:3], s31, v17
	v_cndmask_b32_e64 v14, 0, v7, s[8:9]
	v_cmp_ngt_f32_e64 s[8:9], s31, v16
	v_pk_add_f32 v[4:5], v[4:5], 1.0 op_sel_hi:[1,0]
	v_cndmask_b32_e64 v7, v10, v6, s[2:3]
	v_cndmask_b32_e64 v6, v10, v14, s[8:9]
	v_div_scale_f32 v13, s[2:3], v5, v5, 1.0
	v_pk_add_f32 v[6:7], v[6:7], 1.0 op_sel_hi:[1,0]
	v_div_scale_f32 v15, s[2:3], v4, v4, 1.0
	v_rcp_f32_e32 v25, v13
	v_div_scale_f32 v17, s[8:9], v7, v7, 1.0
	v_rcp_f32_e32 v26, v15
	;; [unrolled: 2-line block ×3, first 2 shown]
	v_rcp_f32_e32 v28, v23
	v_fma_f32 v29, -v13, v25, 1.0
	v_div_scale_f32 v14, vcc, 1.0, v5, 1.0
	v_fma_f32 v30, -v15, v26, 1.0
	v_fmac_f32_e32 v25, v29, v25
	v_div_scale_f32 v16, s[2:3], 1.0, v4, 1.0
	v_fma_f32 v31, -v17, v27, 1.0
	v_fmac_f32_e32 v26, v30, v26
	v_mul_f32_e32 v29, v14, v25
	v_div_scale_f32 v22, s[8:9], 1.0, v7, 1.0
	v_fma_f32 v32, -v23, v28, 1.0
	v_fmac_f32_e32 v27, v31, v27
	v_mul_f32_e32 v30, v16, v26
	v_fma_f32 v33, -v13, v29, v14
	v_div_scale_f32 v24, s[10:11], 1.0, v6, 1.0
	v_fmac_f32_e32 v28, v32, v28
	v_mul_f32_e32 v31, v22, v27
	v_fma_f32 v34, -v15, v30, v16
	v_fmac_f32_e32 v29, v33, v25
	v_mul_f32_e32 v32, v24, v28
	v_fma_f32 v35, -v17, v31, v22
	v_fmac_f32_e32 v30, v34, v26
	v_fma_f32 v13, -v13, v29, v14
	v_fma_f32 v36, -v23, v32, v24
	v_fmac_f32_e32 v31, v35, v27
	v_fma_f32 v14, -v15, v30, v16
	v_div_fmas_f32 v13, v13, v25, v29
	s_mov_b64 vcc, s[2:3]
	v_fmac_f32_e32 v32, v36, v28
	v_fma_f32 v15, -v17, v31, v22
	v_div_fixup_f32 v5, v13, v5, 1.0
	v_div_fmas_f32 v13, v14, v26, v30
	s_mov_b64 vcc, s[8:9]
	v_fma_f32 v16, -v23, v32, v24
	v_div_fixup_f32 v4, v13, v4, 1.0
	v_div_fmas_f32 v13, v15, v27, v31
	s_mov_b64 vcc, s[10:11]
	v_div_fixup_f32 v7, v13, v7, 1.0
	v_div_fmas_f32 v13, v16, v28, v32
	v_div_fixup_f32 v6, v13, v6, 1.0
	s_waitcnt vmcnt(0)
	v_pk_add_f32 v[4:5], v[18:19], v[4:5]
	v_pk_add_f32 v[6:7], v[20:21], v[6:7]
	ds_write_b128 v3, v[4:7]
	v_add_u32_e32 v3, s28, v3
	s_andn2_b64 exec, exec, s[24:25]
	s_cbranch_execnz .LBB4_2
.LBB4_3:
	s_or_b64 exec, exec, s[22:23]
	s_lshr_b32 s2, s26, 29
	s_add_i32 s2, s12, s2
	s_ashr_i32 s28, s2, 3
	s_lshl_b32 s2, s12, 2
	s_add_i32 s15, s2, 0
	v_cmp_gt_u32_e32 vcc, 64, v0
	s_waitcnt lgkmcnt(0)
	s_barrier
	s_and_saveexec_b64 s[10:11], vcc
	s_cbranch_execz .LBB4_12
; %bb.4:
	s_load_dword s8, s[4:5], 0x4c
	v_lshrrev_b32_e32 v2, 3, v0
	s_lshr_b32 s2, s26, 27
	v_and_b32_e32 v1, 7, v0
	s_add_i32 s2, s12, s2
	s_waitcnt lgkmcnt(0)
	s_bfe_u32 s29, s8, 0xd0003
	v_mul_lo_u32 v3, s28, v2
	s_ashr_i32 s12, s2, 5
	v_lshlrev_b32_e32 v3, 2, v3
	v_lshlrev_b32_e32 v4, 4, v1
	s_mul_i32 s8, s28, s29
	v_cmp_gt_i32_e32 vcc, s12, v1
	v_cmp_eq_u32_e64 s[2:3], 0, v1
	v_add3_u32 v3, v3, v4, 0
	s_lshl_b32 s30, s8, 2
	s_mov_b64 s[22:23], 0
	s_branch .LBB4_6
.LBB4_5:                                ;   in Loop: Header=BB4_6 Depth=1
	s_or_b64 exec, exec, s[24:25]
	v_add_u32_e32 v2, s29, v2
	v_cmp_lt_u32_e64 s[8:9], 7, v2
	s_or_b64 s[22:23], s[8:9], s[22:23]
	v_add_u32_e32 v3, s30, v3
	s_andn2_b64 exec, exec, s[22:23]
	s_cbranch_execz .LBB4_12
.LBB4_6:                                ; =>This Loop Header: Depth=1
                                        ;     Child Loop BB4_8 Depth 2
	v_mov_b32_e32 v4, 0xff800000
	v_mov_b32_e32 v7, 0xff800000
	s_and_saveexec_b64 s[24:25], vcc
	s_cbranch_execz .LBB4_10
; %bb.7:                                ;   in Loop: Header=BB4_6 Depth=1
	s_mov_b64 s[26:27], 0
	v_mov_b32_e32 v4, 0xff800000
	v_mov_b32_e32 v5, v3
	;; [unrolled: 1-line block ×4, first 2 shown]
.LBB4_8:                                ;   Parent Loop BB4_6 Depth=1
                                        ; =>  This Inner Loop Header: Depth=2
	ds_read_b128 v[8:11], v5
	v_add_u32_e32 v6, 8, v6
	v_max_f32_e32 v7, v7, v7
	v_cmp_le_i32_e64 s[8:9], s12, v6
	s_or_b64 s[26:27], s[8:9], s[26:27]
	s_waitcnt lgkmcnt(0)
	v_max_f32_e32 v13, v8, v8
	v_max_f32_e32 v7, v13, v7
	v_cmp_gt_f32_e64 s[8:9], v8, v4
	v_max_f32_e32 v12, v4, v4
	v_cndmask_b32_e64 v4, v7, v4, s[8:9]
	v_max_f32_e32 v14, v9, v9
	v_max_f32_e32 v12, v13, v12
	;; [unrolled: 1-line block ×4, first 2 shown]
	v_cmp_gt_f32_e64 s[8:9], v9, v12
	v_max_f32_e32 v15, v10, v10
	v_max_f32_e32 v7, v14, v12
	v_cndmask_b32_e64 v9, v13, v12, s[8:9]
	v_max_f32_e32 v9, v15, v9
	v_cmp_gt_f32_e64 s[8:9], v10, v7
	v_max_f32_e32 v16, v11, v11
	v_max_f32_e32 v8, v15, v7
	v_cndmask_b32_e64 v7, v9, v7, s[8:9]
	v_max_f32_e32 v7, v16, v7
	v_cmp_gt_f32_e64 s[8:9], v11, v8
	v_add_u32_e32 v5, 0x80, v5
	v_max_f32_e32 v4, v16, v8
	v_cndmask_b32_e64 v7, v7, v8, s[8:9]
	s_andn2_b64 exec, exec, s[26:27]
	s_cbranch_execnz .LBB4_8
; %bb.9:                                ;   in Loop: Header=BB4_6 Depth=1
	s_or_b64 exec, exec, s[26:27]
.LBB4_10:                               ;   in Loop: Header=BB4_6 Depth=1
	s_or_b64 exec, exec, s[24:25]
	v_mov_b32_dpp v5, v4 quad_perm:[1,0,3,2] row_mask:0xf bank_mask:0xf bound_ctrl:1
	v_mov_b32_dpp v6, v7 quad_perm:[1,0,3,2] row_mask:0xf bank_mask:0xf bound_ctrl:1
	v_max_f32_e32 v8, v5, v5
	v_max_f32_e32 v7, v7, v7
	;; [unrolled: 1-line block ×3, first 2 shown]
	v_cmp_lt_f32_e64 s[8:9], v4, v5
	v_cndmask_b32_e64 v5, v7, v4, s[8:9]
	v_max_f32_e32 v4, v4, v4
	v_max_f32_e32 v4, v8, v4
	;; [unrolled: 1-line block ×5, first 2 shown]
	s_nop 0
	v_mov_b32_dpp v6, v4 quad_perm:[2,3,0,1] row_mask:0xf bank_mask:0xf bound_ctrl:1
	v_max_f32_e32 v8, v6, v6
	v_mov_b32_dpp v7, v5 quad_perm:[2,3,0,1] row_mask:0xf bank_mask:0xf bound_ctrl:1
	v_max_f32_e32 v5, v8, v5
	v_cmp_lt_f32_e64 s[8:9], v4, v6
	v_cndmask_b32_e64 v5, v5, v4, s[8:9]
	v_max_f32_e32 v6, v7, v7
	v_max_f32_e32 v4, v8, v4
	;; [unrolled: 1-line block ×3, first 2 shown]
	s_nop 0
	v_mov_b32_dpp v6, v4 row_half_mirror row_mask:0xf bank_mask:0xf bound_ctrl:1
	v_mov_b32_dpp v5, v7 row_half_mirror row_mask:0xf bank_mask:0xf bound_ctrl:1
	s_and_saveexec_b64 s[24:25], s[2:3]
	s_cbranch_execz .LBB4_5
; %bb.11:                               ;   in Loop: Header=BB4_6 Depth=1
	v_max_f32_e32 v7, v7, v7
	v_max_f32_e32 v9, v6, v6
	;; [unrolled: 1-line block ×3, first 2 shown]
	v_cmp_lt_f32_e64 s[8:9], v4, v6
	v_cndmask_b32_e64 v6, v7, v4, s[8:9]
	v_max_f32_e32 v6, v6, v6
	v_max_f32_e32 v5, v5, v5
	;; [unrolled: 1-line block ×5, first 2 shown]
	v_lshl_add_u32 v8, v2, 2, s15
	v_add_f32_e32 v4, v4, v5
	ds_write_b32 v8, v4
	s_branch .LBB4_5
.LBB4_12:
	s_or_b64 exec, exec, s[10:11]
	s_cmp_lt_i32 s14, 1
	s_waitcnt lgkmcnt(0)
	s_barrier
	s_cbranch_scc1 .LBB4_15
; %bb.13:
	v_mov_b32_e32 v1, s15
	s_mov_b32 s2, 0xff800000
	v_mov_b32_e32 v2, 0xff800000
.LBB4_14:                               ; =>This Inner Loop Header: Depth=1
	ds_read2_b32 v[4:5], v1 offset1:1
	ds_read2_b32 v[6:7], v1 offset0:2 offset1:3
	ds_read2_b32 v[8:9], v1 offset0:4 offset1:5
	;; [unrolled: 1-line block ×3, first 2 shown]
	s_waitcnt lgkmcnt(3)
	v_cmp_nlg_f32_e32 vcc, s2, v4
	v_cndmask_b32_e64 v3, 0, 1, vcc
	v_cmp_lg_f32_e32 vcc, s2, v4
	v_readfirstlane_b32 s3, v3
	v_cndmask_b32_e32 v3, v2, v4, vcc
	v_cmp_gt_f32_e32 vcc, v5, v3
	s_lshl_b32 s3, s3, 3
	v_cndmask_b32_e32 v3, v3, v5, vcc
	s_and_b64 s[8:9], vcc, exec
	s_waitcnt lgkmcnt(2)
	v_cmp_gt_f32_e32 vcc, v6, v3
	v_cndmask_b32_e32 v3, v3, v6, vcc
	s_cselect_b32 s3, 1, s3
	s_and_b64 s[8:9], vcc, exec
	v_cmp_gt_f32_e32 vcc, v7, v3
	v_cndmask_b32_e32 v3, v3, v7, vcc
	s_cselect_b32 s3, 2, s3
	s_and_b64 s[8:9], vcc, exec
	s_waitcnt lgkmcnt(1)
	v_cmp_gt_f32_e32 vcc, v8, v3
	v_cndmask_b32_e32 v3, v3, v8, vcc
	s_cselect_b32 s3, 3, s3
	s_and_b64 s[8:9], vcc, exec
	v_cmp_gt_f32_e32 vcc, v9, v3
	v_cndmask_b32_e32 v3, v3, v9, vcc
	s_cselect_b32 s3, 4, s3
	s_and_b64 s[8:9], vcc, exec
	s_waitcnt lgkmcnt(0)
	v_cmp_gt_f32_e32 vcc, v10, v3
	v_cndmask_b32_e32 v3, v3, v10, vcc
	s_cselect_b32 s3, 5, s3
	s_and_b64 s[8:9], vcc, exec
	v_cmp_ngt_f32_e32 vcc, v11, v3
	s_cselect_b32 s3, 6, s3
	s_and_b64 s[8:9], vcc, exec
	s_cselect_b32 s3, s3, 7
	s_lshl_b32 s3, s3, 2
	s_add_i32 s3, s15, s3
	s_add_i32 s14, s14, -1
	v_mov_b32_e32 v3, s3
	s_cmp_lg_u32 s14, 0
	ds_write_b32 v3, v2
	s_cbranch_scc1 .LBB4_14
.LBB4_15:
	v_lshlrev_b32_e32 v1, 2, v0
	v_lshl_add_u32 v6, v0, 4, 0
	s_and_saveexec_b64 s[2:3], s[0:1]
	s_cbranch_execz .LBB4_20
; %bb.16:
	s_abs_i32 s12, s28
	v_cvt_f32_u32_e32 v2, s12
	s_load_dword s10, s[4:5], 0x4c
	s_sub_i32 s11, 0, s12
	s_ashr_i32 s14, s28, 31
	v_rcp_iflag_f32_e32 v2, v2
	v_lshlrev_b32_e32 v7, 2, v0
	s_waitcnt lgkmcnt(0)
	s_and_b32 s22, s10, 0xffff
	v_lshl_add_u32 v8, v0, 4, 0
	v_mul_f32_e32 v2, 0x4f7ffffe, v2
	v_cvt_u32_f32_e32 v2, v2
	s_mov_b64 s[8:9], 0
	s_lshl_b32 s23, s22, 2
	s_lshl_b32 s24, s22, 4
	v_mul_lo_u32 v3, s11, v2
	v_mul_hi_u32 v3, v2, v3
	v_add_u32_e32 v9, v2, v3
	s_mov_b32 s25, 0xff800000
	v_mov_b32_e32 v2, 0xff800000
	v_mov_b32_e32 v10, v0
	s_branch .LBB4_18
.LBB4_17:                               ;   in Loop: Header=BB4_18 Depth=1
	s_or_b64 exec, exec, s[10:11]
	v_add_u32_e32 v10, s22, v10
	v_cmp_le_i32_e32 vcc, s7, v10
	v_add_u32_e32 v7, s23, v7
	s_or_b64 s[8:9], vcc, s[8:9]
	v_add_u32_e32 v8, s24, v8
	s_andn2_b64 exec, exec, s[8:9]
	s_cbranch_execz .LBB4_20
.LBB4_18:                               ; =>This Inner Loop Header: Depth=1
	v_mul_hi_u32 v3, v7, v9
	v_mul_lo_u32 v4, v3, s12
	v_sub_u32_e32 v4, v7, v4
	v_add_u32_e32 v5, 1, v3
	v_cmp_le_u32_e32 vcc, s12, v4
	v_cndmask_b32_e32 v3, v3, v5, vcc
	v_subrev_u32_e32 v5, s12, v4
	v_cndmask_b32_e32 v4, v4, v5, vcc
	v_add_u32_e32 v5, 1, v3
	v_cmp_le_u32_e32 vcc, s12, v4
	v_cndmask_b32_e32 v3, v3, v5, vcc
	v_xor_b32_e32 v3, s14, v3
	v_subrev_u32_e32 v3, s14, v3
	v_lshl_add_u32 v3, v3, 2, s15
	ds_read_b32 v3, v3
	s_waitcnt lgkmcnt(0)
	v_cmp_neq_f32_e32 vcc, s25, v3
	s_and_saveexec_b64 s[10:11], vcc
	s_cbranch_execz .LBB4_17
; %bb.19:                               ;   in Loop: Header=BB4_18 Depth=1
	v_mov_b32_e32 v3, v2
	v_mov_b32_e32 v4, v2
	;; [unrolled: 1-line block ×3, first 2 shown]
	ds_write_b128 v8, v[2:5]
	s_branch .LBB4_17
.LBB4_20:
	s_or_b64 exec, exec, s[2:3]
	s_cmp_lt_i32 s13, 1
	s_waitcnt lgkmcnt(0)
	s_barrier
	s_cbranch_scc1 .LBB4_27
; %bb.21:
	s_add_u32 s2, s4, 64
	s_addc_u32 s3, s5, 0
	s_mov_b32 s12, 0
	v_mov_b32_e32 v3, 0
	v_mov_b32_e32 v5, 0xff800000
                                        ; implicit-def: $vgpr4
                                        ; implicit-def: $vgpr2
	s_branch .LBB4_23
.LBB4_22:                               ;   in Loop: Header=BB4_23 Depth=1
	s_or_b64 exec, exec, s[8:9]
	v_mov_b32_dpp v10, v8 quad_perm:[1,0,3,2] row_mask:0xf bank_mask:0xf
	v_cmp_lt_f32_e32 vcc, v8, v10
	v_cndmask_b32_e32 v8, v8, v10, vcc
	v_mov_b32_dpp v9, v7 quad_perm:[1,0,3,2] row_mask:0xf bank_mask:0xf
	v_cndmask_b32_e32 v7, v7, v9, vcc
	v_mov_b32_dpp v10, v8 quad_perm:[2,3,0,1] row_mask:0xf bank_mask:0xf
	v_cmp_gt_f32_e32 vcc, v10, v8
	v_cndmask_b32_e32 v8, v8, v10, vcc
	v_mov_b32_dpp v9, v7 quad_perm:[2,3,0,1] row_mask:0xf bank_mask:0xf
	v_cndmask_b32_e32 v7, v7, v9, vcc
	v_mov_b32_dpp v10, v8 row_half_mirror row_mask:0xf bank_mask:0xf
	v_cmp_gt_f32_e32 vcc, v10, v8
	v_cndmask_b32_e32 v8, v8, v10, vcc
	v_mov_b32_dpp v9, v7 row_half_mirror row_mask:0xf bank_mask:0xf
	v_cndmask_b32_e32 v7, v7, v9, vcc
	v_mov_b32_dpp v10, v8 row_mirror row_mask:0xf bank_mask:0xf
	v_cmp_gt_f32_e32 vcc, v10, v8
	v_cndmask_b32_e32 v8, v8, v10, vcc
	v_mov_b32_dpp v9, v7 row_mirror row_mask:0xf bank_mask:0xf
	v_cndmask_b32_e32 v7, v7, v9, vcc
	v_mov_b32_dpp v10, v8 row_bcast:15 row_mask:0xf bank_mask:0xf
	v_cmp_gt_f32_e32 vcc, v10, v8
	v_mov_b32_dpp v9, v7 row_bcast:15 row_mask:0xf bank_mask:0xf
	v_cndmask_b32_e32 v8, v8, v10, vcc
	v_cndmask_b32_e32 v7, v7, v9, vcc
	s_nop 0
	v_mov_b32_dpp v10, v8 row_bcast:31 row_mask:0xf bank_mask:0xf
	v_mov_b32_dpp v9, v7 row_bcast:31 row_mask:0xf bank_mask:0xf
	v_cmp_gt_f32_e32 vcc, v10, v8
	v_cndmask_b32_e32 v7, v7, v9, vcc
	v_readlane_b32 s8, v7, 63
	s_ashr_i32 s9, s8, 31
	s_lshl_b64 s[10:11], s[8:9], 2
	s_add_u32 s10, s16, s10
	s_addc_u32 s11, s17, s11
	s_load_dword s9, s[10:11], 0x0
	v_cndmask_b32_e32 v7, v8, v10, vcc
	v_readlane_b32 s10, v7, 63
	v_cmp_eq_u32_e32 vcc, s12, v0
	s_add_i32 s12, s12, 1
	s_waitcnt lgkmcnt(0)
	v_mov_b32_e32 v7, s9
	s_lshl_b32 s9, s8, 2
	s_add_i32 s9, s9, 0
	v_mov_b32_e32 v8, s9
	v_sub_f32_e32 v7, s10, v7
	ds_write_b32 v8, v5
	v_mov_b32_e32 v8, s8
	v_cndmask_b32_e32 v2, v2, v8, vcc
	v_cndmask_b32_e32 v4, v4, v7, vcc
	s_cmp_eq_u32 s12, s13
	v_add_f32_e32 v3, v3, v7
	s_cbranch_scc1 .LBB4_28
.LBB4_23:                               ; =>This Loop Header: Depth=1
                                        ;     Child Loop BB4_25 Depth 2
	v_mov_b32_e32 v7, s12
	v_mov_b32_e32 v8, 0xff800000
	s_and_saveexec_b64 s[8:9], s[0:1]
	s_cbranch_execz .LBB4_22
; %bb.24:                               ;   in Loop: Header=BB4_23 Depth=1
	s_load_dword s14, s[2:3], 0xc
	s_mov_b64 s[10:11], 0
	v_mov_b32_e32 v7, s12
	v_mov_b32_e32 v8, 0xff800000
	;; [unrolled: 1-line block ×3, first 2 shown]
	s_waitcnt lgkmcnt(0)
	s_and_b32 s14, s14, 0xffff
	s_lshl_b32 s15, s14, 2
	s_lshl_b32 s22, s14, 4
	v_mov_b32_e32 v10, v1
	v_mov_b32_e32 v11, v0
.LBB4_25:                               ;   Parent Loop BB4_23 Depth=1
                                        ; =>  This Inner Loop Header: Depth=2
	ds_read_b128 v[12:15], v9
	v_add_u32_e32 v11, s14, v11
	v_cmp_le_i32_e32 vcc, s7, v11
	s_or_b64 s[10:11], vcc, s[10:11]
	v_add_u32_e32 v16, 1, v10
	s_waitcnt lgkmcnt(0)
	v_cmp_gt_f32_e32 vcc, v12, v8
	v_cndmask_b32_e32 v8, v8, v12, vcc
	v_cndmask_b32_e32 v7, v7, v10, vcc
	v_cmp_gt_f32_e32 vcc, v13, v8
	v_cndmask_b32_e32 v8, v8, v13, vcc
	v_cndmask_b32_e32 v7, v7, v16, vcc
	v_cmp_gt_f32_e32 vcc, v14, v8
	v_add_u32_e32 v17, 2, v10
	v_cndmask_b32_e32 v8, v8, v14, vcc
	v_add_u32_e32 v18, 3, v10
	v_cndmask_b32_e32 v7, v7, v17, vcc
	v_cmp_gt_f32_e32 vcc, v15, v8
	v_add_u32_e32 v9, s22, v9
	v_add_u32_e32 v10, s15, v10
	v_cndmask_b32_e32 v8, v8, v15, vcc
	v_cndmask_b32_e32 v7, v7, v18, vcc
	s_andn2_b64 exec, exec, s[10:11]
	s_cbranch_execnz .LBB4_25
; %bb.26:                               ;   in Loop: Header=BB4_23 Depth=1
	s_or_b64 exec, exec, s[10:11]
	s_branch .LBB4_22
.LBB4_27:
	v_mov_b32_e32 v3, 0
                                        ; implicit-def: $vgpr4
                                        ; implicit-def: $vgpr2
.LBB4_28:
	v_cmp_gt_i32_e32 vcc, s13, v0
	s_and_saveexec_b64 s[0:1], vcc
	s_cbranch_execz .LBB4_31
; %bb.29:
	s_load_dword s7, s[4:5], 0x38
	s_load_dwordx2 s[0:1], s[4:5], 0x20
	s_load_dword s8, s[4:5], 0x4c
	s_waitcnt lgkmcnt(0)
	v_div_scale_f32 v1, s[2:3], v3, v3, s7
	v_rcp_f32_e32 v5, v1
	v_div_scale_f32 v6, vcc, s7, v3, s7
	s_ashr_i32 s2, s6, 31
	v_fma_f32 v7, -v1, v5, 1.0
	v_fmac_f32_e32 v5, v7, v5
	v_mul_f32_e32 v7, v6, v5
	v_fma_f32 v8, -v1, v7, v6
	v_fmac_f32_e32 v7, v8, v5
	v_fma_f32 v1, -v1, v7, v6
	s_mul_i32 s1, s6, s1
	s_mul_hi_u32 s3, s6, s0
	v_div_fmas_f32 v1, v1, v5, v7
	s_add_i32 s1, s3, s1
	s_mul_i32 s2, s2, s0
	v_div_fixup_f32 v1, v1, v3, s7
	s_add_i32 s4, s1, s2
	v_mul_f32_e32 v1, v1, v4
	s_mul_i32 s2, s6, s0
	s_and_b32 s3, s8, 0xffff
	s_mov_b64 s[0:1], 0
	v_mov_b32_e32 v3, s4
	v_mov_b32_e32 v4, s19
	;; [unrolled: 1-line block ×3, first 2 shown]
.LBB4_30:                               ; =>This Inner Loop Header: Depth=1
	v_ashrrev_i32_e32 v7, 31, v0
	v_add_co_u32_e32 v6, vcc, s2, v0
	v_addc_co_u32_e32 v7, vcc, v3, v7, vcc
	v_add_u32_e32 v0, s3, v0
	v_cmp_le_i32_e32 vcc, s13, v0
	v_lshlrev_b64 v[6:7], 2, v[6:7]
	s_or_b64 s[0:1], vcc, s[0:1]
	v_add_co_u32_e32 v8, vcc, s18, v6
	v_addc_co_u32_e32 v9, vcc, v4, v7, vcc
	v_add_co_u32_e32 v6, vcc, s20, v6
	v_addc_co_u32_e32 v7, vcc, v5, v7, vcc
	global_store_dword v[8:9], v1, off
	global_store_dword v[6:7], v2, off
	s_andn2_b64 exec, exec, s[0:1]
	s_cbranch_execnz .LBB4_30
.LBB4_31:
	s_endpgm
	.section	.rodata,"a",@progbits
	.p2align	6, 0x0
	.amdhsa_kernel _ZN5aiter19grouped_topk_kernelIfDv4_fLi8ELb1ELb1ELb0EEEvPT_PKS2_PfPimiiiif
		.amdhsa_group_segment_fixed_size 0
		.amdhsa_private_segment_fixed_size 0
		.amdhsa_kernarg_size 320
		.amdhsa_user_sgpr_count 6
		.amdhsa_user_sgpr_private_segment_buffer 1
		.amdhsa_user_sgpr_dispatch_ptr 0
		.amdhsa_user_sgpr_queue_ptr 0
		.amdhsa_user_sgpr_kernarg_segment_ptr 1
		.amdhsa_user_sgpr_dispatch_id 0
		.amdhsa_user_sgpr_flat_scratch_init 0
		.amdhsa_user_sgpr_kernarg_preload_length 0
		.amdhsa_user_sgpr_kernarg_preload_offset 0
		.amdhsa_user_sgpr_private_segment_size 0
		.amdhsa_uses_dynamic_stack 0
		.amdhsa_system_sgpr_private_segment_wavefront_offset 0
		.amdhsa_system_sgpr_workgroup_id_x 1
		.amdhsa_system_sgpr_workgroup_id_y 0
		.amdhsa_system_sgpr_workgroup_id_z 0
		.amdhsa_system_sgpr_workgroup_info 0
		.amdhsa_system_vgpr_workitem_id 0
		.amdhsa_next_free_vgpr 37
		.amdhsa_next_free_sgpr 32
		.amdhsa_accum_offset 40
		.amdhsa_reserve_vcc 1
		.amdhsa_reserve_flat_scratch 0
		.amdhsa_float_round_mode_32 0
		.amdhsa_float_round_mode_16_64 0
		.amdhsa_float_denorm_mode_32 3
		.amdhsa_float_denorm_mode_16_64 3
		.amdhsa_dx10_clamp 1
		.amdhsa_ieee_mode 1
		.amdhsa_fp16_overflow 0
		.amdhsa_tg_split 0
		.amdhsa_exception_fp_ieee_invalid_op 0
		.amdhsa_exception_fp_denorm_src 0
		.amdhsa_exception_fp_ieee_div_zero 0
		.amdhsa_exception_fp_ieee_overflow 0
		.amdhsa_exception_fp_ieee_underflow 0
		.amdhsa_exception_fp_ieee_inexact 0
		.amdhsa_exception_int_div_zero 0
	.end_amdhsa_kernel
	.section	.text._ZN5aiter19grouped_topk_kernelIfDv4_fLi8ELb1ELb1ELb0EEEvPT_PKS2_PfPimiiiif,"axG",@progbits,_ZN5aiter19grouped_topk_kernelIfDv4_fLi8ELb1ELb1ELb0EEEvPT_PKS2_PfPimiiiif,comdat
.Lfunc_end4:
	.size	_ZN5aiter19grouped_topk_kernelIfDv4_fLi8ELb1ELb1ELb0EEEvPT_PKS2_PfPimiiiif, .Lfunc_end4-_ZN5aiter19grouped_topk_kernelIfDv4_fLi8ELb1ELb1ELb0EEEvPT_PKS2_PfPimiiiif
                                        ; -- End function
	.section	.AMDGPU.csdata,"",@progbits
; Kernel info:
; codeLenInByte = 2832
; NumSgprs: 36
; NumVgprs: 37
; NumAgprs: 0
; TotalNumVgprs: 37
; ScratchSize: 0
; MemoryBound: 0
; FloatMode: 240
; IeeeMode: 1
; LDSByteSize: 0 bytes/workgroup (compile time only)
; SGPRBlocks: 4
; VGPRBlocks: 4
; NumSGPRsForWavesPerEU: 36
; NumVGPRsForWavesPerEU: 37
; AccumOffset: 40
; Occupancy: 8
; WaveLimiterHint : 0
; COMPUTE_PGM_RSRC2:SCRATCH_EN: 0
; COMPUTE_PGM_RSRC2:USER_SGPR: 6
; COMPUTE_PGM_RSRC2:TRAP_HANDLER: 0
; COMPUTE_PGM_RSRC2:TGID_X_EN: 1
; COMPUTE_PGM_RSRC2:TGID_Y_EN: 0
; COMPUTE_PGM_RSRC2:TGID_Z_EN: 0
; COMPUTE_PGM_RSRC2:TIDIG_COMP_CNT: 0
; COMPUTE_PGM_RSRC3_GFX90A:ACCUM_OFFSET: 9
; COMPUTE_PGM_RSRC3_GFX90A:TG_SPLIT: 0
	.section	.text._ZN5aiter19grouped_topk_kernelIN3c104HalfEDv4_fLi8ELb1ELb1ELb0EEEvPT_PKS4_PfPimiiiif,"axG",@progbits,_ZN5aiter19grouped_topk_kernelIN3c104HalfEDv4_fLi8ELb1ELb1ELb0EEEvPT_PKS4_PfPimiiiif,comdat
	.protected	_ZN5aiter19grouped_topk_kernelIN3c104HalfEDv4_fLi8ELb1ELb1ELb0EEEvPT_PKS4_PfPimiiiif ; -- Begin function _ZN5aiter19grouped_topk_kernelIN3c104HalfEDv4_fLi8ELb1ELb1ELb0EEEvPT_PKS4_PfPimiiiif
	.globl	_ZN5aiter19grouped_topk_kernelIN3c104HalfEDv4_fLi8ELb1ELb1ELb0EEEvPT_PKS4_PfPimiiiif
	.p2align	8
	.type	_ZN5aiter19grouped_topk_kernelIN3c104HalfEDv4_fLi8ELb1ELb1ELb0EEEvPT_PKS4_PfPimiiiif,@function
_ZN5aiter19grouped_topk_kernelIN3c104HalfEDv4_fLi8ELb1ELb1ELb0EEEvPT_PKS4_PfPimiiiif: ; @_ZN5aiter19grouped_topk_kernelIN3c104HalfEDv4_fLi8ELb1ELb1ELb0EEEvPT_PKS4_PfPimiiiif
; %bb.0:
	s_load_dwordx4 s[12:15], s[4:5], 0x28
	s_load_dwordx4 s[16:19], s[4:5], 0x8
	s_load_dwordx2 s[20:21], s[4:5], 0x18
	v_lshl_add_u32 v8, v0, 4, 0
	s_waitcnt lgkmcnt(0)
	s_ashr_i32 s26, s12, 31
	s_lshr_b32 s0, s26, 30
	s_add_i32 s0, s12, s0
	s_ashr_i32 s7, s0, 2
	v_cmp_gt_i32_e64 s[0:1], s7, v0
	s_and_saveexec_b64 s[22:23], s[0:1]
	s_cbranch_execz .LBB5_3
; %bb.1:
	s_load_dwordx2 s[2:3], s[4:5], 0x0
	s_load_dword s10, s[4:5], 0x4c
	s_mul_i32 s8, s6, s12
	s_ashr_i32 s9, s8, 31
	s_lshl_b64 s[8:9], s[8:9], 1
	s_waitcnt lgkmcnt(0)
	s_add_u32 s15, s2, s8
	s_addc_u32 s2, s3, s9
	s_and_b32 s27, s10, 0xffff
	s_mov_b32 s3, 0
	v_lshlrev_b32_e32 v2, 3, v0
	v_mov_b32_e32 v1, 0
	s_lshl_b32 s28, s27, 3
	v_lshl_add_u32 v3, v0, 4, 0
	s_lshl_b32 s29, s27, 4
	s_mov_b64 s[24:25], 0
	v_mov_b32_e32 v9, s2
	v_mov_b32_e32 v10, s17
	s_mov_b32 s30, 0x3fb8aa3b
	s_mov_b32 s31, 0x32a5705f
	;; [unrolled: 1-line block ×4, first 2 shown]
	v_mov_b32_e32 v11, 0x7f800000
	v_mov_b32_e32 v12, s3
	;; [unrolled: 1-line block ×3, first 2 shown]
.LBB5_2:                                ; =>This Inner Loop Header: Depth=1
	v_add_co_u32_e32 v4, vcc, s15, v2
	v_addc_co_u32_e32 v5, vcc, v9, v1, vcc
	v_add_co_u32_e32 v6, vcc, s16, v2
	v_addc_co_u32_e32 v7, vcc, v10, v1, vcc
	global_load_dwordx2 v[14:15], v[6:7], off
	global_load_dwordx2 v[16:17], v[4:5], off
	v_add_co_u32_e32 v2, vcc, s28, v2
	v_add_u32_e32 v13, s27, v13
	v_addc_co_u32_e32 v1, vcc, v1, v12, vcc
	v_cmp_le_i32_e32 vcc, s7, v13
	s_or_b64 s[24:25], vcc, s[24:25]
	s_waitcnt vmcnt(1)
	v_cvt_f32_f16_e32 v4, v14
	v_cvt_f32_f16_sdwa v5, v14 dst_sel:DWORD dst_unused:UNUSED_PAD src0_sel:WORD_1
	v_cvt_f32_f16_e32 v6, v15
	v_cvt_f32_f16_sdwa v7, v15 dst_sel:DWORD dst_unused:UNUSED_PAD src0_sel:WORD_1
	s_waitcnt vmcnt(0)
	v_cvt_f32_f16_e64 v14, -v16
	v_cvt_f32_f16_sdwa v15, -v16 dst_sel:DWORD dst_unused:UNUSED_PAD src0_sel:WORD_1
	v_cvt_f32_f16_e64 v18, -v17
	v_cvt_f32_f16_sdwa v19, -v17 dst_sel:DWORD dst_unused:UNUSED_PAD src0_sel:WORD_1
	v_mul_f32_e32 v20, 0x3fb8aa3b, v14
	v_mul_f32_e32 v21, 0x3fb8aa3b, v15
	v_fma_mix_f32 v24, -v16, s30, -v20 op_sel_hi:[1,0,0]
	v_rndne_f32_e32 v25, v20
	v_fma_mix_f32 v26, -v16, s30, -v21 op_sel:[1,0,0] op_sel_hi:[1,0,0]
	v_rndne_f32_e32 v27, v21
	v_mul_f32_e32 v22, 0x3fb8aa3b, v18
	v_mul_f32_e32 v23, 0x3fb8aa3b, v19
	v_fma_mix_f32 v24, -v16, s31, v24 op_sel_hi:[1,0,0]
	v_sub_f32_e32 v20, v20, v25
	v_fma_mix_f32 v16, -v16, s31, v26 op_sel:[1,0,0] op_sel_hi:[1,0,0]
	v_sub_f32_e32 v21, v21, v27
	v_fma_mix_f32 v28, -v17, s30, -v22 op_sel_hi:[1,0,0]
	v_rndne_f32_e32 v29, v22
	v_fma_mix_f32 v30, -v17, s30, -v23 op_sel:[1,0,0] op_sel_hi:[1,0,0]
	v_rndne_f32_e32 v31, v23
	v_add_f32_e32 v20, v20, v24
	v_add_f32_e32 v16, v21, v16
	v_cvt_i32_f32_e32 v25, v25
	v_cvt_i32_f32_e32 v26, v27
	v_fma_mix_f32 v27, -v17, s31, v28 op_sel_hi:[1,0,0]
	v_sub_f32_e32 v22, v22, v29
	v_fma_mix_f32 v17, -v17, s31, v30 op_sel:[1,0,0] op_sel_hi:[1,0,0]
	v_sub_f32_e32 v23, v23, v31
	v_exp_f32_e32 v20, v20
	v_exp_f32_e32 v16, v16
	v_add_f32_e32 v21, v22, v27
	v_add_f32_e32 v17, v23, v17
	v_cvt_i32_f32_e32 v28, v29
	v_cvt_i32_f32_e32 v29, v31
	v_exp_f32_e32 v21, v21
	v_exp_f32_e32 v17, v17
	v_ldexp_f32 v20, v20, v25
	v_ldexp_f32 v16, v16, v26
	v_cmp_ngt_f32_e32 vcc, s33, v15
	v_cmp_ngt_f32_e64 s[10:11], s33, v14
	v_cndmask_b32_e64 v20, 0, v20, s[10:11]
	v_cndmask_b32_e32 v16, 0, v16, vcc
	v_cmp_nlt_f32_e32 vcc, s34, v15
	v_cmp_nlt_f32_e64 s[10:11], s34, v14
	v_ldexp_f32 v21, v21, v28
	v_cmp_ngt_f32_e64 s[2:3], s33, v18
	v_ldexp_f32 v17, v17, v29
	v_cmp_ngt_f32_e64 s[8:9], s33, v19
	v_cndmask_b32_e64 v14, v11, v20, s[10:11]
	v_cndmask_b32_e32 v15, v11, v16, vcc
	v_cndmask_b32_e64 v21, 0, v21, s[2:3]
	v_cmp_nlt_f32_e64 s[2:3], s34, v18
	v_cndmask_b32_e64 v17, 0, v17, s[8:9]
	v_cmp_nlt_f32_e64 s[8:9], s34, v19
	v_pk_add_f32 v[14:15], v[14:15], 1.0 op_sel_hi:[1,0]
	v_cndmask_b32_e64 v16, v11, v21, s[2:3]
	v_cndmask_b32_e64 v17, v11, v17, s[8:9]
	v_div_scale_f32 v18, s[2:3], v15, v15, 1.0
	v_pk_add_f32 v[16:17], v[16:17], 1.0 op_sel_hi:[1,0]
	v_div_scale_f32 v20, s[2:3], v14, v14, 1.0
	v_rcp_f32_e32 v26, v18
	v_div_scale_f32 v22, s[8:9], v17, v17, 1.0
	v_rcp_f32_e32 v27, v20
	;; [unrolled: 2-line block ×3, first 2 shown]
	v_rcp_f32_e32 v29, v24
	v_fma_f32 v30, -v18, v26, 1.0
	v_div_scale_f32 v19, vcc, 1.0, v15, 1.0
	v_fma_f32 v31, -v20, v27, 1.0
	v_fmac_f32_e32 v26, v30, v26
	v_div_scale_f32 v21, s[2:3], 1.0, v14, 1.0
	v_fma_f32 v32, -v22, v28, 1.0
	v_fmac_f32_e32 v27, v31, v27
	v_mul_f32_e32 v30, v19, v26
	v_div_scale_f32 v23, s[8:9], 1.0, v17, 1.0
	v_fma_f32 v33, -v24, v29, 1.0
	v_fmac_f32_e32 v28, v32, v28
	v_mul_f32_e32 v31, v21, v27
	v_fma_f32 v34, -v18, v30, v19
	v_div_scale_f32 v25, s[10:11], 1.0, v16, 1.0
	v_fmac_f32_e32 v29, v33, v29
	v_mul_f32_e32 v32, v23, v28
	v_fma_f32 v35, -v20, v31, v21
	v_fmac_f32_e32 v30, v34, v26
	v_mul_f32_e32 v33, v25, v29
	v_fma_f32 v36, -v22, v32, v23
	v_fmac_f32_e32 v31, v35, v27
	v_fma_f32 v18, -v18, v30, v19
	v_fma_f32 v37, -v24, v33, v25
	v_fmac_f32_e32 v32, v36, v28
	v_fma_f32 v19, -v20, v31, v21
	v_div_fmas_f32 v18, v18, v26, v30
	s_mov_b64 vcc, s[2:3]
	v_fmac_f32_e32 v33, v37, v29
	v_fma_f32 v20, -v22, v32, v23
	v_div_fixup_f32 v15, v18, v15, 1.0
	v_div_fmas_f32 v18, v19, v27, v31
	s_mov_b64 vcc, s[8:9]
	v_fma_f32 v21, -v24, v33, v25
	v_div_fixup_f32 v14, v18, v14, 1.0
	v_div_fmas_f32 v18, v20, v28, v32
	s_mov_b64 vcc, s[10:11]
	v_div_fixup_f32 v17, v18, v17, 1.0
	v_div_fmas_f32 v18, v21, v29, v33
	v_div_fixup_f32 v16, v18, v16, 1.0
	v_pk_add_f32 v[4:5], v[14:15], v[4:5]
	v_pk_add_f32 v[6:7], v[16:17], v[6:7]
	ds_write_b128 v3, v[4:7]
	v_add_u32_e32 v3, s29, v3
	s_andn2_b64 exec, exec, s[24:25]
	s_cbranch_execnz .LBB5_2
.LBB5_3:
	s_or_b64 exec, exec, s[22:23]
	s_lshr_b32 s2, s26, 29
	s_add_i32 s2, s12, s2
	s_ashr_i32 s28, s2, 3
	s_lshl_b32 s2, s12, 2
	s_add_i32 s15, s2, 0
	v_cmp_gt_u32_e32 vcc, 64, v0
	s_waitcnt lgkmcnt(0)
	s_barrier
	s_and_saveexec_b64 s[10:11], vcc
	s_cbranch_execz .LBB5_12
; %bb.4:
	s_load_dword s8, s[4:5], 0x4c
	v_lshrrev_b32_e32 v2, 3, v0
	s_lshr_b32 s2, s26, 27
	v_and_b32_e32 v1, 7, v0
	s_add_i32 s2, s12, s2
	s_waitcnt lgkmcnt(0)
	s_bfe_u32 s29, s8, 0xd0003
	v_mul_lo_u32 v3, s28, v2
	s_ashr_i32 s12, s2, 5
	v_lshlrev_b32_e32 v3, 2, v3
	v_lshlrev_b32_e32 v4, 4, v1
	s_mul_i32 s8, s28, s29
	v_cmp_gt_i32_e32 vcc, s12, v1
	v_cmp_eq_u32_e64 s[2:3], 0, v1
	v_add3_u32 v3, v3, v4, 0
	s_lshl_b32 s30, s8, 2
	s_mov_b64 s[22:23], 0
	s_branch .LBB5_6
.LBB5_5:                                ;   in Loop: Header=BB5_6 Depth=1
	s_or_b64 exec, exec, s[24:25]
	v_add_u32_e32 v2, s29, v2
	v_cmp_lt_u32_e64 s[8:9], 7, v2
	s_or_b64 s[22:23], s[8:9], s[22:23]
	v_add_u32_e32 v3, s30, v3
	s_andn2_b64 exec, exec, s[22:23]
	s_cbranch_execz .LBB5_12
.LBB5_6:                                ; =>This Loop Header: Depth=1
                                        ;     Child Loop BB5_8 Depth 2
	v_mov_b32_e32 v4, 0xff800000
	v_mov_b32_e32 v7, 0xff800000
	s_and_saveexec_b64 s[24:25], vcc
	s_cbranch_execz .LBB5_10
; %bb.7:                                ;   in Loop: Header=BB5_6 Depth=1
	s_mov_b64 s[26:27], 0
	v_mov_b32_e32 v4, 0xff800000
	v_mov_b32_e32 v5, v3
	;; [unrolled: 1-line block ×4, first 2 shown]
.LBB5_8:                                ;   Parent Loop BB5_6 Depth=1
                                        ; =>  This Inner Loop Header: Depth=2
	ds_read_b128 v[10:13], v5
	v_add_u32_e32 v6, 8, v6
	v_max_f32_e32 v7, v7, v7
	v_cmp_le_i32_e64 s[8:9], s12, v6
	s_or_b64 s[26:27], s[8:9], s[26:27]
	s_waitcnt lgkmcnt(0)
	v_max_f32_e32 v14, v10, v10
	v_max_f32_e32 v7, v14, v7
	v_cmp_gt_f32_e64 s[8:9], v10, v4
	v_max_f32_e32 v9, v4, v4
	v_cndmask_b32_e64 v4, v7, v4, s[8:9]
	v_max_f32_e32 v15, v11, v11
	v_max_f32_e32 v9, v14, v9
	;; [unrolled: 1-line block ×4, first 2 shown]
	v_cmp_gt_f32_e64 s[8:9], v11, v9
	v_max_f32_e32 v16, v12, v12
	v_max_f32_e32 v7, v15, v9
	v_cndmask_b32_e64 v9, v14, v9, s[8:9]
	v_max_f32_e32 v9, v16, v9
	v_cmp_gt_f32_e64 s[8:9], v12, v7
	v_max_f32_e32 v17, v13, v13
	v_max_f32_e32 v10, v16, v7
	v_cndmask_b32_e64 v7, v9, v7, s[8:9]
	v_max_f32_e32 v7, v17, v7
	v_cmp_gt_f32_e64 s[8:9], v13, v10
	v_add_u32_e32 v5, 0x80, v5
	v_max_f32_e32 v4, v17, v10
	v_cndmask_b32_e64 v7, v7, v10, s[8:9]
	s_andn2_b64 exec, exec, s[26:27]
	s_cbranch_execnz .LBB5_8
; %bb.9:                                ;   in Loop: Header=BB5_6 Depth=1
	s_or_b64 exec, exec, s[26:27]
.LBB5_10:                               ;   in Loop: Header=BB5_6 Depth=1
	s_or_b64 exec, exec, s[24:25]
	v_mov_b32_dpp v5, v4 quad_perm:[1,0,3,2] row_mask:0xf bank_mask:0xf bound_ctrl:1
	v_mov_b32_dpp v6, v7 quad_perm:[1,0,3,2] row_mask:0xf bank_mask:0xf bound_ctrl:1
	v_max_f32_e32 v9, v5, v5
	v_max_f32_e32 v7, v7, v7
	v_max_f32_e32 v7, v9, v7
	v_cmp_lt_f32_e64 s[8:9], v4, v5
	v_cndmask_b32_e64 v5, v7, v4, s[8:9]
	v_max_f32_e32 v4, v4, v4
	v_max_f32_e32 v4, v9, v4
	;; [unrolled: 1-line block ×5, first 2 shown]
	s_nop 0
	v_mov_b32_dpp v6, v4 quad_perm:[2,3,0,1] row_mask:0xf bank_mask:0xf bound_ctrl:1
	v_max_f32_e32 v9, v6, v6
	v_mov_b32_dpp v7, v5 quad_perm:[2,3,0,1] row_mask:0xf bank_mask:0xf bound_ctrl:1
	v_max_f32_e32 v5, v9, v5
	v_cmp_lt_f32_e64 s[8:9], v4, v6
	v_cndmask_b32_e64 v5, v5, v4, s[8:9]
	v_max_f32_e32 v6, v7, v7
	v_max_f32_e32 v4, v9, v4
	v_max_f32_e32 v7, v5, v6
	s_nop 0
	v_mov_b32_dpp v6, v4 row_half_mirror row_mask:0xf bank_mask:0xf bound_ctrl:1
	v_mov_b32_dpp v5, v7 row_half_mirror row_mask:0xf bank_mask:0xf bound_ctrl:1
	s_and_saveexec_b64 s[24:25], s[2:3]
	s_cbranch_execz .LBB5_5
; %bb.11:                               ;   in Loop: Header=BB5_6 Depth=1
	v_max_f32_e32 v7, v7, v7
	v_max_f32_e32 v10, v6, v6
	;; [unrolled: 1-line block ×3, first 2 shown]
	v_cmp_lt_f32_e64 s[8:9], v4, v6
	v_cndmask_b32_e64 v6, v7, v4, s[8:9]
	v_max_f32_e32 v6, v6, v6
	v_max_f32_e32 v5, v5, v5
	;; [unrolled: 1-line block ×5, first 2 shown]
	v_lshl_add_u32 v9, v2, 2, s15
	v_add_f32_e32 v4, v4, v5
	ds_write_b32 v9, v4
	s_branch .LBB5_5
.LBB5_12:
	s_or_b64 exec, exec, s[10:11]
	s_cmp_lt_i32 s14, 1
	s_waitcnt lgkmcnt(0)
	s_barrier
	s_cbranch_scc1 .LBB5_15
; %bb.13:
	v_mov_b32_e32 v1, s15
	s_mov_b32 s2, 0xff800000
	v_mov_b32_e32 v2, 0xff800000
.LBB5_14:                               ; =>This Inner Loop Header: Depth=1
	ds_read2_b32 v[4:5], v1 offset1:1
	ds_read2_b32 v[6:7], v1 offset0:2 offset1:3
	ds_read2_b32 v[10:11], v1 offset0:4 offset1:5
	;; [unrolled: 1-line block ×3, first 2 shown]
	s_waitcnt lgkmcnt(3)
	v_cmp_nlg_f32_e32 vcc, s2, v4
	v_cndmask_b32_e64 v3, 0, 1, vcc
	v_cmp_lg_f32_e32 vcc, s2, v4
	v_readfirstlane_b32 s3, v3
	v_cndmask_b32_e32 v3, v2, v4, vcc
	v_cmp_gt_f32_e32 vcc, v5, v3
	s_lshl_b32 s3, s3, 3
	v_cndmask_b32_e32 v3, v3, v5, vcc
	s_and_b64 s[8:9], vcc, exec
	s_waitcnt lgkmcnt(2)
	v_cmp_gt_f32_e32 vcc, v6, v3
	v_cndmask_b32_e32 v3, v3, v6, vcc
	s_cselect_b32 s3, 1, s3
	s_and_b64 s[8:9], vcc, exec
	v_cmp_gt_f32_e32 vcc, v7, v3
	v_cndmask_b32_e32 v3, v3, v7, vcc
	s_cselect_b32 s3, 2, s3
	s_and_b64 s[8:9], vcc, exec
	s_waitcnt lgkmcnt(1)
	v_cmp_gt_f32_e32 vcc, v10, v3
	v_cndmask_b32_e32 v3, v3, v10, vcc
	s_cselect_b32 s3, 3, s3
	s_and_b64 s[8:9], vcc, exec
	v_cmp_gt_f32_e32 vcc, v11, v3
	v_cndmask_b32_e32 v3, v3, v11, vcc
	s_cselect_b32 s3, 4, s3
	s_and_b64 s[8:9], vcc, exec
	s_waitcnt lgkmcnt(0)
	v_cmp_gt_f32_e32 vcc, v12, v3
	v_cndmask_b32_e32 v3, v3, v12, vcc
	s_cselect_b32 s3, 5, s3
	s_and_b64 s[8:9], vcc, exec
	v_cmp_ngt_f32_e32 vcc, v13, v3
	s_cselect_b32 s3, 6, s3
	s_and_b64 s[8:9], vcc, exec
	s_cselect_b32 s3, s3, 7
	s_lshl_b32 s3, s3, 2
	s_add_i32 s3, s15, s3
	s_add_i32 s14, s14, -1
	v_mov_b32_e32 v3, s3
	s_cmp_lg_u32 s14, 0
	ds_write_b32 v3, v2
	s_cbranch_scc1 .LBB5_14
.LBB5_15:
	v_lshlrev_b32_e32 v6, 2, v0
	s_and_saveexec_b64 s[2:3], s[0:1]
	s_cbranch_execz .LBB5_20
; %bb.16:
	s_abs_i32 s12, s28
	v_cvt_f32_u32_e32 v2, s12
	s_load_dword s10, s[4:5], 0x4c
	s_sub_i32 s11, 0, s12
	s_ashr_i32 s14, s28, 31
	v_rcp_iflag_f32_e32 v2, v2
	v_lshlrev_b32_e32 v1, 2, v0
	s_waitcnt lgkmcnt(0)
	s_and_b32 s22, s10, 0xffff
	v_lshl_add_u32 v7, v0, 4, 0
	v_mul_f32_e32 v2, 0x4f7ffffe, v2
	v_cvt_u32_f32_e32 v2, v2
	s_mov_b64 s[8:9], 0
	s_lshl_b32 s23, s22, 2
	s_lshl_b32 s24, s22, 4
	v_mul_lo_u32 v3, s11, v2
	v_mul_hi_u32 v3, v2, v3
	v_add_u32_e32 v9, v2, v3
	s_mov_b32 s25, 0xff800000
	v_mov_b32_e32 v2, 0xff800000
	v_mov_b32_e32 v10, v0
	s_branch .LBB5_18
.LBB5_17:                               ;   in Loop: Header=BB5_18 Depth=1
	s_or_b64 exec, exec, s[10:11]
	v_add_u32_e32 v10, s22, v10
	v_cmp_le_i32_e32 vcc, s7, v10
	v_add_u32_e32 v1, s23, v1
	s_or_b64 s[8:9], vcc, s[8:9]
	v_add_u32_e32 v7, s24, v7
	s_andn2_b64 exec, exec, s[8:9]
	s_cbranch_execz .LBB5_20
.LBB5_18:                               ; =>This Inner Loop Header: Depth=1
	v_mul_hi_u32 v3, v1, v9
	v_mul_lo_u32 v4, v3, s12
	v_sub_u32_e32 v4, v1, v4
	v_add_u32_e32 v5, 1, v3
	v_cmp_le_u32_e32 vcc, s12, v4
	v_cndmask_b32_e32 v3, v3, v5, vcc
	v_subrev_u32_e32 v5, s12, v4
	v_cndmask_b32_e32 v4, v4, v5, vcc
	v_add_u32_e32 v5, 1, v3
	v_cmp_le_u32_e32 vcc, s12, v4
	v_cndmask_b32_e32 v3, v3, v5, vcc
	v_xor_b32_e32 v3, s14, v3
	v_subrev_u32_e32 v3, s14, v3
	v_lshl_add_u32 v3, v3, 2, s15
	ds_read_b32 v3, v3
	s_waitcnt lgkmcnt(0)
	v_cmp_neq_f32_e32 vcc, s25, v3
	s_and_saveexec_b64 s[10:11], vcc
	s_cbranch_execz .LBB5_17
; %bb.19:                               ;   in Loop: Header=BB5_18 Depth=1
	v_mov_b32_e32 v3, v2
	v_mov_b32_e32 v4, v2
	;; [unrolled: 1-line block ×3, first 2 shown]
	ds_write_b128 v7, v[2:5]
	s_branch .LBB5_17
.LBB5_20:
	s_or_b64 exec, exec, s[2:3]
	s_cmp_lt_i32 s13, 1
	s_waitcnt lgkmcnt(0)
	s_barrier
	s_cbranch_scc1 .LBB5_27
; %bb.21:
	s_add_u32 s2, s4, 64
	s_addc_u32 s3, s5, 0
	s_mov_b32 s12, 0
	v_mov_b32_e32 v4, 0
	v_mov_b32_e32 v5, 0xff800000
	;; [unrolled: 1-line block ×3, first 2 shown]
                                        ; implicit-def: $vgpr2
                                        ; implicit-def: $vgpr1
	s_branch .LBB5_23
.LBB5_22:                               ;   in Loop: Header=BB5_23 Depth=1
	s_or_b64 exec, exec, s[8:9]
	v_mov_b32_dpp v11, v9 quad_perm:[1,0,3,2] row_mask:0xf bank_mask:0xf
	v_cmp_lt_f32_e32 vcc, v9, v11
	v_cndmask_b32_e32 v9, v9, v11, vcc
	v_mov_b32_dpp v10, v7 quad_perm:[1,0,3,2] row_mask:0xf bank_mask:0xf
	v_cndmask_b32_e32 v7, v7, v10, vcc
	v_mov_b32_dpp v11, v9 quad_perm:[2,3,0,1] row_mask:0xf bank_mask:0xf
	v_cmp_gt_f32_e32 vcc, v11, v9
	v_cndmask_b32_e32 v9, v9, v11, vcc
	v_mov_b32_dpp v10, v7 quad_perm:[2,3,0,1] row_mask:0xf bank_mask:0xf
	v_cndmask_b32_e32 v7, v7, v10, vcc
	v_mov_b32_dpp v11, v9 row_half_mirror row_mask:0xf bank_mask:0xf
	v_cmp_gt_f32_e32 vcc, v11, v9
	v_cndmask_b32_e32 v9, v9, v11, vcc
	v_mov_b32_dpp v10, v7 row_half_mirror row_mask:0xf bank_mask:0xf
	v_cndmask_b32_e32 v7, v7, v10, vcc
	v_mov_b32_dpp v11, v9 row_mirror row_mask:0xf bank_mask:0xf
	v_cmp_gt_f32_e32 vcc, v11, v9
	v_cndmask_b32_e32 v9, v9, v11, vcc
	v_mov_b32_dpp v10, v7 row_mirror row_mask:0xf bank_mask:0xf
	v_cndmask_b32_e32 v7, v7, v10, vcc
	v_mov_b32_dpp v11, v9 row_bcast:15 row_mask:0xf bank_mask:0xf
	v_cmp_gt_f32_e32 vcc, v11, v9
	v_mov_b32_dpp v10, v7 row_bcast:15 row_mask:0xf bank_mask:0xf
	v_cndmask_b32_e32 v9, v9, v11, vcc
	v_cndmask_b32_e32 v7, v7, v10, vcc
	s_nop 0
	v_mov_b32_dpp v11, v9 row_bcast:31 row_mask:0xf bank_mask:0xf
	v_mov_b32_dpp v10, v7 row_bcast:31 row_mask:0xf bank_mask:0xf
	v_cmp_gt_f32_e32 vcc, v11, v9
	v_cndmask_b32_e32 v7, v7, v10, vcc
	v_readlane_b32 s8, v7, 63
	s_ashr_i32 s9, s8, 31
	s_lshl_b64 s[10:11], s[8:9], 1
	s_add_u32 s10, s16, s10
	s_addc_u32 s11, s17, s11
	global_load_ushort v7, v4, s[10:11]
	v_cndmask_b32_e32 v9, v9, v11, vcc
	v_readlane_b32 s9, v9, 63
	v_mov_b32_e32 v9, s8
	s_lshl_b32 s8, s8, 2
	v_cmp_eq_u32_e32 vcc, s12, v0
	s_add_i32 s12, s12, 1
	s_add_i32 s8, s8, 0
	v_cndmask_b32_e32 v1, v1, v9, vcc
	v_mov_b32_e32 v9, s8
	s_cmp_eq_u32 s12, s13
	ds_write_b32 v9, v5
	s_waitcnt vmcnt(0)
	v_cvt_f32_f16_e32 v7, v7
	v_sub_f32_e32 v7, s9, v7
	v_cndmask_b32_e32 v2, v2, v7, vcc
	v_add_f32_e32 v3, v3, v7
	s_cbranch_scc1 .LBB5_28
.LBB5_23:                               ; =>This Loop Header: Depth=1
                                        ;     Child Loop BB5_25 Depth 2
	v_mov_b32_e32 v7, s12
	v_mov_b32_e32 v9, 0xff800000
	s_and_saveexec_b64 s[8:9], s[0:1]
	s_cbranch_execz .LBB5_22
; %bb.24:                               ;   in Loop: Header=BB5_23 Depth=1
	s_load_dword s14, s[2:3], 0xc
	s_mov_b64 s[10:11], 0
	v_mov_b32_e32 v7, s12
	v_mov_b32_e32 v9, 0xff800000
	;; [unrolled: 1-line block ×3, first 2 shown]
	s_waitcnt lgkmcnt(0)
	s_and_b32 s14, s14, 0xffff
	s_lshl_b32 s15, s14, 2
	s_lshl_b32 s22, s14, 4
	v_mov_b32_e32 v11, v6
	v_mov_b32_e32 v12, v0
.LBB5_25:                               ;   Parent Loop BB5_23 Depth=1
                                        ; =>  This Inner Loop Header: Depth=2
	ds_read_b128 v[14:17], v10
	v_add_u32_e32 v12, s14, v12
	v_cmp_le_i32_e32 vcc, s7, v12
	s_or_b64 s[10:11], vcc, s[10:11]
	v_add_u32_e32 v13, 1, v11
	s_waitcnt lgkmcnt(0)
	v_cmp_gt_f32_e32 vcc, v14, v9
	v_cndmask_b32_e32 v9, v9, v14, vcc
	v_cndmask_b32_e32 v7, v7, v11, vcc
	v_cmp_gt_f32_e32 vcc, v15, v9
	v_cndmask_b32_e32 v9, v9, v15, vcc
	v_cndmask_b32_e32 v7, v7, v13, vcc
	v_cmp_gt_f32_e32 vcc, v16, v9
	v_add_u32_e32 v18, 2, v11
	v_cndmask_b32_e32 v9, v9, v16, vcc
	v_add_u32_e32 v19, 3, v11
	v_cndmask_b32_e32 v7, v7, v18, vcc
	v_cmp_gt_f32_e32 vcc, v17, v9
	v_add_u32_e32 v10, s22, v10
	v_add_u32_e32 v11, s15, v11
	v_cndmask_b32_e32 v9, v9, v17, vcc
	v_cndmask_b32_e32 v7, v7, v19, vcc
	s_andn2_b64 exec, exec, s[10:11]
	s_cbranch_execnz .LBB5_25
; %bb.26:                               ;   in Loop: Header=BB5_23 Depth=1
	s_or_b64 exec, exec, s[10:11]
	s_branch .LBB5_22
.LBB5_27:
	v_mov_b32_e32 v3, 0
                                        ; implicit-def: $vgpr2
                                        ; implicit-def: $vgpr1
.LBB5_28:
	v_cmp_gt_i32_e32 vcc, s13, v0
	s_and_saveexec_b64 s[0:1], vcc
	s_cbranch_execz .LBB5_31
; %bb.29:
	s_load_dword s7, s[4:5], 0x38
	s_load_dwordx2 s[0:1], s[4:5], 0x20
	s_load_dword s8, s[4:5], 0x4c
	s_waitcnt lgkmcnt(0)
	v_div_scale_f32 v4, s[2:3], v3, v3, s7
	v_rcp_f32_e32 v5, v4
	v_div_scale_f32 v6, vcc, s7, v3, s7
	s_ashr_i32 s2, s6, 31
	v_fma_f32 v7, -v4, v5, 1.0
	v_fmac_f32_e32 v5, v7, v5
	v_mul_f32_e32 v7, v6, v5
	v_fma_f32 v8, -v4, v7, v6
	v_fmac_f32_e32 v7, v8, v5
	v_fma_f32 v4, -v4, v7, v6
	s_mul_i32 s1, s6, s1
	s_mul_hi_u32 s3, s6, s0
	v_div_fmas_f32 v4, v4, v5, v7
	s_add_i32 s1, s3, s1
	s_mul_i32 s2, s2, s0
	v_div_fixup_f32 v3, v4, v3, s7
	s_add_i32 s4, s1, s2
	v_mul_f32_e32 v2, v3, v2
	s_mul_i32 s2, s6, s0
	s_and_b32 s3, s8, 0xffff
	s_mov_b64 s[0:1], 0
	v_mov_b32_e32 v3, s4
	v_mov_b32_e32 v4, s19
	;; [unrolled: 1-line block ×3, first 2 shown]
.LBB5_30:                               ; =>This Inner Loop Header: Depth=1
	v_ashrrev_i32_e32 v7, 31, v0
	v_add_co_u32_e32 v6, vcc, s2, v0
	v_addc_co_u32_e32 v7, vcc, v3, v7, vcc
	v_add_u32_e32 v0, s3, v0
	v_cmp_le_i32_e32 vcc, s13, v0
	v_lshlrev_b64 v[6:7], 2, v[6:7]
	s_or_b64 s[0:1], vcc, s[0:1]
	v_add_co_u32_e32 v8, vcc, s18, v6
	v_addc_co_u32_e32 v9, vcc, v4, v7, vcc
	v_add_co_u32_e32 v6, vcc, s20, v6
	v_addc_co_u32_e32 v7, vcc, v5, v7, vcc
	global_store_dword v[8:9], v2, off
	global_store_dword v[6:7], v1, off
	s_andn2_b64 exec, exec, s[0:1]
	s_cbranch_execnz .LBB5_30
.LBB5_31:
	s_endpgm
	.section	.rodata,"a",@progbits
	.p2align	6, 0x0
	.amdhsa_kernel _ZN5aiter19grouped_topk_kernelIN3c104HalfEDv4_fLi8ELb1ELb1ELb0EEEvPT_PKS4_PfPimiiiif
		.amdhsa_group_segment_fixed_size 0
		.amdhsa_private_segment_fixed_size 0
		.amdhsa_kernarg_size 320
		.amdhsa_user_sgpr_count 6
		.amdhsa_user_sgpr_private_segment_buffer 1
		.amdhsa_user_sgpr_dispatch_ptr 0
		.amdhsa_user_sgpr_queue_ptr 0
		.amdhsa_user_sgpr_kernarg_segment_ptr 1
		.amdhsa_user_sgpr_dispatch_id 0
		.amdhsa_user_sgpr_flat_scratch_init 0
		.amdhsa_user_sgpr_kernarg_preload_length 0
		.amdhsa_user_sgpr_kernarg_preload_offset 0
		.amdhsa_user_sgpr_private_segment_size 0
		.amdhsa_uses_dynamic_stack 0
		.amdhsa_system_sgpr_private_segment_wavefront_offset 0
		.amdhsa_system_sgpr_workgroup_id_x 1
		.amdhsa_system_sgpr_workgroup_id_y 0
		.amdhsa_system_sgpr_workgroup_id_z 0
		.amdhsa_system_sgpr_workgroup_info 0
		.amdhsa_system_vgpr_workitem_id 0
		.amdhsa_next_free_vgpr 38
		.amdhsa_next_free_sgpr 35
		.amdhsa_accum_offset 40
		.amdhsa_reserve_vcc 1
		.amdhsa_reserve_flat_scratch 0
		.amdhsa_float_round_mode_32 0
		.amdhsa_float_round_mode_16_64 0
		.amdhsa_float_denorm_mode_32 3
		.amdhsa_float_denorm_mode_16_64 3
		.amdhsa_dx10_clamp 1
		.amdhsa_ieee_mode 1
		.amdhsa_fp16_overflow 0
		.amdhsa_tg_split 0
		.amdhsa_exception_fp_ieee_invalid_op 0
		.amdhsa_exception_fp_denorm_src 0
		.amdhsa_exception_fp_ieee_div_zero 0
		.amdhsa_exception_fp_ieee_overflow 0
		.amdhsa_exception_fp_ieee_underflow 0
		.amdhsa_exception_fp_ieee_inexact 0
		.amdhsa_exception_int_div_zero 0
	.end_amdhsa_kernel
	.section	.text._ZN5aiter19grouped_topk_kernelIN3c104HalfEDv4_fLi8ELb1ELb1ELb0EEEvPT_PKS4_PfPimiiiif,"axG",@progbits,_ZN5aiter19grouped_topk_kernelIN3c104HalfEDv4_fLi8ELb1ELb1ELb0EEEvPT_PKS4_PfPimiiiif,comdat
.Lfunc_end5:
	.size	_ZN5aiter19grouped_topk_kernelIN3c104HalfEDv4_fLi8ELb1ELb1ELb0EEEvPT_PKS4_PfPimiiiif, .Lfunc_end5-_ZN5aiter19grouped_topk_kernelIN3c104HalfEDv4_fLi8ELb1ELb1ELb0EEEvPT_PKS4_PfPimiiiif
                                        ; -- End function
	.section	.AMDGPU.csdata,"",@progbits
; Kernel info:
; codeLenInByte = 2908
; NumSgprs: 39
; NumVgprs: 38
; NumAgprs: 0
; TotalNumVgprs: 38
; ScratchSize: 0
; MemoryBound: 0
; FloatMode: 240
; IeeeMode: 1
; LDSByteSize: 0 bytes/workgroup (compile time only)
; SGPRBlocks: 4
; VGPRBlocks: 4
; NumSGPRsForWavesPerEU: 39
; NumVGPRsForWavesPerEU: 38
; AccumOffset: 40
; Occupancy: 8
; WaveLimiterHint : 0
; COMPUTE_PGM_RSRC2:SCRATCH_EN: 0
; COMPUTE_PGM_RSRC2:USER_SGPR: 6
; COMPUTE_PGM_RSRC2:TRAP_HANDLER: 0
; COMPUTE_PGM_RSRC2:TGID_X_EN: 1
; COMPUTE_PGM_RSRC2:TGID_Y_EN: 0
; COMPUTE_PGM_RSRC2:TGID_Z_EN: 0
; COMPUTE_PGM_RSRC2:TIDIG_COMP_CNT: 0
; COMPUTE_PGM_RSRC3_GFX90A:ACCUM_OFFSET: 9
; COMPUTE_PGM_RSRC3_GFX90A:TG_SPLIT: 0
	.section	.text._ZN5aiter19grouped_topk_kernelIN3c108BFloat16EDv4_fLi8ELb1ELb1ELb0EEEvPT_PKS4_PfPimiiiif,"axG",@progbits,_ZN5aiter19grouped_topk_kernelIN3c108BFloat16EDv4_fLi8ELb1ELb1ELb0EEEvPT_PKS4_PfPimiiiif,comdat
	.protected	_ZN5aiter19grouped_topk_kernelIN3c108BFloat16EDv4_fLi8ELb1ELb1ELb0EEEvPT_PKS4_PfPimiiiif ; -- Begin function _ZN5aiter19grouped_topk_kernelIN3c108BFloat16EDv4_fLi8ELb1ELb1ELb0EEEvPT_PKS4_PfPimiiiif
	.globl	_ZN5aiter19grouped_topk_kernelIN3c108BFloat16EDv4_fLi8ELb1ELb1ELb0EEEvPT_PKS4_PfPimiiiif
	.p2align	8
	.type	_ZN5aiter19grouped_topk_kernelIN3c108BFloat16EDv4_fLi8ELb1ELb1ELb0EEEvPT_PKS4_PfPimiiiif,@function
_ZN5aiter19grouped_topk_kernelIN3c108BFloat16EDv4_fLi8ELb1ELb1ELb0EEEvPT_PKS4_PfPimiiiif: ; @_ZN5aiter19grouped_topk_kernelIN3c108BFloat16EDv4_fLi8ELb1ELb1ELb0EEEvPT_PKS4_PfPimiiiif
; %bb.0:
	s_load_dwordx4 s[12:15], s[4:5], 0x28
	s_load_dwordx4 s[16:19], s[4:5], 0x8
	s_load_dwordx2 s[20:21], s[4:5], 0x18
	v_lshl_add_u32 v8, v0, 4, 0
	s_waitcnt lgkmcnt(0)
	s_ashr_i32 s26, s12, 31
	s_lshr_b32 s0, s26, 30
	s_add_i32 s0, s12, s0
	s_ashr_i32 s7, s0, 2
	v_cmp_gt_i32_e64 s[0:1], s7, v0
	s_and_saveexec_b64 s[22:23], s[0:1]
	s_cbranch_execz .LBB6_3
; %bb.1:
	s_load_dwordx2 s[2:3], s[4:5], 0x0
	s_load_dword s10, s[4:5], 0x4c
	s_mul_i32 s8, s6, s12
	s_ashr_i32 s9, s8, 31
	s_lshl_b64 s[8:9], s[8:9], 1
	s_waitcnt lgkmcnt(0)
	s_add_u32 s15, s2, s8
	s_addc_u32 s2, s3, s9
	s_and_b32 s27, s10, 0xffff
	s_mov_b32 s3, 0
	v_lshlrev_b32_e32 v2, 3, v0
	v_mov_b32_e32 v1, 0
	s_lshl_b32 s28, s27, 3
	v_lshl_add_u32 v3, v0, 4, 0
	s_lshl_b32 s29, s27, 4
	s_mov_b64 s[24:25], 0
	v_mov_b32_e32 v9, s2
	v_mov_b32_e32 v10, s17
	s_mov_b32 s30, 0xbfb8aa3b
	s_mov_b32 s31, 0x42ce8ed0
	;; [unrolled: 1-line block ×3, first 2 shown]
	v_mov_b32_e32 v11, 0x7f800000
	v_mov_b32_e32 v12, s3
	;; [unrolled: 1-line block ×3, first 2 shown]
.LBB6_2:                                ; =>This Inner Loop Header: Depth=1
	v_add_co_u32_e32 v4, vcc, s15, v2
	v_addc_co_u32_e32 v5, vcc, v9, v1, vcc
	v_add_co_u32_e32 v6, vcc, s16, v2
	v_addc_co_u32_e32 v7, vcc, v10, v1, vcc
	global_load_dwordx2 v[14:15], v[4:5], off
	global_load_dwordx2 v[16:17], v[6:7], off
	v_add_co_u32_e32 v2, vcc, s28, v2
	v_add_u32_e32 v13, s27, v13
	v_addc_co_u32_e32 v1, vcc, v1, v12, vcc
	v_cmp_le_i32_e32 vcc, s7, v13
	s_or_b64 s[24:25], vcc, s[24:25]
	s_waitcnt vmcnt(1)
	v_cvt_f32_u32_sdwa v18, v14 dst_sel:DWORD dst_unused:UNUSED_PAD src0_sel:WORD_0
	v_cvt_f32_u32_sdwa v14, v14 dst_sel:DWORD dst_unused:UNUSED_PAD src0_sel:WORD_1
	s_waitcnt vmcnt(0)
	v_cvt_f32_u32_sdwa v5, v16 dst_sel:DWORD dst_unused:UNUSED_PAD src0_sel:WORD_1
	v_cvt_f32_u32_sdwa v4, v16 dst_sel:DWORD dst_unused:UNUSED_PAD src0_sel:WORD_0
	v_cvt_f32_u32_sdwa v16, v15 dst_sel:DWORD dst_unused:UNUSED_PAD src0_sel:WORD_0
	v_cvt_f32_u32_sdwa v15, v15 dst_sel:DWORD dst_unused:UNUSED_PAD src0_sel:WORD_1
	v_cvt_f32_u32_sdwa v7, v17 dst_sel:DWORD dst_unused:UNUSED_PAD src0_sel:WORD_1
	v_cvt_f32_u32_sdwa v6, v17 dst_sel:DWORD dst_unused:UNUSED_PAD src0_sel:WORD_0
	v_mul_f32_e32 v17, 0xbfb8aa3b, v14
	v_mul_f32_e32 v19, 0xbfb8aa3b, v18
	;; [unrolled: 1-line block ×3, first 2 shown]
	v_fma_f32 v22, v14, s30, -v17
	v_rndne_f32_e32 v23, v17
	v_fma_f32 v24, v18, s30, -v19
	v_rndne_f32_e32 v25, v19
	v_mul_f32_e32 v21, 0xbfb8aa3b, v16
	v_fma_f32 v26, v15, s30, -v20
	v_rndne_f32_e32 v27, v20
	v_fmac_f32_e32 v22, 0xb2a5705f, v14
	v_sub_f32_e32 v17, v17, v23
	v_fmac_f32_e32 v24, 0xb2a5705f, v18
	v_sub_f32_e32 v19, v19, v25
	v_fma_f32 v28, v16, s30, -v21
	v_rndne_f32_e32 v29, v21
	v_fmac_f32_e32 v26, 0xb2a5705f, v15
	v_sub_f32_e32 v20, v20, v27
	v_add_f32_e32 v17, v17, v22
	v_add_f32_e32 v19, v19, v24
	v_cvt_i32_f32_e32 v23, v23
	v_cvt_i32_f32_e32 v25, v25
	v_fmac_f32_e32 v28, 0xb2a5705f, v16
	v_sub_f32_e32 v21, v21, v29
	v_add_f32_e32 v20, v20, v26
	v_exp_f32_e32 v17, v17
	v_exp_f32_e32 v19, v19
	v_cvt_i32_f32_e32 v27, v27
	v_add_f32_e32 v21, v21, v28
	v_exp_f32_e32 v20, v20
	v_cvt_i32_f32_e32 v29, v29
	v_exp_f32_e32 v21, v21
	v_ldexp_f32 v17, v17, v23
	v_ldexp_f32 v19, v19, v25
	v_cmp_nlt_f32_e32 vcc, s31, v18
	v_cmp_nlt_f32_e64 s[10:11], s31, v14
	v_ldexp_f32 v20, v20, v27
	v_cmp_nlt_f32_e64 s[2:3], s31, v15
	v_cndmask_b32_e64 v17, 0, v17, s[10:11]
	v_cndmask_b32_e32 v19, 0, v19, vcc
	v_cmp_ngt_f32_e32 vcc, s33, v18
	v_cmp_ngt_f32_e64 s[10:11], s33, v14
	v_ldexp_f32 v21, v21, v29
	v_cmp_nlt_f32_e64 s[8:9], s31, v16
	v_cndmask_b32_e64 v18, 0, v20, s[2:3]
	v_cmp_ngt_f32_e64 s[2:3], s33, v15
	v_cndmask_b32_e64 v15, v11, v17, s[10:11]
	v_cndmask_b32_e32 v14, v11, v19, vcc
	v_cndmask_b32_e64 v20, 0, v21, s[8:9]
	v_cmp_ngt_f32_e64 s[8:9], s33, v16
	v_pk_add_f32 v[14:15], v[14:15], 1.0 op_sel_hi:[1,0]
	v_cndmask_b32_e64 v17, v11, v18, s[2:3]
	v_cndmask_b32_e64 v16, v11, v20, s[8:9]
	v_div_scale_f32 v18, s[2:3], v15, v15, 1.0
	v_pk_add_f32 v[16:17], v[16:17], 1.0 op_sel_hi:[1,0]
	v_div_scale_f32 v20, s[2:3], v14, v14, 1.0
	v_rcp_f32_e32 v26, v18
	v_div_scale_f32 v22, s[8:9], v17, v17, 1.0
	v_rcp_f32_e32 v27, v20
	;; [unrolled: 2-line block ×3, first 2 shown]
	v_rcp_f32_e32 v29, v24
	v_fma_f32 v30, -v18, v26, 1.0
	v_div_scale_f32 v19, vcc, 1.0, v15, 1.0
	v_fma_f32 v31, -v20, v27, 1.0
	v_fmac_f32_e32 v26, v30, v26
	v_div_scale_f32 v21, s[2:3], 1.0, v14, 1.0
	v_fma_f32 v32, -v22, v28, 1.0
	v_fmac_f32_e32 v27, v31, v27
	v_mul_f32_e32 v30, v19, v26
	v_div_scale_f32 v23, s[8:9], 1.0, v17, 1.0
	v_fma_f32 v33, -v24, v29, 1.0
	v_fmac_f32_e32 v28, v32, v28
	v_mul_f32_e32 v31, v21, v27
	v_fma_f32 v34, -v18, v30, v19
	v_div_scale_f32 v25, s[10:11], 1.0, v16, 1.0
	v_fmac_f32_e32 v29, v33, v29
	v_mul_f32_e32 v32, v23, v28
	v_fma_f32 v35, -v20, v31, v21
	v_fmac_f32_e32 v30, v34, v26
	v_mul_f32_e32 v33, v25, v29
	v_fma_f32 v36, -v22, v32, v23
	v_fmac_f32_e32 v31, v35, v27
	v_fma_f32 v18, -v18, v30, v19
	v_fma_f32 v37, -v24, v33, v25
	v_fmac_f32_e32 v32, v36, v28
	v_fma_f32 v19, -v20, v31, v21
	v_div_fmas_f32 v18, v18, v26, v30
	s_mov_b64 vcc, s[2:3]
	v_fmac_f32_e32 v33, v37, v29
	v_fma_f32 v20, -v22, v32, v23
	v_div_fixup_f32 v15, v18, v15, 1.0
	v_div_fmas_f32 v18, v19, v27, v31
	s_mov_b64 vcc, s[8:9]
	v_fma_f32 v21, -v24, v33, v25
	v_div_fixup_f32 v14, v18, v14, 1.0
	v_div_fmas_f32 v18, v20, v28, v32
	s_mov_b64 vcc, s[10:11]
	v_div_fixup_f32 v17, v18, v17, 1.0
	v_div_fmas_f32 v18, v21, v29, v33
	v_div_fixup_f32 v16, v18, v16, 1.0
	v_pk_add_f32 v[4:5], v[14:15], v[4:5]
	v_pk_add_f32 v[6:7], v[16:17], v[6:7]
	ds_write_b128 v3, v[4:7]
	v_add_u32_e32 v3, s29, v3
	s_andn2_b64 exec, exec, s[24:25]
	s_cbranch_execnz .LBB6_2
.LBB6_3:
	s_or_b64 exec, exec, s[22:23]
	s_lshr_b32 s2, s26, 29
	s_add_i32 s2, s12, s2
	s_ashr_i32 s28, s2, 3
	s_lshl_b32 s2, s12, 2
	s_add_i32 s15, s2, 0
	v_cmp_gt_u32_e32 vcc, 64, v0
	s_waitcnt lgkmcnt(0)
	s_barrier
	s_and_saveexec_b64 s[10:11], vcc
	s_cbranch_execz .LBB6_12
; %bb.4:
	s_load_dword s8, s[4:5], 0x4c
	v_lshrrev_b32_e32 v2, 3, v0
	s_lshr_b32 s2, s26, 27
	v_and_b32_e32 v1, 7, v0
	s_add_i32 s2, s12, s2
	s_waitcnt lgkmcnt(0)
	s_bfe_u32 s29, s8, 0xd0003
	v_mul_lo_u32 v3, s28, v2
	s_ashr_i32 s12, s2, 5
	v_lshlrev_b32_e32 v3, 2, v3
	v_lshlrev_b32_e32 v4, 4, v1
	s_mul_i32 s8, s28, s29
	v_cmp_gt_i32_e32 vcc, s12, v1
	v_cmp_eq_u32_e64 s[2:3], 0, v1
	v_add3_u32 v3, v3, v4, 0
	s_lshl_b32 s30, s8, 2
	s_mov_b64 s[22:23], 0
	s_branch .LBB6_6
.LBB6_5:                                ;   in Loop: Header=BB6_6 Depth=1
	s_or_b64 exec, exec, s[24:25]
	v_add_u32_e32 v2, s29, v2
	v_cmp_lt_u32_e64 s[8:9], 7, v2
	s_or_b64 s[22:23], s[8:9], s[22:23]
	v_add_u32_e32 v3, s30, v3
	s_andn2_b64 exec, exec, s[22:23]
	s_cbranch_execz .LBB6_12
.LBB6_6:                                ; =>This Loop Header: Depth=1
                                        ;     Child Loop BB6_8 Depth 2
	v_mov_b32_e32 v4, 0xff800000
	v_mov_b32_e32 v7, 0xff800000
	s_and_saveexec_b64 s[24:25], vcc
	s_cbranch_execz .LBB6_10
; %bb.7:                                ;   in Loop: Header=BB6_6 Depth=1
	s_mov_b64 s[26:27], 0
	v_mov_b32_e32 v4, 0xff800000
	v_mov_b32_e32 v5, v3
	;; [unrolled: 1-line block ×4, first 2 shown]
.LBB6_8:                                ;   Parent Loop BB6_6 Depth=1
                                        ; =>  This Inner Loop Header: Depth=2
	ds_read_b128 v[10:13], v5
	v_add_u32_e32 v6, 8, v6
	v_max_f32_e32 v7, v7, v7
	v_cmp_le_i32_e64 s[8:9], s12, v6
	s_or_b64 s[26:27], s[8:9], s[26:27]
	s_waitcnt lgkmcnt(0)
	v_max_f32_e32 v14, v10, v10
	v_max_f32_e32 v7, v14, v7
	v_cmp_gt_f32_e64 s[8:9], v10, v4
	v_max_f32_e32 v9, v4, v4
	v_cndmask_b32_e64 v4, v7, v4, s[8:9]
	v_max_f32_e32 v15, v11, v11
	v_max_f32_e32 v9, v14, v9
	;; [unrolled: 1-line block ×4, first 2 shown]
	v_cmp_gt_f32_e64 s[8:9], v11, v9
	v_max_f32_e32 v16, v12, v12
	v_max_f32_e32 v7, v15, v9
	v_cndmask_b32_e64 v9, v14, v9, s[8:9]
	v_max_f32_e32 v9, v16, v9
	v_cmp_gt_f32_e64 s[8:9], v12, v7
	v_max_f32_e32 v17, v13, v13
	v_max_f32_e32 v10, v16, v7
	v_cndmask_b32_e64 v7, v9, v7, s[8:9]
	v_max_f32_e32 v7, v17, v7
	v_cmp_gt_f32_e64 s[8:9], v13, v10
	v_add_u32_e32 v5, 0x80, v5
	v_max_f32_e32 v4, v17, v10
	v_cndmask_b32_e64 v7, v7, v10, s[8:9]
	s_andn2_b64 exec, exec, s[26:27]
	s_cbranch_execnz .LBB6_8
; %bb.9:                                ;   in Loop: Header=BB6_6 Depth=1
	s_or_b64 exec, exec, s[26:27]
.LBB6_10:                               ;   in Loop: Header=BB6_6 Depth=1
	s_or_b64 exec, exec, s[24:25]
	v_mov_b32_dpp v5, v4 quad_perm:[1,0,3,2] row_mask:0xf bank_mask:0xf bound_ctrl:1
	v_mov_b32_dpp v6, v7 quad_perm:[1,0,3,2] row_mask:0xf bank_mask:0xf bound_ctrl:1
	v_max_f32_e32 v9, v5, v5
	v_max_f32_e32 v7, v7, v7
	v_max_f32_e32 v7, v9, v7
	v_cmp_lt_f32_e64 s[8:9], v4, v5
	v_cndmask_b32_e64 v5, v7, v4, s[8:9]
	v_max_f32_e32 v4, v4, v4
	v_max_f32_e32 v4, v9, v4
	;; [unrolled: 1-line block ×5, first 2 shown]
	s_nop 0
	v_mov_b32_dpp v6, v4 quad_perm:[2,3,0,1] row_mask:0xf bank_mask:0xf bound_ctrl:1
	v_max_f32_e32 v9, v6, v6
	v_mov_b32_dpp v7, v5 quad_perm:[2,3,0,1] row_mask:0xf bank_mask:0xf bound_ctrl:1
	v_max_f32_e32 v5, v9, v5
	v_cmp_lt_f32_e64 s[8:9], v4, v6
	v_cndmask_b32_e64 v5, v5, v4, s[8:9]
	v_max_f32_e32 v6, v7, v7
	v_max_f32_e32 v4, v9, v4
	;; [unrolled: 1-line block ×3, first 2 shown]
	s_nop 0
	v_mov_b32_dpp v6, v4 row_half_mirror row_mask:0xf bank_mask:0xf bound_ctrl:1
	v_mov_b32_dpp v5, v7 row_half_mirror row_mask:0xf bank_mask:0xf bound_ctrl:1
	s_and_saveexec_b64 s[24:25], s[2:3]
	s_cbranch_execz .LBB6_5
; %bb.11:                               ;   in Loop: Header=BB6_6 Depth=1
	v_max_f32_e32 v7, v7, v7
	v_max_f32_e32 v10, v6, v6
	;; [unrolled: 1-line block ×3, first 2 shown]
	v_cmp_lt_f32_e64 s[8:9], v4, v6
	v_cndmask_b32_e64 v6, v7, v4, s[8:9]
	v_max_f32_e32 v6, v6, v6
	v_max_f32_e32 v5, v5, v5
	;; [unrolled: 1-line block ×5, first 2 shown]
	v_lshl_add_u32 v9, v2, 2, s15
	v_add_f32_e32 v4, v4, v5
	ds_write_b32 v9, v4
	s_branch .LBB6_5
.LBB6_12:
	s_or_b64 exec, exec, s[10:11]
	s_cmp_lt_i32 s14, 1
	s_waitcnt lgkmcnt(0)
	s_barrier
	s_cbranch_scc1 .LBB6_15
; %bb.13:
	v_mov_b32_e32 v1, s15
	s_mov_b32 s2, 0xff800000
	v_mov_b32_e32 v2, 0xff800000
.LBB6_14:                               ; =>This Inner Loop Header: Depth=1
	ds_read2_b32 v[4:5], v1 offset1:1
	ds_read2_b32 v[6:7], v1 offset0:2 offset1:3
	ds_read2_b32 v[10:11], v1 offset0:4 offset1:5
	;; [unrolled: 1-line block ×3, first 2 shown]
	s_waitcnt lgkmcnt(3)
	v_cmp_nlg_f32_e32 vcc, s2, v4
	v_cndmask_b32_e64 v3, 0, 1, vcc
	v_cmp_lg_f32_e32 vcc, s2, v4
	v_readfirstlane_b32 s3, v3
	v_cndmask_b32_e32 v3, v2, v4, vcc
	v_cmp_gt_f32_e32 vcc, v5, v3
	s_lshl_b32 s3, s3, 3
	v_cndmask_b32_e32 v3, v3, v5, vcc
	s_and_b64 s[8:9], vcc, exec
	s_waitcnt lgkmcnt(2)
	v_cmp_gt_f32_e32 vcc, v6, v3
	v_cndmask_b32_e32 v3, v3, v6, vcc
	s_cselect_b32 s3, 1, s3
	s_and_b64 s[8:9], vcc, exec
	v_cmp_gt_f32_e32 vcc, v7, v3
	v_cndmask_b32_e32 v3, v3, v7, vcc
	s_cselect_b32 s3, 2, s3
	s_and_b64 s[8:9], vcc, exec
	s_waitcnt lgkmcnt(1)
	v_cmp_gt_f32_e32 vcc, v10, v3
	v_cndmask_b32_e32 v3, v3, v10, vcc
	s_cselect_b32 s3, 3, s3
	s_and_b64 s[8:9], vcc, exec
	v_cmp_gt_f32_e32 vcc, v11, v3
	v_cndmask_b32_e32 v3, v3, v11, vcc
	s_cselect_b32 s3, 4, s3
	s_and_b64 s[8:9], vcc, exec
	s_waitcnt lgkmcnt(0)
	v_cmp_gt_f32_e32 vcc, v12, v3
	v_cndmask_b32_e32 v3, v3, v12, vcc
	s_cselect_b32 s3, 5, s3
	s_and_b64 s[8:9], vcc, exec
	v_cmp_ngt_f32_e32 vcc, v13, v3
	s_cselect_b32 s3, 6, s3
	s_and_b64 s[8:9], vcc, exec
	s_cselect_b32 s3, s3, 7
	s_lshl_b32 s3, s3, 2
	s_add_i32 s3, s15, s3
	s_add_i32 s14, s14, -1
	v_mov_b32_e32 v3, s3
	s_cmp_lg_u32 s14, 0
	ds_write_b32 v3, v2
	s_cbranch_scc1 .LBB6_14
.LBB6_15:
	v_lshlrev_b32_e32 v6, 2, v0
	s_and_saveexec_b64 s[2:3], s[0:1]
	s_cbranch_execz .LBB6_20
; %bb.16:
	s_abs_i32 s12, s28
	v_cvt_f32_u32_e32 v2, s12
	s_load_dword s10, s[4:5], 0x4c
	s_sub_i32 s11, 0, s12
	s_ashr_i32 s14, s28, 31
	v_rcp_iflag_f32_e32 v2, v2
	v_lshlrev_b32_e32 v1, 2, v0
	s_waitcnt lgkmcnt(0)
	s_and_b32 s22, s10, 0xffff
	v_lshl_add_u32 v7, v0, 4, 0
	v_mul_f32_e32 v2, 0x4f7ffffe, v2
	v_cvt_u32_f32_e32 v2, v2
	s_mov_b64 s[8:9], 0
	s_lshl_b32 s23, s22, 2
	s_lshl_b32 s24, s22, 4
	v_mul_lo_u32 v3, s11, v2
	v_mul_hi_u32 v3, v2, v3
	v_add_u32_e32 v9, v2, v3
	s_mov_b32 s25, 0xff800000
	v_mov_b32_e32 v2, 0xff800000
	v_mov_b32_e32 v10, v0
	s_branch .LBB6_18
.LBB6_17:                               ;   in Loop: Header=BB6_18 Depth=1
	s_or_b64 exec, exec, s[10:11]
	v_add_u32_e32 v10, s22, v10
	v_cmp_le_i32_e32 vcc, s7, v10
	v_add_u32_e32 v1, s23, v1
	s_or_b64 s[8:9], vcc, s[8:9]
	v_add_u32_e32 v7, s24, v7
	s_andn2_b64 exec, exec, s[8:9]
	s_cbranch_execz .LBB6_20
.LBB6_18:                               ; =>This Inner Loop Header: Depth=1
	v_mul_hi_u32 v3, v1, v9
	v_mul_lo_u32 v4, v3, s12
	v_sub_u32_e32 v4, v1, v4
	v_add_u32_e32 v5, 1, v3
	v_cmp_le_u32_e32 vcc, s12, v4
	v_cndmask_b32_e32 v3, v3, v5, vcc
	v_subrev_u32_e32 v5, s12, v4
	v_cndmask_b32_e32 v4, v4, v5, vcc
	v_add_u32_e32 v5, 1, v3
	v_cmp_le_u32_e32 vcc, s12, v4
	v_cndmask_b32_e32 v3, v3, v5, vcc
	v_xor_b32_e32 v3, s14, v3
	v_subrev_u32_e32 v3, s14, v3
	v_lshl_add_u32 v3, v3, 2, s15
	ds_read_b32 v3, v3
	s_waitcnt lgkmcnt(0)
	v_cmp_neq_f32_e32 vcc, s25, v3
	s_and_saveexec_b64 s[10:11], vcc
	s_cbranch_execz .LBB6_17
; %bb.19:                               ;   in Loop: Header=BB6_18 Depth=1
	v_mov_b32_e32 v3, v2
	v_mov_b32_e32 v4, v2
	;; [unrolled: 1-line block ×3, first 2 shown]
	ds_write_b128 v7, v[2:5]
	s_branch .LBB6_17
.LBB6_20:
	s_or_b64 exec, exec, s[2:3]
	s_cmp_lt_i32 s13, 1
	s_waitcnt lgkmcnt(0)
	s_barrier
	s_cbranch_scc1 .LBB6_27
; %bb.21:
	s_add_u32 s2, s4, 64
	s_addc_u32 s3, s5, 0
	s_mov_b32 s12, 0
	v_mov_b32_e32 v4, 0
	v_mov_b32_e32 v5, 0xff800000
	;; [unrolled: 1-line block ×3, first 2 shown]
                                        ; implicit-def: $vgpr2
                                        ; implicit-def: $vgpr1
	s_branch .LBB6_23
.LBB6_22:                               ;   in Loop: Header=BB6_23 Depth=1
	s_or_b64 exec, exec, s[8:9]
	v_mov_b32_dpp v11, v9 quad_perm:[1,0,3,2] row_mask:0xf bank_mask:0xf
	v_cmp_lt_f32_e32 vcc, v9, v11
	v_cndmask_b32_e32 v9, v9, v11, vcc
	v_mov_b32_dpp v10, v7 quad_perm:[1,0,3,2] row_mask:0xf bank_mask:0xf
	v_cndmask_b32_e32 v7, v7, v10, vcc
	v_mov_b32_dpp v11, v9 quad_perm:[2,3,0,1] row_mask:0xf bank_mask:0xf
	v_cmp_gt_f32_e32 vcc, v11, v9
	v_cndmask_b32_e32 v9, v9, v11, vcc
	v_mov_b32_dpp v10, v7 quad_perm:[2,3,0,1] row_mask:0xf bank_mask:0xf
	v_cndmask_b32_e32 v7, v7, v10, vcc
	v_mov_b32_dpp v11, v9 row_half_mirror row_mask:0xf bank_mask:0xf
	v_cmp_gt_f32_e32 vcc, v11, v9
	v_cndmask_b32_e32 v9, v9, v11, vcc
	v_mov_b32_dpp v10, v7 row_half_mirror row_mask:0xf bank_mask:0xf
	v_cndmask_b32_e32 v7, v7, v10, vcc
	v_mov_b32_dpp v11, v9 row_mirror row_mask:0xf bank_mask:0xf
	v_cmp_gt_f32_e32 vcc, v11, v9
	v_cndmask_b32_e32 v9, v9, v11, vcc
	v_mov_b32_dpp v10, v7 row_mirror row_mask:0xf bank_mask:0xf
	v_cndmask_b32_e32 v7, v7, v10, vcc
	v_mov_b32_dpp v11, v9 row_bcast:15 row_mask:0xf bank_mask:0xf
	v_cmp_gt_f32_e32 vcc, v11, v9
	v_mov_b32_dpp v10, v7 row_bcast:15 row_mask:0xf bank_mask:0xf
	v_cndmask_b32_e32 v9, v9, v11, vcc
	v_cndmask_b32_e32 v7, v7, v10, vcc
	s_nop 0
	v_mov_b32_dpp v11, v9 row_bcast:31 row_mask:0xf bank_mask:0xf
	v_mov_b32_dpp v10, v7 row_bcast:31 row_mask:0xf bank_mask:0xf
	v_cmp_gt_f32_e32 vcc, v11, v9
	v_cndmask_b32_e32 v7, v7, v10, vcc
	v_readlane_b32 s8, v7, 63
	s_ashr_i32 s9, s8, 31
	s_lshl_b64 s[10:11], s[8:9], 1
	s_add_u32 s10, s16, s10
	s_addc_u32 s11, s17, s11
	global_load_ushort v7, v4, s[10:11]
	v_cndmask_b32_e32 v9, v9, v11, vcc
	v_readlane_b32 s9, v9, 63
	v_mov_b32_e32 v9, s8
	s_lshl_b32 s8, s8, 2
	v_cmp_eq_u32_e32 vcc, s12, v0
	s_add_i32 s8, s8, 0
	v_cndmask_b32_e32 v1, v1, v9, vcc
	v_mov_b32_e32 v9, s8
	ds_write_b32 v9, v5
	s_add_i32 s12, s12, 1
	s_cmp_eq_u32 s12, s13
	s_waitcnt vmcnt(0)
	v_and_b32_e32 v9, 0xff, v7
	v_lshlrev_b32_e32 v7, 16, v7
	v_lshlrev_b32_e32 v9, 16, v9
	v_and_b32_e32 v7, 0xff000000, v7
	v_or_b32_e32 v7, v9, v7
	v_sub_f32_e32 v7, s9, v7
	v_cndmask_b32_e32 v2, v2, v7, vcc
	v_add_f32_e32 v3, v3, v7
	s_cbranch_scc1 .LBB6_28
.LBB6_23:                               ; =>This Loop Header: Depth=1
                                        ;     Child Loop BB6_25 Depth 2
	v_mov_b32_e32 v7, s12
	v_mov_b32_e32 v9, 0xff800000
	s_and_saveexec_b64 s[8:9], s[0:1]
	s_cbranch_execz .LBB6_22
; %bb.24:                               ;   in Loop: Header=BB6_23 Depth=1
	s_load_dword s14, s[2:3], 0xc
	s_mov_b64 s[10:11], 0
	v_mov_b32_e32 v7, s12
	v_mov_b32_e32 v9, 0xff800000
	;; [unrolled: 1-line block ×3, first 2 shown]
	s_waitcnt lgkmcnt(0)
	s_and_b32 s14, s14, 0xffff
	s_lshl_b32 s15, s14, 2
	s_lshl_b32 s22, s14, 4
	v_mov_b32_e32 v11, v6
	v_mov_b32_e32 v12, v0
.LBB6_25:                               ;   Parent Loop BB6_23 Depth=1
                                        ; =>  This Inner Loop Header: Depth=2
	ds_read_b128 v[14:17], v10
	v_add_u32_e32 v12, s14, v12
	v_cmp_le_i32_e32 vcc, s7, v12
	s_or_b64 s[10:11], vcc, s[10:11]
	v_add_u32_e32 v13, 1, v11
	s_waitcnt lgkmcnt(0)
	v_cmp_gt_f32_e32 vcc, v14, v9
	v_cndmask_b32_e32 v9, v9, v14, vcc
	v_cndmask_b32_e32 v7, v7, v11, vcc
	v_cmp_gt_f32_e32 vcc, v15, v9
	v_cndmask_b32_e32 v9, v9, v15, vcc
	v_cndmask_b32_e32 v7, v7, v13, vcc
	v_cmp_gt_f32_e32 vcc, v16, v9
	v_add_u32_e32 v18, 2, v11
	v_cndmask_b32_e32 v9, v9, v16, vcc
	v_add_u32_e32 v19, 3, v11
	v_cndmask_b32_e32 v7, v7, v18, vcc
	v_cmp_gt_f32_e32 vcc, v17, v9
	v_add_u32_e32 v10, s22, v10
	v_add_u32_e32 v11, s15, v11
	v_cndmask_b32_e32 v9, v9, v17, vcc
	v_cndmask_b32_e32 v7, v7, v19, vcc
	s_andn2_b64 exec, exec, s[10:11]
	s_cbranch_execnz .LBB6_25
; %bb.26:                               ;   in Loop: Header=BB6_23 Depth=1
	s_or_b64 exec, exec, s[10:11]
	s_branch .LBB6_22
.LBB6_27:
	v_mov_b32_e32 v3, 0
                                        ; implicit-def: $vgpr2
                                        ; implicit-def: $vgpr1
.LBB6_28:
	v_cmp_gt_i32_e32 vcc, s13, v0
	s_and_saveexec_b64 s[0:1], vcc
	s_cbranch_execz .LBB6_31
; %bb.29:
	s_load_dword s7, s[4:5], 0x38
	s_load_dwordx2 s[0:1], s[4:5], 0x20
	s_load_dword s8, s[4:5], 0x4c
	s_waitcnt lgkmcnt(0)
	v_div_scale_f32 v4, s[2:3], v3, v3, s7
	v_rcp_f32_e32 v5, v4
	v_div_scale_f32 v6, vcc, s7, v3, s7
	s_ashr_i32 s2, s6, 31
	v_fma_f32 v7, -v4, v5, 1.0
	v_fmac_f32_e32 v5, v7, v5
	v_mul_f32_e32 v7, v6, v5
	v_fma_f32 v8, -v4, v7, v6
	v_fmac_f32_e32 v7, v8, v5
	v_fma_f32 v4, -v4, v7, v6
	s_mul_i32 s1, s6, s1
	s_mul_hi_u32 s3, s6, s0
	v_div_fmas_f32 v4, v4, v5, v7
	s_add_i32 s1, s3, s1
	s_mul_i32 s2, s2, s0
	v_div_fixup_f32 v3, v4, v3, s7
	s_add_i32 s4, s1, s2
	v_mul_f32_e32 v2, v3, v2
	s_mul_i32 s2, s6, s0
	s_and_b32 s3, s8, 0xffff
	s_mov_b64 s[0:1], 0
	v_mov_b32_e32 v3, s4
	v_mov_b32_e32 v4, s19
	;; [unrolled: 1-line block ×3, first 2 shown]
.LBB6_30:                               ; =>This Inner Loop Header: Depth=1
	v_ashrrev_i32_e32 v7, 31, v0
	v_add_co_u32_e32 v6, vcc, s2, v0
	v_addc_co_u32_e32 v7, vcc, v3, v7, vcc
	v_add_u32_e32 v0, s3, v0
	v_cmp_le_i32_e32 vcc, s13, v0
	v_lshlrev_b64 v[6:7], 2, v[6:7]
	s_or_b64 s[0:1], vcc, s[0:1]
	v_add_co_u32_e32 v8, vcc, s18, v6
	v_addc_co_u32_e32 v9, vcc, v4, v7, vcc
	v_add_co_u32_e32 v6, vcc, s20, v6
	v_addc_co_u32_e32 v7, vcc, v5, v7, vcc
	global_store_dword v[8:9], v2, off
	global_store_dword v[6:7], v1, off
	s_andn2_b64 exec, exec, s[0:1]
	s_cbranch_execnz .LBB6_30
.LBB6_31:
	s_endpgm
	.section	.rodata,"a",@progbits
	.p2align	6, 0x0
	.amdhsa_kernel _ZN5aiter19grouped_topk_kernelIN3c108BFloat16EDv4_fLi8ELb1ELb1ELb0EEEvPT_PKS4_PfPimiiiif
		.amdhsa_group_segment_fixed_size 0
		.amdhsa_private_segment_fixed_size 0
		.amdhsa_kernarg_size 320
		.amdhsa_user_sgpr_count 6
		.amdhsa_user_sgpr_private_segment_buffer 1
		.amdhsa_user_sgpr_dispatch_ptr 0
		.amdhsa_user_sgpr_queue_ptr 0
		.amdhsa_user_sgpr_kernarg_segment_ptr 1
		.amdhsa_user_sgpr_dispatch_id 0
		.amdhsa_user_sgpr_flat_scratch_init 0
		.amdhsa_user_sgpr_kernarg_preload_length 0
		.amdhsa_user_sgpr_kernarg_preload_offset 0
		.amdhsa_user_sgpr_private_segment_size 0
		.amdhsa_uses_dynamic_stack 0
		.amdhsa_system_sgpr_private_segment_wavefront_offset 0
		.amdhsa_system_sgpr_workgroup_id_x 1
		.amdhsa_system_sgpr_workgroup_id_y 0
		.amdhsa_system_sgpr_workgroup_id_z 0
		.amdhsa_system_sgpr_workgroup_info 0
		.amdhsa_system_vgpr_workitem_id 0
		.amdhsa_next_free_vgpr 38
		.amdhsa_next_free_sgpr 34
		.amdhsa_accum_offset 40
		.amdhsa_reserve_vcc 1
		.amdhsa_reserve_flat_scratch 0
		.amdhsa_float_round_mode_32 0
		.amdhsa_float_round_mode_16_64 0
		.amdhsa_float_denorm_mode_32 3
		.amdhsa_float_denorm_mode_16_64 3
		.amdhsa_dx10_clamp 1
		.amdhsa_ieee_mode 1
		.amdhsa_fp16_overflow 0
		.amdhsa_tg_split 0
		.amdhsa_exception_fp_ieee_invalid_op 0
		.amdhsa_exception_fp_denorm_src 0
		.amdhsa_exception_fp_ieee_div_zero 0
		.amdhsa_exception_fp_ieee_overflow 0
		.amdhsa_exception_fp_ieee_underflow 0
		.amdhsa_exception_fp_ieee_inexact 0
		.amdhsa_exception_int_div_zero 0
	.end_amdhsa_kernel
	.section	.text._ZN5aiter19grouped_topk_kernelIN3c108BFloat16EDv4_fLi8ELb1ELb1ELb0EEEvPT_PKS4_PfPimiiiif,"axG",@progbits,_ZN5aiter19grouped_topk_kernelIN3c108BFloat16EDv4_fLi8ELb1ELb1ELb0EEEvPT_PKS4_PfPimiiiif,comdat
.Lfunc_end6:
	.size	_ZN5aiter19grouped_topk_kernelIN3c108BFloat16EDv4_fLi8ELb1ELb1ELb0EEEvPT_PKS4_PfPimiiiif, .Lfunc_end6-_ZN5aiter19grouped_topk_kernelIN3c108BFloat16EDv4_fLi8ELb1ELb1ELb0EEEvPT_PKS4_PfPimiiiif
                                        ; -- End function
	.section	.AMDGPU.csdata,"",@progbits
; Kernel info:
; codeLenInByte = 2932
; NumSgprs: 38
; NumVgprs: 38
; NumAgprs: 0
; TotalNumVgprs: 38
; ScratchSize: 0
; MemoryBound: 0
; FloatMode: 240
; IeeeMode: 1
; LDSByteSize: 0 bytes/workgroup (compile time only)
; SGPRBlocks: 4
; VGPRBlocks: 4
; NumSGPRsForWavesPerEU: 38
; NumVGPRsForWavesPerEU: 38
; AccumOffset: 40
; Occupancy: 8
; WaveLimiterHint : 0
; COMPUTE_PGM_RSRC2:SCRATCH_EN: 0
; COMPUTE_PGM_RSRC2:USER_SGPR: 6
; COMPUTE_PGM_RSRC2:TRAP_HANDLER: 0
; COMPUTE_PGM_RSRC2:TGID_X_EN: 1
; COMPUTE_PGM_RSRC2:TGID_Y_EN: 0
; COMPUTE_PGM_RSRC2:TGID_Z_EN: 0
; COMPUTE_PGM_RSRC2:TIDIG_COMP_CNT: 0
; COMPUTE_PGM_RSRC3_GFX90A:ACCUM_OFFSET: 9
; COMPUTE_PGM_RSRC3_GFX90A:TG_SPLIT: 0
	.section	.text._ZN5aiter19grouped_topk_kernelIfDv4_fLi8ELb1ELb0ELb1EEEvPT_PKS2_PfPimiiiif,"axG",@progbits,_ZN5aiter19grouped_topk_kernelIfDv4_fLi8ELb1ELb0ELb1EEEvPT_PKS2_PfPimiiiif,comdat
	.protected	_ZN5aiter19grouped_topk_kernelIfDv4_fLi8ELb1ELb0ELb1EEEvPT_PKS2_PfPimiiiif ; -- Begin function _ZN5aiter19grouped_topk_kernelIfDv4_fLi8ELb1ELb0ELb1EEEvPT_PKS2_PfPimiiiif
	.globl	_ZN5aiter19grouped_topk_kernelIfDv4_fLi8ELb1ELb0ELb1EEEvPT_PKS2_PfPimiiiif
	.p2align	8
	.type	_ZN5aiter19grouped_topk_kernelIfDv4_fLi8ELb1ELb0ELb1EEEvPT_PKS2_PfPimiiiif,@function
_ZN5aiter19grouped_topk_kernelIfDv4_fLi8ELb1ELb0ELb1EEEvPT_PKS2_PfPimiiiif: ; @_ZN5aiter19grouped_topk_kernelIfDv4_fLi8ELb1ELb0ELb1EEEvPT_PKS2_PfPimiiiif
; %bb.0:
	s_load_dwordx4 s[8:11], s[4:5], 0x28
	s_load_dwordx4 s[12:15], s[4:5], 0x10
	v_mov_b32_e32 v1, 0xff800000
	s_waitcnt lgkmcnt(0)
	v_cmp_gt_i32_e32 vcc, s8, v0
	s_and_saveexec_b64 s[2:3], vcc
	s_cbranch_execz .LBB7_4
; %bb.1:
	s_load_dword s0, s[4:5], 0x4c
	s_load_dwordx2 s[16:17], s[4:5], 0x0
	s_mul_i32 s7, s6, s8
	v_lshl_add_u32 v2, v0, 2, 0
	s_mov_b64 s[18:19], 0
	s_waitcnt lgkmcnt(0)
	s_and_b32 s11, s0, 0xffff
	s_lshl_b32 s20, s11, 2
	v_mov_b32_e32 v1, 0xff800000
	v_mov_b32_e32 v3, s17
	;; [unrolled: 1-line block ×3, first 2 shown]
.LBB7_2:                                ; =>This Inner Loop Header: Depth=1
	v_add_u32_e32 v6, s7, v4
	v_ashrrev_i32_e32 v7, 31, v6
	v_lshlrev_b64 v[6:7], 2, v[6:7]
	v_add_co_u32_e64 v6, s[0:1], s16, v6
	v_addc_co_u32_e64 v7, s[0:1], v3, v7, s[0:1]
	global_load_dword v5, v[6:7], off
	v_add_u32_e32 v4, s11, v4
	v_cmp_le_i32_e64 s[0:1], s8, v4
	s_or_b64 s[18:19], s[0:1], s[18:19]
	s_waitcnt vmcnt(0)
	v_cmp_gt_f32_e64 s[0:1], v5, v1
	ds_write_b32 v2, v5
	v_cndmask_b32_e64 v1, v1, v5, s[0:1]
	v_add_u32_e32 v2, s20, v2
	s_andn2_b64 exec, exec, s[18:19]
	s_cbranch_execnz .LBB7_2
; %bb.3:
	s_or_b64 exec, exec, s[18:19]
.LBB7_4:
	s_or_b64 exec, exec, s[2:3]
	v_mov_b32_dpp v2, v1 quad_perm:[1,0,3,2] row_mask:0xf bank_mask:0xf
	v_cmp_lt_f32_e64 s[0:1], v1, v2
	v_cndmask_b32_e64 v1, v1, v2, s[0:1]
	v_bfrev_b32_e32 v3, 0.5
	s_waitcnt lgkmcnt(0)
	v_mov_b32_dpp v2, v1 quad_perm:[2,3,0,1] row_mask:0xf bank_mask:0xf
	v_cmp_lt_f32_e64 s[0:1], v1, v2
	v_cndmask_b32_e64 v1, v1, v2, s[0:1]
	s_barrier
	s_nop 0
	v_mov_b32_dpp v2, v1 row_half_mirror row_mask:0xf bank_mask:0xf
	v_cmp_lt_f32_e64 s[0:1], v1, v2
	v_cndmask_b32_e64 v1, v1, v2, s[0:1]
	s_nop 1
	v_mov_b32_dpp v2, v1 row_mirror row_mask:0xf bank_mask:0xf
	v_cmp_lt_f32_e64 s[0:1], v1, v2
	v_cndmask_b32_e64 v1, v1, v2, s[0:1]
	s_nop 1
	v_mov_b32_dpp v2, v1 row_bcast:15 row_mask:0xf bank_mask:0xf
	v_cmp_lt_f32_e64 s[0:1], v1, v2
	v_cndmask_b32_e64 v1, v1, v2, s[0:1]
	s_nop 1
	v_mov_b32_dpp v2, v1 row_bcast:31 row_mask:0xf bank_mask:0xf
	v_cmp_lt_f32_e64 s[0:1], v1, v2
	v_cndmask_b32_e64 v2, v1, v2, s[0:1]
	v_mbcnt_lo_u32_b32 v1, -1, 0
	v_mbcnt_hi_u32_b32 v1, -1, v1
	v_lshl_or_b32 v1, v1, 2, v3
	ds_bpermute_b32 v3, v1, v2
	v_mov_b32_e32 v2, 0
	s_and_saveexec_b64 s[2:3], vcc
	s_cbranch_execz .LBB7_8
; %bb.5:
	s_load_dword s0, s[4:5], 0x4c
	v_lshl_add_u32 v4, v0, 2, 0
	s_mov_b64 s[16:17], 0
	v_mov_b32_e32 v2, 0
	s_mov_b32 s7, 0x3fb8aa3b
	s_waitcnt lgkmcnt(0)
	s_and_b32 s11, s0, 0xffff
	s_lshl_b32 s18, s11, 2
	s_mov_b32 s19, 0xc2ce8ed0
	s_mov_b32 s20, 0x42b17218
	v_mov_b32_e32 v5, 0x7f800000
	v_mov_b32_e32 v6, v0
.LBB7_6:                                ; =>This Inner Loop Header: Depth=1
	ds_read_b32 v7, v4
	v_add_u32_e32 v6, s11, v6
	s_waitcnt lgkmcnt(0)
	v_sub_f32_e32 v7, v7, v3
	v_mul_f32_e32 v8, 0x3fb8aa3b, v7
	v_fma_f32 v9, v7, s7, -v8
	v_rndne_f32_e32 v10, v8
	v_fmac_f32_e32 v9, 0x32a5705f, v7
	v_sub_f32_e32 v8, v8, v10
	v_add_f32_e32 v8, v8, v9
	v_cvt_i32_f32_e32 v10, v10
	v_exp_f32_e32 v8, v8
	v_cmp_ngt_f32_e64 s[0:1], s19, v7
	v_ldexp_f32 v8, v8, v10
	v_cndmask_b32_e64 v8, 0, v8, s[0:1]
	v_cmp_nlt_f32_e64 s[0:1], s20, v7
	v_cndmask_b32_e64 v7, v5, v8, s[0:1]
	v_cmp_le_i32_e64 s[0:1], s8, v6
	ds_write_b32 v4, v7
	v_add_f32_e32 v2, v2, v7
	s_or_b64 s[16:17], s[0:1], s[16:17]
	v_add_u32_e32 v4, s18, v4
	s_andn2_b64 exec, exec, s[16:17]
	s_cbranch_execnz .LBB7_6
; %bb.7:
	s_or_b64 exec, exec, s[16:17]
.LBB7_8:
	s_or_b64 exec, exec, s[2:3]
	s_waitcnt lgkmcnt(0)
	v_mov_b32_dpp v3, v2 quad_perm:[1,0,3,2] row_mask:0xf bank_mask:0xf
	v_add_f32_e32 v2, v2, v3
	s_barrier
	s_nop 0
	v_mov_b32_dpp v3, v2 quad_perm:[2,3,0,1] row_mask:0xf bank_mask:0xf
	v_add_f32_e32 v2, v2, v3
	s_nop 1
	v_mov_b32_dpp v3, v2 row_half_mirror row_mask:0xf bank_mask:0xf
	v_add_f32_e32 v2, v2, v3
	s_nop 1
	v_mov_b32_dpp v3, v2 row_mirror row_mask:0xf bank_mask:0xf
	v_add_f32_e32 v2, v2, v3
	s_nop 1
	v_mov_b32_dpp v3, v2 row_bcast:15 row_mask:0xf bank_mask:0xf
	v_add_f32_e32 v2, v2, v3
	s_nop 1
	v_mov_b32_dpp v3, v2 row_bcast:31 row_mask:0xf bank_mask:0xf
	v_add_f32_e32 v2, v2, v3
	ds_bpermute_b32 v1, v1, v2
	s_and_saveexec_b64 s[0:1], vcc
	s_cbranch_execz .LBB7_11
; %bb.9:
	s_load_dword s7, s[4:5], 0x4c
	v_lshl_add_u32 v2, v0, 2, 0
	s_mov_b64 s[2:3], 0
	v_mov_b32_e32 v3, v0
	s_waitcnt lgkmcnt(0)
	s_and_b32 s7, s7, 0xffff
	s_lshl_b32 s11, s7, 2
.LBB7_10:                               ; =>This Inner Loop Header: Depth=1
	ds_read_b32 v4, v2
	v_add_u32_e32 v3, s7, v3
	v_cmp_le_i32_e32 vcc, s8, v3
	s_or_b64 s[2:3], vcc, s[2:3]
	s_waitcnt lgkmcnt(0)
	v_div_scale_f32 v5, s[16:17], v1, v1, v4
	v_rcp_f32_e32 v6, v5
	v_div_scale_f32 v7, vcc, v4, v1, v4
	v_fma_f32 v8, -v5, v6, 1.0
	v_fmac_f32_e32 v6, v8, v6
	v_mul_f32_e32 v8, v7, v6
	v_fma_f32 v9, -v5, v8, v7
	v_fmac_f32_e32 v8, v9, v6
	v_fma_f32 v5, -v5, v8, v7
	v_div_fmas_f32 v5, v5, v6, v8
	v_div_fixup_f32 v4, v5, v1, v4
	ds_write_b32 v2, v4
	v_add_u32_e32 v2, s11, v2
	s_andn2_b64 exec, exec, s[2:3]
	s_cbranch_execnz .LBB7_10
.LBB7_11:
	s_or_b64 exec, exec, s[0:1]
	s_ashr_i32 s20, s8, 31
	s_lshr_b32 s0, s20, 29
	s_add_i32 s0, s8, s0
	s_ashr_i32 s11, s0, 3
	s_lshl_b32 s0, s8, 2
	s_add_i32 s7, s0, 0
	v_cmp_gt_u32_e32 vcc, 8, v0
	s_waitcnt lgkmcnt(0)
	s_barrier
	s_and_saveexec_b64 s[2:3], vcc
	s_cbranch_execz .LBB7_18
; %bb.12:
	s_load_dword s0, s[4:5], 0x4c
	v_mul_lo_u32 v1, v0, s11
	v_lshl_add_u32 v1, v1, 2, 0
	s_waitcnt lgkmcnt(0)
	s_and_b32 s21, s0, 0xffff
	s_cmp_gt_i32 s8, 7
	s_cselect_b64 s[0:1], -1, 0
	s_mul_i32 s16, s11, s21
	v_cndmask_b32_e64 v2, 0, 1, s[0:1]
	s_lshl_b32 s22, s16, 2
	s_mov_b64 s[16:17], 0
	v_cmp_ne_u32_e64 s[0:1], 1, v2
	v_mov_b32_e32 v2, v0
	s_branch .LBB7_14
.LBB7_13:                               ;   in Loop: Header=BB7_14 Depth=1
	v_lshl_add_u32 v4, v2, 2, s7
	v_add_u32_e32 v2, s21, v2
	v_cmp_lt_u32_e32 vcc, 7, v2
	s_or_b64 s[16:17], vcc, s[16:17]
	v_add_u32_e32 v1, s22, v1
	ds_write_b32 v4, v3
	s_andn2_b64 exec, exec, s[16:17]
	s_cbranch_execz .LBB7_18
.LBB7_14:                               ; =>This Loop Header: Depth=1
                                        ;     Child Loop BB7_16 Depth 2
	s_and_b64 vcc, exec, s[0:1]
	v_mov_b32_e32 v3, 0xff800000
	s_cbranch_vccnz .LBB7_13
; %bb.15:                               ;   in Loop: Header=BB7_14 Depth=1
	v_mul_lo_u32 v4, v2, s11
	v_add_u32_e32 v5, s11, v4
	s_mov_b64 s[18:19], 0
	v_mov_b32_e32 v3, 0xff800000
	v_mov_b32_e32 v6, v1
.LBB7_16:                               ;   Parent Loop BB7_14 Depth=1
                                        ; =>  This Inner Loop Header: Depth=2
	ds_read_b32 v7, v6
	v_add_u32_e32 v4, 1, v4
	v_cmp_ge_i32_e32 vcc, v4, v5
	s_or_b64 s[18:19], vcc, s[18:19]
	v_add_u32_e32 v6, 4, v6
	s_waitcnt lgkmcnt(0)
	v_cmp_gt_f32_e32 vcc, v7, v3
	v_cndmask_b32_e32 v3, v3, v7, vcc
	s_andn2_b64 exec, exec, s[18:19]
	s_cbranch_execnz .LBB7_16
; %bb.17:                               ;   in Loop: Header=BB7_14 Depth=1
	s_or_b64 exec, exec, s[18:19]
	s_branch .LBB7_13
.LBB7_18:
	s_or_b64 exec, exec, s[2:3]
	s_cmp_lt_i32 s10, 1
	s_waitcnt lgkmcnt(0)
	s_barrier
	s_cbranch_scc1 .LBB7_21
; %bb.19:
	v_mov_b32_e32 v1, s7
	s_mov_b32 s0, 0xff800000
	v_mov_b32_e32 v2, 0xff800000
.LBB7_20:                               ; =>This Inner Loop Header: Depth=1
	ds_read2_b32 v[4:5], v1 offset1:1
	ds_read2_b32 v[6:7], v1 offset0:2 offset1:3
	ds_read2_b32 v[8:9], v1 offset0:4 offset1:5
	;; [unrolled: 1-line block ×3, first 2 shown]
	s_waitcnt lgkmcnt(3)
	v_cmp_nlg_f32_e32 vcc, s0, v4
	v_cndmask_b32_e64 v3, 0, 1, vcc
	v_cmp_lg_f32_e32 vcc, s0, v4
	v_readfirstlane_b32 s1, v3
	v_cndmask_b32_e32 v3, v2, v4, vcc
	v_cmp_gt_f32_e32 vcc, v5, v3
	s_lshl_b32 s1, s1, 3
	v_cndmask_b32_e32 v3, v3, v5, vcc
	s_and_b64 s[2:3], vcc, exec
	s_waitcnt lgkmcnt(2)
	v_cmp_gt_f32_e32 vcc, v6, v3
	v_cndmask_b32_e32 v3, v3, v6, vcc
	s_cselect_b32 s1, 1, s1
	s_and_b64 s[2:3], vcc, exec
	v_cmp_gt_f32_e32 vcc, v7, v3
	v_cndmask_b32_e32 v3, v3, v7, vcc
	s_cselect_b32 s1, 2, s1
	s_and_b64 s[2:3], vcc, exec
	s_waitcnt lgkmcnt(1)
	v_cmp_gt_f32_e32 vcc, v8, v3
	v_cndmask_b32_e32 v3, v3, v8, vcc
	s_cselect_b32 s1, 3, s1
	s_and_b64 s[2:3], vcc, exec
	v_cmp_gt_f32_e32 vcc, v9, v3
	v_cndmask_b32_e32 v3, v3, v9, vcc
	s_cselect_b32 s1, 4, s1
	s_and_b64 s[2:3], vcc, exec
	s_waitcnt lgkmcnt(0)
	v_cmp_gt_f32_e32 vcc, v10, v3
	v_cndmask_b32_e32 v3, v3, v10, vcc
	s_cselect_b32 s1, 5, s1
	s_and_b64 s[2:3], vcc, exec
	v_cmp_ngt_f32_e32 vcc, v11, v3
	s_cselect_b32 s1, 6, s1
	s_and_b64 s[2:3], vcc, exec
	s_cselect_b32 s1, s1, 7
	s_lshl_b32 s1, s1, 2
	s_add_i32 s1, s7, s1
	s_add_i32 s10, s10, -1
	v_mov_b32_e32 v3, s1
	s_cmp_lg_u32 s10, 0
	ds_write_b32 v3, v2
	s_cbranch_scc1 .LBB7_20
.LBB7_21:
	s_lshr_b32 s0, s20, 30
	s_add_i32 s0, s8, s0
	s_ashr_i32 s8, s0, 2
	v_cmp_gt_i32_e32 vcc, s8, v0
	v_lshlrev_b32_e32 v1, 2, v0
	v_lshl_add_u32 v6, v0, 4, 0
	s_and_saveexec_b64 s[2:3], vcc
	s_cbranch_execz .LBB7_26
; %bb.22:
	s_abs_i32 s18, s11
	v_cvt_f32_u32_e32 v2, s18
	s_load_dword s0, s[4:5], 0x4c
	s_sub_i32 s1, 0, s18
	s_ashr_i32 s19, s11, 31
	v_rcp_iflag_f32_e32 v2, v2
	v_lshlrev_b32_e32 v7, 2, v0
	s_waitcnt lgkmcnt(0)
	s_and_b32 s20, s0, 0xffff
	v_lshl_add_u32 v8, v0, 4, 0
	v_mul_f32_e32 v2, 0x4f7ffffe, v2
	v_cvt_u32_f32_e32 v2, v2
	s_mov_b64 s[10:11], 0
	s_lshl_b32 s21, s20, 2
	s_lshl_b32 s22, s20, 4
	v_mul_lo_u32 v3, s1, v2
	v_mul_hi_u32 v3, v2, v3
	v_add_u32_e32 v9, v2, v3
	s_mov_b32 s23, 0xff800000
	v_mov_b32_e32 v2, 0xff800000
	v_mov_b32_e32 v10, v0
	s_branch .LBB7_24
.LBB7_23:                               ;   in Loop: Header=BB7_24 Depth=1
	s_or_b64 exec, exec, s[16:17]
	v_add_u32_e32 v10, s20, v10
	v_cmp_le_i32_e64 s[0:1], s8, v10
	v_add_u32_e32 v7, s21, v7
	s_or_b64 s[10:11], s[0:1], s[10:11]
	v_add_u32_e32 v8, s22, v8
	s_andn2_b64 exec, exec, s[10:11]
	s_cbranch_execz .LBB7_26
.LBB7_24:                               ; =>This Inner Loop Header: Depth=1
	v_mul_hi_u32 v3, v7, v9
	v_mul_lo_u32 v4, v3, s18
	v_sub_u32_e32 v4, v7, v4
	v_add_u32_e32 v5, 1, v3
	v_cmp_le_u32_e64 s[0:1], s18, v4
	v_cndmask_b32_e64 v3, v3, v5, s[0:1]
	v_subrev_u32_e32 v5, s18, v4
	v_cndmask_b32_e64 v4, v4, v5, s[0:1]
	v_add_u32_e32 v5, 1, v3
	v_cmp_le_u32_e64 s[0:1], s18, v4
	v_cndmask_b32_e64 v3, v3, v5, s[0:1]
	v_xor_b32_e32 v3, s19, v3
	v_subrev_u32_e32 v3, s19, v3
	v_lshl_add_u32 v3, v3, 2, s7
	ds_read_b32 v3, v3
	s_waitcnt lgkmcnt(0)
	v_cmp_neq_f32_e64 s[0:1], s23, v3
	s_and_saveexec_b64 s[16:17], s[0:1]
	s_cbranch_execz .LBB7_23
; %bb.25:                               ;   in Loop: Header=BB7_24 Depth=1
	v_mov_b32_e32 v3, v2
	v_mov_b32_e32 v4, v2
	;; [unrolled: 1-line block ×3, first 2 shown]
	ds_write_b128 v8, v[2:5]
	s_branch .LBB7_23
.LBB7_26:
	s_or_b64 exec, exec, s[2:3]
	s_cmp_lt_i32 s9, 1
	s_waitcnt lgkmcnt(0)
	s_barrier
	s_cbranch_scc1 .LBB7_33
; %bb.27:
	s_add_u32 s2, s4, 64
	s_addc_u32 s3, s5, 0
	s_mov_b32 s7, 0
	v_mov_b32_e32 v3, 0
	v_mov_b32_e32 v5, 0xff800000
                                        ; implicit-def: $vgpr4
                                        ; implicit-def: $vgpr2
	s_branch .LBB7_29
.LBB7_28:                               ;   in Loop: Header=BB7_29 Depth=1
	s_or_b64 exec, exec, s[10:11]
	v_mov_b32_dpp v10, v8 quad_perm:[1,0,3,2] row_mask:0xf bank_mask:0xf
	v_cmp_lt_f32_e64 s[0:1], v8, v10
	v_cndmask_b32_e64 v8, v8, v10, s[0:1]
	v_mov_b32_dpp v9, v7 quad_perm:[1,0,3,2] row_mask:0xf bank_mask:0xf
	v_cndmask_b32_e64 v7, v7, v9, s[0:1]
	v_mov_b32_dpp v10, v8 quad_perm:[2,3,0,1] row_mask:0xf bank_mask:0xf
	v_cmp_gt_f32_e64 s[0:1], v10, v8
	v_cndmask_b32_e64 v8, v8, v10, s[0:1]
	v_mov_b32_dpp v9, v7 quad_perm:[2,3,0,1] row_mask:0xf bank_mask:0xf
	v_cndmask_b32_e64 v7, v7, v9, s[0:1]
	v_mov_b32_dpp v10, v8 row_half_mirror row_mask:0xf bank_mask:0xf
	v_cmp_gt_f32_e64 s[0:1], v10, v8
	v_cndmask_b32_e64 v8, v8, v10, s[0:1]
	v_mov_b32_dpp v9, v7 row_half_mirror row_mask:0xf bank_mask:0xf
	v_cndmask_b32_e64 v7, v7, v9, s[0:1]
	v_mov_b32_dpp v10, v8 row_mirror row_mask:0xf bank_mask:0xf
	v_cmp_gt_f32_e64 s[0:1], v10, v8
	v_cndmask_b32_e64 v8, v8, v10, s[0:1]
	v_mov_b32_dpp v9, v7 row_mirror row_mask:0xf bank_mask:0xf
	v_cndmask_b32_e64 v7, v7, v9, s[0:1]
	v_mov_b32_dpp v10, v8 row_bcast:15 row_mask:0xf bank_mask:0xf
	v_cmp_gt_f32_e64 s[0:1], v10, v8
	v_mov_b32_dpp v9, v7 row_bcast:15 row_mask:0xf bank_mask:0xf
	v_cndmask_b32_e64 v8, v8, v10, s[0:1]
	v_cndmask_b32_e64 v7, v7, v9, s[0:1]
	s_nop 0
	v_mov_b32_dpp v10, v8 row_bcast:31 row_mask:0xf bank_mask:0xf
	v_mov_b32_dpp v9, v7 row_bcast:31 row_mask:0xf bank_mask:0xf
	v_cmp_gt_f32_e64 s[0:1], v10, v8
	v_cndmask_b32_e64 v7, v7, v9, s[0:1]
	v_cndmask_b32_e64 v8, v8, v10, s[0:1]
	v_readlane_b32 s0, v7, 63
	s_lshl_b32 s1, s0, 2
	s_add_i32 s1, s1, 0
	v_mov_b32_e32 v7, s1
	v_readlane_b32 s10, v8, 63
	ds_write_b32 v7, v5
	v_mov_b32_e32 v7, s0
	v_cmp_eq_u32_e64 s[0:1], s7, v0
	v_cndmask_b32_e64 v2, v2, v7, s[0:1]
	v_mov_b32_e32 v7, s10
	s_add_i32 s7, s7, 1
	v_cndmask_b32_e64 v4, v4, v7, s[0:1]
	s_cmp_eq_u32 s7, s9
	v_add_f32_e32 v3, s10, v3
	s_cbranch_scc1 .LBB7_34
.LBB7_29:                               ; =>This Loop Header: Depth=1
                                        ;     Child Loop BB7_31 Depth 2
	v_mov_b32_e32 v7, s7
	v_mov_b32_e32 v8, 0xff800000
	s_and_saveexec_b64 s[10:11], vcc
	s_cbranch_execz .LBB7_28
; %bb.30:                               ;   in Loop: Header=BB7_29 Depth=1
	s_load_dword s0, s[2:3], 0xc
	s_mov_b64 s[16:17], 0
	v_mov_b32_e32 v7, s7
	v_mov_b32_e32 v8, 0xff800000
	;; [unrolled: 1-line block ×3, first 2 shown]
	s_waitcnt lgkmcnt(0)
	s_and_b32 s18, s0, 0xffff
	s_lshl_b32 s19, s18, 2
	s_lshl_b32 s20, s18, 4
	v_mov_b32_e32 v10, v1
	v_mov_b32_e32 v11, v0
.LBB7_31:                               ;   Parent Loop BB7_29 Depth=1
                                        ; =>  This Inner Loop Header: Depth=2
	ds_read_b128 v[12:15], v9
	v_add_u32_e32 v11, s18, v11
	v_cmp_le_i32_e64 s[0:1], s8, v11
	s_or_b64 s[16:17], s[0:1], s[16:17]
	v_add_u32_e32 v16, 1, v10
	s_waitcnt lgkmcnt(0)
	v_cmp_gt_f32_e64 s[0:1], v12, v8
	v_cndmask_b32_e64 v8, v8, v12, s[0:1]
	v_cndmask_b32_e64 v7, v7, v10, s[0:1]
	v_cmp_gt_f32_e64 s[0:1], v13, v8
	v_cndmask_b32_e64 v8, v8, v13, s[0:1]
	v_cndmask_b32_e64 v7, v7, v16, s[0:1]
	v_cmp_gt_f32_e64 s[0:1], v14, v8
	v_add_u32_e32 v17, 2, v10
	v_cndmask_b32_e64 v8, v8, v14, s[0:1]
	v_add_u32_e32 v18, 3, v10
	v_cndmask_b32_e64 v7, v7, v17, s[0:1]
	v_cmp_gt_f32_e64 s[0:1], v15, v8
	v_add_u32_e32 v9, s20, v9
	v_add_u32_e32 v10, s19, v10
	v_cndmask_b32_e64 v8, v8, v15, s[0:1]
	v_cndmask_b32_e64 v7, v7, v18, s[0:1]
	s_andn2_b64 exec, exec, s[16:17]
	s_cbranch_execnz .LBB7_31
; %bb.32:                               ;   in Loop: Header=BB7_29 Depth=1
	s_or_b64 exec, exec, s[16:17]
	s_branch .LBB7_28
.LBB7_33:
	v_mov_b32_e32 v3, 0
                                        ; implicit-def: $vgpr4
                                        ; implicit-def: $vgpr2
.LBB7_34:
	v_cmp_gt_i32_e32 vcc, s9, v0
	s_and_saveexec_b64 s[0:1], vcc
	s_cbranch_execz .LBB7_37
; %bb.35:
	s_load_dword s7, s[4:5], 0x38
	s_load_dwordx2 s[0:1], s[4:5], 0x20
	s_load_dword s8, s[4:5], 0x4c
	s_waitcnt lgkmcnt(0)
	v_div_scale_f32 v1, s[2:3], v3, v3, s7
	v_rcp_f32_e32 v5, v1
	v_div_scale_f32 v6, vcc, s7, v3, s7
	s_ashr_i32 s2, s6, 31
	v_fma_f32 v7, -v1, v5, 1.0
	v_fmac_f32_e32 v5, v7, v5
	v_mul_f32_e32 v7, v6, v5
	v_fma_f32 v8, -v1, v7, v6
	v_fmac_f32_e32 v7, v8, v5
	v_fma_f32 v1, -v1, v7, v6
	s_mul_i32 s1, s6, s1
	s_mul_hi_u32 s3, s6, s0
	v_div_fmas_f32 v1, v1, v5, v7
	s_add_i32 s1, s3, s1
	s_mul_i32 s2, s2, s0
	v_div_fixup_f32 v1, v1, v3, s7
	s_add_i32 s4, s1, s2
	v_mul_f32_e32 v1, v1, v4
	s_mul_i32 s2, s6, s0
	s_and_b32 s3, s8, 0xffff
	s_mov_b64 s[0:1], 0
	v_mov_b32_e32 v3, s4
	v_mov_b32_e32 v4, s13
	v_mov_b32_e32 v5, s15
.LBB7_36:                               ; =>This Inner Loop Header: Depth=1
	v_ashrrev_i32_e32 v7, 31, v0
	v_add_co_u32_e32 v6, vcc, s2, v0
	v_addc_co_u32_e32 v7, vcc, v3, v7, vcc
	v_add_u32_e32 v0, s3, v0
	v_cmp_le_i32_e32 vcc, s9, v0
	v_lshlrev_b64 v[6:7], 2, v[6:7]
	s_or_b64 s[0:1], vcc, s[0:1]
	v_add_co_u32_e32 v8, vcc, s12, v6
	v_addc_co_u32_e32 v9, vcc, v4, v7, vcc
	v_add_co_u32_e32 v6, vcc, s14, v6
	v_addc_co_u32_e32 v7, vcc, v5, v7, vcc
	global_store_dword v[8:9], v1, off
	global_store_dword v[6:7], v2, off
	s_andn2_b64 exec, exec, s[0:1]
	s_cbranch_execnz .LBB7_36
.LBB7_37:
	s_endpgm
	.section	.rodata,"a",@progbits
	.p2align	6, 0x0
	.amdhsa_kernel _ZN5aiter19grouped_topk_kernelIfDv4_fLi8ELb1ELb0ELb1EEEvPT_PKS2_PfPimiiiif
		.amdhsa_group_segment_fixed_size 0
		.amdhsa_private_segment_fixed_size 0
		.amdhsa_kernarg_size 320
		.amdhsa_user_sgpr_count 6
		.amdhsa_user_sgpr_private_segment_buffer 1
		.amdhsa_user_sgpr_dispatch_ptr 0
		.amdhsa_user_sgpr_queue_ptr 0
		.amdhsa_user_sgpr_kernarg_segment_ptr 1
		.amdhsa_user_sgpr_dispatch_id 0
		.amdhsa_user_sgpr_flat_scratch_init 0
		.amdhsa_user_sgpr_kernarg_preload_length 0
		.amdhsa_user_sgpr_kernarg_preload_offset 0
		.amdhsa_user_sgpr_private_segment_size 0
		.amdhsa_uses_dynamic_stack 0
		.amdhsa_system_sgpr_private_segment_wavefront_offset 0
		.amdhsa_system_sgpr_workgroup_id_x 1
		.amdhsa_system_sgpr_workgroup_id_y 0
		.amdhsa_system_sgpr_workgroup_id_z 0
		.amdhsa_system_sgpr_workgroup_info 0
		.amdhsa_system_vgpr_workitem_id 0
		.amdhsa_next_free_vgpr 19
		.amdhsa_next_free_sgpr 24
		.amdhsa_accum_offset 20
		.amdhsa_reserve_vcc 1
		.amdhsa_reserve_flat_scratch 0
		.amdhsa_float_round_mode_32 0
		.amdhsa_float_round_mode_16_64 0
		.amdhsa_float_denorm_mode_32 3
		.amdhsa_float_denorm_mode_16_64 3
		.amdhsa_dx10_clamp 1
		.amdhsa_ieee_mode 1
		.amdhsa_fp16_overflow 0
		.amdhsa_tg_split 0
		.amdhsa_exception_fp_ieee_invalid_op 0
		.amdhsa_exception_fp_denorm_src 0
		.amdhsa_exception_fp_ieee_div_zero 0
		.amdhsa_exception_fp_ieee_overflow 0
		.amdhsa_exception_fp_ieee_underflow 0
		.amdhsa_exception_fp_ieee_inexact 0
		.amdhsa_exception_int_div_zero 0
	.end_amdhsa_kernel
	.section	.text._ZN5aiter19grouped_topk_kernelIfDv4_fLi8ELb1ELb0ELb1EEEvPT_PKS2_PfPimiiiif,"axG",@progbits,_ZN5aiter19grouped_topk_kernelIfDv4_fLi8ELb1ELb0ELb1EEEvPT_PKS2_PfPimiiiif,comdat
.Lfunc_end7:
	.size	_ZN5aiter19grouped_topk_kernelIfDv4_fLi8ELb1ELb0ELb1EEEvPT_PKS2_PfPimiiiif, .Lfunc_end7-_ZN5aiter19grouped_topk_kernelIfDv4_fLi8ELb1ELb0ELb1EEEvPT_PKS2_PfPimiiiif
                                        ; -- End function
	.section	.AMDGPU.csdata,"",@progbits
; Kernel info:
; codeLenInByte = 2636
; NumSgprs: 28
; NumVgprs: 19
; NumAgprs: 0
; TotalNumVgprs: 19
; ScratchSize: 0
; MemoryBound: 0
; FloatMode: 240
; IeeeMode: 1
; LDSByteSize: 0 bytes/workgroup (compile time only)
; SGPRBlocks: 3
; VGPRBlocks: 2
; NumSGPRsForWavesPerEU: 28
; NumVGPRsForWavesPerEU: 19
; AccumOffset: 20
; Occupancy: 8
; WaveLimiterHint : 0
; COMPUTE_PGM_RSRC2:SCRATCH_EN: 0
; COMPUTE_PGM_RSRC2:USER_SGPR: 6
; COMPUTE_PGM_RSRC2:TRAP_HANDLER: 0
; COMPUTE_PGM_RSRC2:TGID_X_EN: 1
; COMPUTE_PGM_RSRC2:TGID_Y_EN: 0
; COMPUTE_PGM_RSRC2:TGID_Z_EN: 0
; COMPUTE_PGM_RSRC2:TIDIG_COMP_CNT: 0
; COMPUTE_PGM_RSRC3_GFX90A:ACCUM_OFFSET: 4
; COMPUTE_PGM_RSRC3_GFX90A:TG_SPLIT: 0
	.section	.text._ZN5aiter19grouped_topk_kernelIN3c104HalfEDv4_fLi8ELb1ELb0ELb1EEEvPT_PKS4_PfPimiiiif,"axG",@progbits,_ZN5aiter19grouped_topk_kernelIN3c104HalfEDv4_fLi8ELb1ELb0ELb1EEEvPT_PKS4_PfPimiiiif,comdat
	.protected	_ZN5aiter19grouped_topk_kernelIN3c104HalfEDv4_fLi8ELb1ELb0ELb1EEEvPT_PKS4_PfPimiiiif ; -- Begin function _ZN5aiter19grouped_topk_kernelIN3c104HalfEDv4_fLi8ELb1ELb0ELb1EEEvPT_PKS4_PfPimiiiif
	.globl	_ZN5aiter19grouped_topk_kernelIN3c104HalfEDv4_fLi8ELb1ELb0ELb1EEEvPT_PKS4_PfPimiiiif
	.p2align	8
	.type	_ZN5aiter19grouped_topk_kernelIN3c104HalfEDv4_fLi8ELb1ELb0ELb1EEEvPT_PKS4_PfPimiiiif,@function
_ZN5aiter19grouped_topk_kernelIN3c104HalfEDv4_fLi8ELb1ELb0ELb1EEEvPT_PKS4_PfPimiiiif: ; @_ZN5aiter19grouped_topk_kernelIN3c104HalfEDv4_fLi8ELb1ELb0ELb1EEEvPT_PKS4_PfPimiiiif
; %bb.0:
	s_load_dwordx4 s[8:11], s[4:5], 0x28
	s_load_dwordx4 s[12:15], s[4:5], 0x10
	v_mov_b32_e32 v1, 0xff800000
	s_waitcnt lgkmcnt(0)
	v_cmp_gt_i32_e32 vcc, s8, v0
	s_and_saveexec_b64 s[2:3], vcc
	s_cbranch_execz .LBB8_4
; %bb.1:
	s_load_dword s0, s[4:5], 0x4c
	s_load_dwordx2 s[16:17], s[4:5], 0x0
	s_mul_i32 s7, s6, s8
	v_lshl_add_u32 v2, v0, 2, 0
	s_mov_b64 s[18:19], 0
	s_waitcnt lgkmcnt(0)
	s_and_b32 s11, s0, 0xffff
	s_lshl_b32 s20, s11, 2
	v_mov_b32_e32 v1, 0xff800000
	v_mov_b32_e32 v3, s17
	;; [unrolled: 1-line block ×3, first 2 shown]
.LBB8_2:                                ; =>This Inner Loop Header: Depth=1
	v_add_u32_e32 v6, s7, v4
	v_ashrrev_i32_e32 v7, 31, v6
	v_lshlrev_b64 v[6:7], 1, v[6:7]
	v_add_co_u32_e64 v6, s[0:1], s16, v6
	v_addc_co_u32_e64 v7, s[0:1], v3, v7, s[0:1]
	global_load_ushort v5, v[6:7], off
	v_add_u32_e32 v4, s11, v4
	v_cmp_le_i32_e64 s[0:1], s8, v4
	s_or_b64 s[18:19], s[0:1], s[18:19]
	s_waitcnt vmcnt(0)
	v_cvt_f32_f16_e32 v5, v5
	v_cmp_lt_f32_e64 s[0:1], v1, v5
	ds_write_b32 v2, v5
	v_cndmask_b32_e64 v1, v1, v5, s[0:1]
	v_add_u32_e32 v2, s20, v2
	s_andn2_b64 exec, exec, s[18:19]
	s_cbranch_execnz .LBB8_2
; %bb.3:
	s_or_b64 exec, exec, s[18:19]
.LBB8_4:
	s_or_b64 exec, exec, s[2:3]
	v_mov_b32_dpp v2, v1 quad_perm:[1,0,3,2] row_mask:0xf bank_mask:0xf
	v_cmp_lt_f32_e64 s[0:1], v1, v2
	v_cndmask_b32_e64 v1, v1, v2, s[0:1]
	v_bfrev_b32_e32 v3, 0.5
	s_waitcnt lgkmcnt(0)
	v_mov_b32_dpp v2, v1 quad_perm:[2,3,0,1] row_mask:0xf bank_mask:0xf
	v_cmp_lt_f32_e64 s[0:1], v1, v2
	v_cndmask_b32_e64 v1, v1, v2, s[0:1]
	s_barrier
	s_nop 0
	v_mov_b32_dpp v2, v1 row_half_mirror row_mask:0xf bank_mask:0xf
	v_cmp_lt_f32_e64 s[0:1], v1, v2
	v_cndmask_b32_e64 v1, v1, v2, s[0:1]
	s_nop 1
	v_mov_b32_dpp v2, v1 row_mirror row_mask:0xf bank_mask:0xf
	v_cmp_lt_f32_e64 s[0:1], v1, v2
	v_cndmask_b32_e64 v1, v1, v2, s[0:1]
	s_nop 1
	v_mov_b32_dpp v2, v1 row_bcast:15 row_mask:0xf bank_mask:0xf
	v_cmp_lt_f32_e64 s[0:1], v1, v2
	v_cndmask_b32_e64 v1, v1, v2, s[0:1]
	s_nop 1
	v_mov_b32_dpp v2, v1 row_bcast:31 row_mask:0xf bank_mask:0xf
	v_cmp_lt_f32_e64 s[0:1], v1, v2
	v_cndmask_b32_e64 v2, v1, v2, s[0:1]
	v_mbcnt_lo_u32_b32 v1, -1, 0
	v_mbcnt_hi_u32_b32 v1, -1, v1
	v_lshl_or_b32 v1, v1, 2, v3
	ds_bpermute_b32 v3, v1, v2
	v_mov_b32_e32 v2, 0
	s_and_saveexec_b64 s[2:3], vcc
	s_cbranch_execz .LBB8_8
; %bb.5:
	s_load_dword s0, s[4:5], 0x4c
	v_lshl_add_u32 v4, v0, 2, 0
	s_mov_b64 s[16:17], 0
	v_mov_b32_e32 v2, 0
	s_mov_b32 s7, 0x3fb8aa3b
	s_waitcnt lgkmcnt(0)
	s_and_b32 s11, s0, 0xffff
	s_lshl_b32 s18, s11, 2
	s_mov_b32 s19, 0xc2ce8ed0
	s_mov_b32 s20, 0x42b17218
	v_mov_b32_e32 v5, 0x7f800000
	v_mov_b32_e32 v6, v0
.LBB8_6:                                ; =>This Inner Loop Header: Depth=1
	ds_read_b32 v7, v4
	v_add_u32_e32 v6, s11, v6
	s_waitcnt lgkmcnt(0)
	v_sub_f32_e32 v7, v7, v3
	v_mul_f32_e32 v8, 0x3fb8aa3b, v7
	v_fma_f32 v9, v7, s7, -v8
	v_rndne_f32_e32 v10, v8
	v_fmac_f32_e32 v9, 0x32a5705f, v7
	v_sub_f32_e32 v8, v8, v10
	v_add_f32_e32 v8, v8, v9
	v_cvt_i32_f32_e32 v10, v10
	v_exp_f32_e32 v8, v8
	v_cmp_ngt_f32_e64 s[0:1], s19, v7
	v_ldexp_f32 v8, v8, v10
	v_cndmask_b32_e64 v8, 0, v8, s[0:1]
	v_cmp_nlt_f32_e64 s[0:1], s20, v7
	v_cndmask_b32_e64 v7, v5, v8, s[0:1]
	v_cmp_le_i32_e64 s[0:1], s8, v6
	ds_write_b32 v4, v7
	v_add_f32_e32 v2, v2, v7
	s_or_b64 s[16:17], s[0:1], s[16:17]
	v_add_u32_e32 v4, s18, v4
	s_andn2_b64 exec, exec, s[16:17]
	s_cbranch_execnz .LBB8_6
; %bb.7:
	s_or_b64 exec, exec, s[16:17]
.LBB8_8:
	s_or_b64 exec, exec, s[2:3]
	s_waitcnt lgkmcnt(0)
	v_mov_b32_dpp v3, v2 quad_perm:[1,0,3,2] row_mask:0xf bank_mask:0xf
	v_add_f32_e32 v2, v2, v3
	s_barrier
	s_nop 0
	v_mov_b32_dpp v3, v2 quad_perm:[2,3,0,1] row_mask:0xf bank_mask:0xf
	v_add_f32_e32 v2, v2, v3
	s_nop 1
	v_mov_b32_dpp v3, v2 row_half_mirror row_mask:0xf bank_mask:0xf
	v_add_f32_e32 v2, v2, v3
	s_nop 1
	v_mov_b32_dpp v3, v2 row_mirror row_mask:0xf bank_mask:0xf
	v_add_f32_e32 v2, v2, v3
	s_nop 1
	v_mov_b32_dpp v3, v2 row_bcast:15 row_mask:0xf bank_mask:0xf
	v_add_f32_e32 v2, v2, v3
	s_nop 1
	v_mov_b32_dpp v3, v2 row_bcast:31 row_mask:0xf bank_mask:0xf
	v_add_f32_e32 v2, v2, v3
	ds_bpermute_b32 v1, v1, v2
	s_and_saveexec_b64 s[0:1], vcc
	s_cbranch_execz .LBB8_11
; %bb.9:
	s_load_dword s7, s[4:5], 0x4c
	v_lshl_add_u32 v2, v0, 2, 0
	s_mov_b64 s[2:3], 0
	v_mov_b32_e32 v3, v0
	s_waitcnt lgkmcnt(0)
	s_and_b32 s7, s7, 0xffff
	s_lshl_b32 s11, s7, 2
.LBB8_10:                               ; =>This Inner Loop Header: Depth=1
	ds_read_b32 v4, v2
	v_add_u32_e32 v3, s7, v3
	v_cmp_le_i32_e32 vcc, s8, v3
	s_or_b64 s[2:3], vcc, s[2:3]
	s_waitcnt lgkmcnt(0)
	v_div_scale_f32 v5, s[16:17], v1, v1, v4
	v_rcp_f32_e32 v6, v5
	v_div_scale_f32 v7, vcc, v4, v1, v4
	v_fma_f32 v8, -v5, v6, 1.0
	v_fmac_f32_e32 v6, v8, v6
	v_mul_f32_e32 v8, v7, v6
	v_fma_f32 v9, -v5, v8, v7
	v_fmac_f32_e32 v8, v9, v6
	v_fma_f32 v5, -v5, v8, v7
	v_div_fmas_f32 v5, v5, v6, v8
	v_div_fixup_f32 v4, v5, v1, v4
	ds_write_b32 v2, v4
	v_add_u32_e32 v2, s11, v2
	s_andn2_b64 exec, exec, s[2:3]
	s_cbranch_execnz .LBB8_10
.LBB8_11:
	s_or_b64 exec, exec, s[0:1]
	s_ashr_i32 s20, s8, 31
	s_lshr_b32 s0, s20, 29
	s_add_i32 s0, s8, s0
	s_ashr_i32 s11, s0, 3
	s_lshl_b32 s0, s8, 2
	s_add_i32 s7, s0, 0
	v_cmp_gt_u32_e32 vcc, 8, v0
	s_waitcnt lgkmcnt(0)
	s_barrier
	s_and_saveexec_b64 s[2:3], vcc
	s_cbranch_execz .LBB8_18
; %bb.12:
	s_load_dword s0, s[4:5], 0x4c
	v_mul_lo_u32 v1, v0, s11
	v_lshl_add_u32 v1, v1, 2, 0
	s_waitcnt lgkmcnt(0)
	s_and_b32 s21, s0, 0xffff
	s_cmp_gt_i32 s8, 7
	s_cselect_b64 s[0:1], -1, 0
	s_mul_i32 s16, s11, s21
	v_cndmask_b32_e64 v2, 0, 1, s[0:1]
	s_lshl_b32 s22, s16, 2
	s_mov_b64 s[16:17], 0
	v_cmp_ne_u32_e64 s[0:1], 1, v2
	v_mov_b32_e32 v2, v0
	s_branch .LBB8_14
.LBB8_13:                               ;   in Loop: Header=BB8_14 Depth=1
	v_lshl_add_u32 v4, v2, 2, s7
	v_add_u32_e32 v2, s21, v2
	v_cmp_lt_u32_e32 vcc, 7, v2
	s_or_b64 s[16:17], vcc, s[16:17]
	v_add_u32_e32 v1, s22, v1
	ds_write_b32 v4, v3
	s_andn2_b64 exec, exec, s[16:17]
	s_cbranch_execz .LBB8_18
.LBB8_14:                               ; =>This Loop Header: Depth=1
                                        ;     Child Loop BB8_16 Depth 2
	s_and_b64 vcc, exec, s[0:1]
	v_mov_b32_e32 v3, 0xff800000
	s_cbranch_vccnz .LBB8_13
; %bb.15:                               ;   in Loop: Header=BB8_14 Depth=1
	v_mul_lo_u32 v4, v2, s11
	v_add_u32_e32 v5, s11, v4
	s_mov_b64 s[18:19], 0
	v_mov_b32_e32 v3, 0xff800000
	v_mov_b32_e32 v6, v1
.LBB8_16:                               ;   Parent Loop BB8_14 Depth=1
                                        ; =>  This Inner Loop Header: Depth=2
	ds_read_b32 v7, v6
	v_add_u32_e32 v4, 1, v4
	v_cmp_ge_i32_e32 vcc, v4, v5
	s_or_b64 s[18:19], vcc, s[18:19]
	v_add_u32_e32 v6, 4, v6
	s_waitcnt lgkmcnt(0)
	v_cmp_gt_f32_e32 vcc, v7, v3
	v_cndmask_b32_e32 v3, v3, v7, vcc
	s_andn2_b64 exec, exec, s[18:19]
	s_cbranch_execnz .LBB8_16
; %bb.17:                               ;   in Loop: Header=BB8_14 Depth=1
	s_or_b64 exec, exec, s[18:19]
	s_branch .LBB8_13
.LBB8_18:
	s_or_b64 exec, exec, s[2:3]
	s_cmp_lt_i32 s10, 1
	s_waitcnt lgkmcnt(0)
	s_barrier
	s_cbranch_scc1 .LBB8_21
; %bb.19:
	v_mov_b32_e32 v1, s7
	s_mov_b32 s0, 0xff800000
	v_mov_b32_e32 v2, 0xff800000
.LBB8_20:                               ; =>This Inner Loop Header: Depth=1
	ds_read2_b32 v[4:5], v1 offset1:1
	ds_read2_b32 v[6:7], v1 offset0:2 offset1:3
	ds_read2_b32 v[8:9], v1 offset0:4 offset1:5
	;; [unrolled: 1-line block ×3, first 2 shown]
	s_waitcnt lgkmcnt(3)
	v_cmp_nlg_f32_e32 vcc, s0, v4
	v_cndmask_b32_e64 v3, 0, 1, vcc
	v_cmp_lg_f32_e32 vcc, s0, v4
	v_readfirstlane_b32 s1, v3
	v_cndmask_b32_e32 v3, v2, v4, vcc
	v_cmp_gt_f32_e32 vcc, v5, v3
	s_lshl_b32 s1, s1, 3
	v_cndmask_b32_e32 v3, v3, v5, vcc
	s_and_b64 s[2:3], vcc, exec
	s_waitcnt lgkmcnt(2)
	v_cmp_gt_f32_e32 vcc, v6, v3
	v_cndmask_b32_e32 v3, v3, v6, vcc
	s_cselect_b32 s1, 1, s1
	s_and_b64 s[2:3], vcc, exec
	v_cmp_gt_f32_e32 vcc, v7, v3
	v_cndmask_b32_e32 v3, v3, v7, vcc
	s_cselect_b32 s1, 2, s1
	s_and_b64 s[2:3], vcc, exec
	s_waitcnt lgkmcnt(1)
	v_cmp_gt_f32_e32 vcc, v8, v3
	v_cndmask_b32_e32 v3, v3, v8, vcc
	s_cselect_b32 s1, 3, s1
	s_and_b64 s[2:3], vcc, exec
	v_cmp_gt_f32_e32 vcc, v9, v3
	v_cndmask_b32_e32 v3, v3, v9, vcc
	s_cselect_b32 s1, 4, s1
	s_and_b64 s[2:3], vcc, exec
	s_waitcnt lgkmcnt(0)
	v_cmp_gt_f32_e32 vcc, v10, v3
	v_cndmask_b32_e32 v3, v3, v10, vcc
	s_cselect_b32 s1, 5, s1
	s_and_b64 s[2:3], vcc, exec
	v_cmp_ngt_f32_e32 vcc, v11, v3
	s_cselect_b32 s1, 6, s1
	s_and_b64 s[2:3], vcc, exec
	s_cselect_b32 s1, s1, 7
	s_lshl_b32 s1, s1, 2
	s_add_i32 s1, s7, s1
	s_add_i32 s10, s10, -1
	v_mov_b32_e32 v3, s1
	s_cmp_lg_u32 s10, 0
	ds_write_b32 v3, v2
	s_cbranch_scc1 .LBB8_20
.LBB8_21:
	s_lshr_b32 s0, s20, 30
	s_add_i32 s0, s8, s0
	s_ashr_i32 s8, s0, 2
	v_cmp_gt_i32_e32 vcc, s8, v0
	v_lshlrev_b32_e32 v1, 2, v0
	v_lshl_add_u32 v6, v0, 4, 0
	s_and_saveexec_b64 s[2:3], vcc
	s_cbranch_execz .LBB8_26
; %bb.22:
	s_abs_i32 s18, s11
	v_cvt_f32_u32_e32 v2, s18
	s_load_dword s0, s[4:5], 0x4c
	s_sub_i32 s1, 0, s18
	s_ashr_i32 s19, s11, 31
	v_rcp_iflag_f32_e32 v2, v2
	v_lshlrev_b32_e32 v7, 2, v0
	s_waitcnt lgkmcnt(0)
	s_and_b32 s20, s0, 0xffff
	v_lshl_add_u32 v8, v0, 4, 0
	v_mul_f32_e32 v2, 0x4f7ffffe, v2
	v_cvt_u32_f32_e32 v2, v2
	s_mov_b64 s[10:11], 0
	s_lshl_b32 s21, s20, 2
	s_lshl_b32 s22, s20, 4
	v_mul_lo_u32 v3, s1, v2
	v_mul_hi_u32 v3, v2, v3
	v_add_u32_e32 v9, v2, v3
	s_mov_b32 s23, 0xff800000
	v_mov_b32_e32 v2, 0xff800000
	v_mov_b32_e32 v10, v0
	s_branch .LBB8_24
.LBB8_23:                               ;   in Loop: Header=BB8_24 Depth=1
	s_or_b64 exec, exec, s[16:17]
	v_add_u32_e32 v10, s20, v10
	v_cmp_le_i32_e64 s[0:1], s8, v10
	v_add_u32_e32 v7, s21, v7
	s_or_b64 s[10:11], s[0:1], s[10:11]
	v_add_u32_e32 v8, s22, v8
	s_andn2_b64 exec, exec, s[10:11]
	s_cbranch_execz .LBB8_26
.LBB8_24:                               ; =>This Inner Loop Header: Depth=1
	v_mul_hi_u32 v3, v7, v9
	v_mul_lo_u32 v4, v3, s18
	v_sub_u32_e32 v4, v7, v4
	v_add_u32_e32 v5, 1, v3
	v_cmp_le_u32_e64 s[0:1], s18, v4
	v_cndmask_b32_e64 v3, v3, v5, s[0:1]
	v_subrev_u32_e32 v5, s18, v4
	v_cndmask_b32_e64 v4, v4, v5, s[0:1]
	v_add_u32_e32 v5, 1, v3
	v_cmp_le_u32_e64 s[0:1], s18, v4
	v_cndmask_b32_e64 v3, v3, v5, s[0:1]
	v_xor_b32_e32 v3, s19, v3
	v_subrev_u32_e32 v3, s19, v3
	v_lshl_add_u32 v3, v3, 2, s7
	ds_read_b32 v3, v3
	s_waitcnt lgkmcnt(0)
	v_cmp_neq_f32_e64 s[0:1], s23, v3
	s_and_saveexec_b64 s[16:17], s[0:1]
	s_cbranch_execz .LBB8_23
; %bb.25:                               ;   in Loop: Header=BB8_24 Depth=1
	v_mov_b32_e32 v3, v2
	v_mov_b32_e32 v4, v2
	;; [unrolled: 1-line block ×3, first 2 shown]
	ds_write_b128 v8, v[2:5]
	s_branch .LBB8_23
.LBB8_26:
	s_or_b64 exec, exec, s[2:3]
	s_cmp_lt_i32 s9, 1
	s_waitcnt lgkmcnt(0)
	s_barrier
	s_cbranch_scc1 .LBB8_33
; %bb.27:
	s_add_u32 s2, s4, 64
	s_addc_u32 s3, s5, 0
	s_mov_b32 s7, 0
	v_mov_b32_e32 v3, 0
	v_mov_b32_e32 v5, 0xff800000
                                        ; implicit-def: $vgpr4
                                        ; implicit-def: $vgpr2
	s_branch .LBB8_29
.LBB8_28:                               ;   in Loop: Header=BB8_29 Depth=1
	s_or_b64 exec, exec, s[10:11]
	v_mov_b32_dpp v10, v8 quad_perm:[1,0,3,2] row_mask:0xf bank_mask:0xf
	v_cmp_lt_f32_e64 s[0:1], v8, v10
	v_cndmask_b32_e64 v8, v8, v10, s[0:1]
	v_mov_b32_dpp v9, v7 quad_perm:[1,0,3,2] row_mask:0xf bank_mask:0xf
	v_cndmask_b32_e64 v7, v7, v9, s[0:1]
	v_mov_b32_dpp v10, v8 quad_perm:[2,3,0,1] row_mask:0xf bank_mask:0xf
	v_cmp_gt_f32_e64 s[0:1], v10, v8
	v_cndmask_b32_e64 v8, v8, v10, s[0:1]
	v_mov_b32_dpp v9, v7 quad_perm:[2,3,0,1] row_mask:0xf bank_mask:0xf
	v_cndmask_b32_e64 v7, v7, v9, s[0:1]
	v_mov_b32_dpp v10, v8 row_half_mirror row_mask:0xf bank_mask:0xf
	v_cmp_gt_f32_e64 s[0:1], v10, v8
	v_cndmask_b32_e64 v8, v8, v10, s[0:1]
	v_mov_b32_dpp v9, v7 row_half_mirror row_mask:0xf bank_mask:0xf
	v_cndmask_b32_e64 v7, v7, v9, s[0:1]
	v_mov_b32_dpp v10, v8 row_mirror row_mask:0xf bank_mask:0xf
	v_cmp_gt_f32_e64 s[0:1], v10, v8
	v_cndmask_b32_e64 v8, v8, v10, s[0:1]
	v_mov_b32_dpp v9, v7 row_mirror row_mask:0xf bank_mask:0xf
	v_cndmask_b32_e64 v7, v7, v9, s[0:1]
	v_mov_b32_dpp v10, v8 row_bcast:15 row_mask:0xf bank_mask:0xf
	v_cmp_gt_f32_e64 s[0:1], v10, v8
	v_mov_b32_dpp v9, v7 row_bcast:15 row_mask:0xf bank_mask:0xf
	v_cndmask_b32_e64 v8, v8, v10, s[0:1]
	v_cndmask_b32_e64 v7, v7, v9, s[0:1]
	s_nop 0
	v_mov_b32_dpp v10, v8 row_bcast:31 row_mask:0xf bank_mask:0xf
	v_mov_b32_dpp v9, v7 row_bcast:31 row_mask:0xf bank_mask:0xf
	v_cmp_gt_f32_e64 s[0:1], v10, v8
	v_cndmask_b32_e64 v7, v7, v9, s[0:1]
	v_cndmask_b32_e64 v8, v8, v10, s[0:1]
	v_readlane_b32 s0, v7, 63
	s_lshl_b32 s1, s0, 2
	s_add_i32 s1, s1, 0
	v_mov_b32_e32 v7, s1
	v_readlane_b32 s10, v8, 63
	ds_write_b32 v7, v5
	v_mov_b32_e32 v7, s0
	v_cmp_eq_u32_e64 s[0:1], s7, v0
	v_cndmask_b32_e64 v2, v2, v7, s[0:1]
	v_mov_b32_e32 v7, s10
	s_add_i32 s7, s7, 1
	v_cndmask_b32_e64 v4, v4, v7, s[0:1]
	s_cmp_eq_u32 s7, s9
	v_add_f32_e32 v3, s10, v3
	s_cbranch_scc1 .LBB8_34
.LBB8_29:                               ; =>This Loop Header: Depth=1
                                        ;     Child Loop BB8_31 Depth 2
	v_mov_b32_e32 v7, s7
	v_mov_b32_e32 v8, 0xff800000
	s_and_saveexec_b64 s[10:11], vcc
	s_cbranch_execz .LBB8_28
; %bb.30:                               ;   in Loop: Header=BB8_29 Depth=1
	s_load_dword s0, s[2:3], 0xc
	s_mov_b64 s[16:17], 0
	v_mov_b32_e32 v7, s7
	v_mov_b32_e32 v8, 0xff800000
	;; [unrolled: 1-line block ×3, first 2 shown]
	s_waitcnt lgkmcnt(0)
	s_and_b32 s18, s0, 0xffff
	s_lshl_b32 s19, s18, 2
	s_lshl_b32 s20, s18, 4
	v_mov_b32_e32 v10, v1
	v_mov_b32_e32 v11, v0
.LBB8_31:                               ;   Parent Loop BB8_29 Depth=1
                                        ; =>  This Inner Loop Header: Depth=2
	ds_read_b128 v[12:15], v9
	v_add_u32_e32 v11, s18, v11
	v_cmp_le_i32_e64 s[0:1], s8, v11
	s_or_b64 s[16:17], s[0:1], s[16:17]
	v_add_u32_e32 v16, 1, v10
	s_waitcnt lgkmcnt(0)
	v_cmp_gt_f32_e64 s[0:1], v12, v8
	v_cndmask_b32_e64 v8, v8, v12, s[0:1]
	v_cndmask_b32_e64 v7, v7, v10, s[0:1]
	v_cmp_gt_f32_e64 s[0:1], v13, v8
	v_cndmask_b32_e64 v8, v8, v13, s[0:1]
	v_cndmask_b32_e64 v7, v7, v16, s[0:1]
	v_cmp_gt_f32_e64 s[0:1], v14, v8
	v_add_u32_e32 v17, 2, v10
	v_cndmask_b32_e64 v8, v8, v14, s[0:1]
	v_add_u32_e32 v18, 3, v10
	v_cndmask_b32_e64 v7, v7, v17, s[0:1]
	v_cmp_gt_f32_e64 s[0:1], v15, v8
	v_add_u32_e32 v9, s20, v9
	v_add_u32_e32 v10, s19, v10
	v_cndmask_b32_e64 v8, v8, v15, s[0:1]
	v_cndmask_b32_e64 v7, v7, v18, s[0:1]
	s_andn2_b64 exec, exec, s[16:17]
	s_cbranch_execnz .LBB8_31
; %bb.32:                               ;   in Loop: Header=BB8_29 Depth=1
	s_or_b64 exec, exec, s[16:17]
	s_branch .LBB8_28
.LBB8_33:
	v_mov_b32_e32 v3, 0
                                        ; implicit-def: $vgpr4
                                        ; implicit-def: $vgpr2
.LBB8_34:
	v_cmp_gt_i32_e32 vcc, s9, v0
	s_and_saveexec_b64 s[0:1], vcc
	s_cbranch_execz .LBB8_37
; %bb.35:
	s_load_dword s7, s[4:5], 0x38
	s_load_dwordx2 s[0:1], s[4:5], 0x20
	s_load_dword s8, s[4:5], 0x4c
	s_waitcnt lgkmcnt(0)
	v_div_scale_f32 v1, s[2:3], v3, v3, s7
	v_rcp_f32_e32 v5, v1
	v_div_scale_f32 v6, vcc, s7, v3, s7
	s_ashr_i32 s2, s6, 31
	v_fma_f32 v7, -v1, v5, 1.0
	v_fmac_f32_e32 v5, v7, v5
	v_mul_f32_e32 v7, v6, v5
	v_fma_f32 v8, -v1, v7, v6
	v_fmac_f32_e32 v7, v8, v5
	v_fma_f32 v1, -v1, v7, v6
	s_mul_i32 s1, s6, s1
	s_mul_hi_u32 s3, s6, s0
	v_div_fmas_f32 v1, v1, v5, v7
	s_add_i32 s1, s3, s1
	s_mul_i32 s2, s2, s0
	v_div_fixup_f32 v1, v1, v3, s7
	s_add_i32 s4, s1, s2
	v_mul_f32_e32 v1, v1, v4
	s_mul_i32 s2, s6, s0
	s_and_b32 s3, s8, 0xffff
	s_mov_b64 s[0:1], 0
	v_mov_b32_e32 v3, s4
	v_mov_b32_e32 v4, s13
	;; [unrolled: 1-line block ×3, first 2 shown]
.LBB8_36:                               ; =>This Inner Loop Header: Depth=1
	v_ashrrev_i32_e32 v7, 31, v0
	v_add_co_u32_e32 v6, vcc, s2, v0
	v_addc_co_u32_e32 v7, vcc, v3, v7, vcc
	v_add_u32_e32 v0, s3, v0
	v_cmp_le_i32_e32 vcc, s9, v0
	v_lshlrev_b64 v[6:7], 2, v[6:7]
	s_or_b64 s[0:1], vcc, s[0:1]
	v_add_co_u32_e32 v8, vcc, s12, v6
	v_addc_co_u32_e32 v9, vcc, v4, v7, vcc
	v_add_co_u32_e32 v6, vcc, s14, v6
	v_addc_co_u32_e32 v7, vcc, v5, v7, vcc
	global_store_dword v[8:9], v1, off
	global_store_dword v[6:7], v2, off
	s_andn2_b64 exec, exec, s[0:1]
	s_cbranch_execnz .LBB8_36
.LBB8_37:
	s_endpgm
	.section	.rodata,"a",@progbits
	.p2align	6, 0x0
	.amdhsa_kernel _ZN5aiter19grouped_topk_kernelIN3c104HalfEDv4_fLi8ELb1ELb0ELb1EEEvPT_PKS4_PfPimiiiif
		.amdhsa_group_segment_fixed_size 0
		.amdhsa_private_segment_fixed_size 0
		.amdhsa_kernarg_size 320
		.amdhsa_user_sgpr_count 6
		.amdhsa_user_sgpr_private_segment_buffer 1
		.amdhsa_user_sgpr_dispatch_ptr 0
		.amdhsa_user_sgpr_queue_ptr 0
		.amdhsa_user_sgpr_kernarg_segment_ptr 1
		.amdhsa_user_sgpr_dispatch_id 0
		.amdhsa_user_sgpr_flat_scratch_init 0
		.amdhsa_user_sgpr_kernarg_preload_length 0
		.amdhsa_user_sgpr_kernarg_preload_offset 0
		.amdhsa_user_sgpr_private_segment_size 0
		.amdhsa_uses_dynamic_stack 0
		.amdhsa_system_sgpr_private_segment_wavefront_offset 0
		.amdhsa_system_sgpr_workgroup_id_x 1
		.amdhsa_system_sgpr_workgroup_id_y 0
		.amdhsa_system_sgpr_workgroup_id_z 0
		.amdhsa_system_sgpr_workgroup_info 0
		.amdhsa_system_vgpr_workitem_id 0
		.amdhsa_next_free_vgpr 19
		.amdhsa_next_free_sgpr 24
		.amdhsa_accum_offset 20
		.amdhsa_reserve_vcc 1
		.amdhsa_reserve_flat_scratch 0
		.amdhsa_float_round_mode_32 0
		.amdhsa_float_round_mode_16_64 0
		.amdhsa_float_denorm_mode_32 3
		.amdhsa_float_denorm_mode_16_64 3
		.amdhsa_dx10_clamp 1
		.amdhsa_ieee_mode 1
		.amdhsa_fp16_overflow 0
		.amdhsa_tg_split 0
		.amdhsa_exception_fp_ieee_invalid_op 0
		.amdhsa_exception_fp_denorm_src 0
		.amdhsa_exception_fp_ieee_div_zero 0
		.amdhsa_exception_fp_ieee_overflow 0
		.amdhsa_exception_fp_ieee_underflow 0
		.amdhsa_exception_fp_ieee_inexact 0
		.amdhsa_exception_int_div_zero 0
	.end_amdhsa_kernel
	.section	.text._ZN5aiter19grouped_topk_kernelIN3c104HalfEDv4_fLi8ELb1ELb0ELb1EEEvPT_PKS4_PfPimiiiif,"axG",@progbits,_ZN5aiter19grouped_topk_kernelIN3c104HalfEDv4_fLi8ELb1ELb0ELb1EEEvPT_PKS4_PfPimiiiif,comdat
.Lfunc_end8:
	.size	_ZN5aiter19grouped_topk_kernelIN3c104HalfEDv4_fLi8ELb1ELb0ELb1EEEvPT_PKS4_PfPimiiiif, .Lfunc_end8-_ZN5aiter19grouped_topk_kernelIN3c104HalfEDv4_fLi8ELb1ELb0ELb1EEEvPT_PKS4_PfPimiiiif
                                        ; -- End function
	.section	.AMDGPU.csdata,"",@progbits
; Kernel info:
; codeLenInByte = 2640
; NumSgprs: 28
; NumVgprs: 19
; NumAgprs: 0
; TotalNumVgprs: 19
; ScratchSize: 0
; MemoryBound: 0
; FloatMode: 240
; IeeeMode: 1
; LDSByteSize: 0 bytes/workgroup (compile time only)
; SGPRBlocks: 3
; VGPRBlocks: 2
; NumSGPRsForWavesPerEU: 28
; NumVGPRsForWavesPerEU: 19
; AccumOffset: 20
; Occupancy: 8
; WaveLimiterHint : 0
; COMPUTE_PGM_RSRC2:SCRATCH_EN: 0
; COMPUTE_PGM_RSRC2:USER_SGPR: 6
; COMPUTE_PGM_RSRC2:TRAP_HANDLER: 0
; COMPUTE_PGM_RSRC2:TGID_X_EN: 1
; COMPUTE_PGM_RSRC2:TGID_Y_EN: 0
; COMPUTE_PGM_RSRC2:TGID_Z_EN: 0
; COMPUTE_PGM_RSRC2:TIDIG_COMP_CNT: 0
; COMPUTE_PGM_RSRC3_GFX90A:ACCUM_OFFSET: 4
; COMPUTE_PGM_RSRC3_GFX90A:TG_SPLIT: 0
	.section	.text._ZN5aiter19grouped_topk_kernelIN3c108BFloat16EDv4_fLi8ELb1ELb0ELb1EEEvPT_PKS4_PfPimiiiif,"axG",@progbits,_ZN5aiter19grouped_topk_kernelIN3c108BFloat16EDv4_fLi8ELb1ELb0ELb1EEEvPT_PKS4_PfPimiiiif,comdat
	.protected	_ZN5aiter19grouped_topk_kernelIN3c108BFloat16EDv4_fLi8ELb1ELb0ELb1EEEvPT_PKS4_PfPimiiiif ; -- Begin function _ZN5aiter19grouped_topk_kernelIN3c108BFloat16EDv4_fLi8ELb1ELb0ELb1EEEvPT_PKS4_PfPimiiiif
	.globl	_ZN5aiter19grouped_topk_kernelIN3c108BFloat16EDv4_fLi8ELb1ELb0ELb1EEEvPT_PKS4_PfPimiiiif
	.p2align	8
	.type	_ZN5aiter19grouped_topk_kernelIN3c108BFloat16EDv4_fLi8ELb1ELb0ELb1EEEvPT_PKS4_PfPimiiiif,@function
_ZN5aiter19grouped_topk_kernelIN3c108BFloat16EDv4_fLi8ELb1ELb0ELb1EEEvPT_PKS4_PfPimiiiif: ; @_ZN5aiter19grouped_topk_kernelIN3c108BFloat16EDv4_fLi8ELb1ELb0ELb1EEEvPT_PKS4_PfPimiiiif
; %bb.0:
	s_load_dwordx4 s[8:11], s[4:5], 0x28
	s_load_dwordx4 s[12:15], s[4:5], 0x10
	v_mov_b32_e32 v1, 0xff800000
	s_waitcnt lgkmcnt(0)
	v_cmp_gt_i32_e32 vcc, s8, v0
	s_and_saveexec_b64 s[2:3], vcc
	s_cbranch_execz .LBB9_4
; %bb.1:
	s_load_dword s0, s[4:5], 0x4c
	s_load_dwordx2 s[16:17], s[4:5], 0x0
	s_mul_i32 s7, s6, s8
	v_lshl_add_u32 v2, v0, 2, 0
	s_mov_b64 s[18:19], 0
	s_waitcnt lgkmcnt(0)
	s_and_b32 s11, s0, 0xffff
	s_lshl_b32 s20, s11, 2
	v_mov_b32_e32 v1, 0xff800000
	v_mov_b32_e32 v3, s17
	;; [unrolled: 1-line block ×3, first 2 shown]
.LBB9_2:                                ; =>This Inner Loop Header: Depth=1
	v_add_u32_e32 v6, s7, v4
	v_ashrrev_i32_e32 v7, 31, v6
	v_lshlrev_b64 v[6:7], 1, v[6:7]
	v_add_co_u32_e64 v6, s[0:1], s16, v6
	v_addc_co_u32_e64 v7, s[0:1], v3, v7, s[0:1]
	global_load_ushort v5, v[6:7], off
	v_add_u32_e32 v4, s11, v4
	v_cmp_le_i32_e64 s[0:1], s8, v4
	s_or_b64 s[18:19], s[0:1], s[18:19]
	s_waitcnt vmcnt(0)
	v_lshrrev_b16_e32 v6, 8, v5
	v_and_b32_e32 v5, 0xff, v5
	v_lshlrev_b32_e32 v5, 16, v5
	v_lshl_or_b32 v5, v6, 24, v5
	v_cmp_lt_f32_e64 s[0:1], v1, v5
	ds_write_b32 v2, v5
	v_cndmask_b32_e64 v1, v1, v5, s[0:1]
	v_add_u32_e32 v2, s20, v2
	s_andn2_b64 exec, exec, s[18:19]
	s_cbranch_execnz .LBB9_2
; %bb.3:
	s_or_b64 exec, exec, s[18:19]
.LBB9_4:
	s_or_b64 exec, exec, s[2:3]
	v_mov_b32_dpp v2, v1 quad_perm:[1,0,3,2] row_mask:0xf bank_mask:0xf
	v_cmp_lt_f32_e64 s[0:1], v1, v2
	v_cndmask_b32_e64 v1, v1, v2, s[0:1]
	v_bfrev_b32_e32 v3, 0.5
	s_waitcnt lgkmcnt(0)
	v_mov_b32_dpp v2, v1 quad_perm:[2,3,0,1] row_mask:0xf bank_mask:0xf
	v_cmp_lt_f32_e64 s[0:1], v1, v2
	v_cndmask_b32_e64 v1, v1, v2, s[0:1]
	s_barrier
	s_nop 0
	v_mov_b32_dpp v2, v1 row_half_mirror row_mask:0xf bank_mask:0xf
	v_cmp_lt_f32_e64 s[0:1], v1, v2
	v_cndmask_b32_e64 v1, v1, v2, s[0:1]
	s_nop 1
	v_mov_b32_dpp v2, v1 row_mirror row_mask:0xf bank_mask:0xf
	v_cmp_lt_f32_e64 s[0:1], v1, v2
	v_cndmask_b32_e64 v1, v1, v2, s[0:1]
	s_nop 1
	v_mov_b32_dpp v2, v1 row_bcast:15 row_mask:0xf bank_mask:0xf
	v_cmp_lt_f32_e64 s[0:1], v1, v2
	v_cndmask_b32_e64 v1, v1, v2, s[0:1]
	s_nop 1
	v_mov_b32_dpp v2, v1 row_bcast:31 row_mask:0xf bank_mask:0xf
	v_cmp_lt_f32_e64 s[0:1], v1, v2
	v_cndmask_b32_e64 v2, v1, v2, s[0:1]
	v_mbcnt_lo_u32_b32 v1, -1, 0
	v_mbcnt_hi_u32_b32 v1, -1, v1
	v_lshl_or_b32 v1, v1, 2, v3
	ds_bpermute_b32 v3, v1, v2
	v_mov_b32_e32 v2, 0
	s_and_saveexec_b64 s[2:3], vcc
	s_cbranch_execz .LBB9_8
; %bb.5:
	s_load_dword s0, s[4:5], 0x4c
	v_lshl_add_u32 v4, v0, 2, 0
	s_mov_b64 s[16:17], 0
	v_mov_b32_e32 v2, 0
	s_mov_b32 s7, 0x3fb8aa3b
	s_waitcnt lgkmcnt(0)
	s_and_b32 s11, s0, 0xffff
	s_lshl_b32 s18, s11, 2
	s_mov_b32 s19, 0xc2ce8ed0
	s_mov_b32 s20, 0x42b17218
	v_mov_b32_e32 v5, 0x7f800000
	v_mov_b32_e32 v6, v0
.LBB9_6:                                ; =>This Inner Loop Header: Depth=1
	ds_read_b32 v7, v4
	v_add_u32_e32 v6, s11, v6
	s_waitcnt lgkmcnt(0)
	v_sub_f32_e32 v7, v7, v3
	v_mul_f32_e32 v8, 0x3fb8aa3b, v7
	v_fma_f32 v9, v7, s7, -v8
	v_rndne_f32_e32 v10, v8
	v_fmac_f32_e32 v9, 0x32a5705f, v7
	v_sub_f32_e32 v8, v8, v10
	v_add_f32_e32 v8, v8, v9
	v_cvt_i32_f32_e32 v10, v10
	v_exp_f32_e32 v8, v8
	v_cmp_ngt_f32_e64 s[0:1], s19, v7
	v_ldexp_f32 v8, v8, v10
	v_cndmask_b32_e64 v8, 0, v8, s[0:1]
	v_cmp_nlt_f32_e64 s[0:1], s20, v7
	v_cndmask_b32_e64 v7, v5, v8, s[0:1]
	v_cmp_le_i32_e64 s[0:1], s8, v6
	ds_write_b32 v4, v7
	v_add_f32_e32 v2, v2, v7
	s_or_b64 s[16:17], s[0:1], s[16:17]
	v_add_u32_e32 v4, s18, v4
	s_andn2_b64 exec, exec, s[16:17]
	s_cbranch_execnz .LBB9_6
; %bb.7:
	s_or_b64 exec, exec, s[16:17]
.LBB9_8:
	s_or_b64 exec, exec, s[2:3]
	s_waitcnt lgkmcnt(0)
	v_mov_b32_dpp v3, v2 quad_perm:[1,0,3,2] row_mask:0xf bank_mask:0xf
	v_add_f32_e32 v2, v2, v3
	s_barrier
	s_nop 0
	v_mov_b32_dpp v3, v2 quad_perm:[2,3,0,1] row_mask:0xf bank_mask:0xf
	v_add_f32_e32 v2, v2, v3
	s_nop 1
	v_mov_b32_dpp v3, v2 row_half_mirror row_mask:0xf bank_mask:0xf
	v_add_f32_e32 v2, v2, v3
	s_nop 1
	v_mov_b32_dpp v3, v2 row_mirror row_mask:0xf bank_mask:0xf
	v_add_f32_e32 v2, v2, v3
	s_nop 1
	v_mov_b32_dpp v3, v2 row_bcast:15 row_mask:0xf bank_mask:0xf
	v_add_f32_e32 v2, v2, v3
	s_nop 1
	v_mov_b32_dpp v3, v2 row_bcast:31 row_mask:0xf bank_mask:0xf
	v_add_f32_e32 v2, v2, v3
	ds_bpermute_b32 v1, v1, v2
	s_and_saveexec_b64 s[0:1], vcc
	s_cbranch_execz .LBB9_11
; %bb.9:
	s_load_dword s7, s[4:5], 0x4c
	v_lshl_add_u32 v2, v0, 2, 0
	s_mov_b64 s[2:3], 0
	v_mov_b32_e32 v3, v0
	s_waitcnt lgkmcnt(0)
	s_and_b32 s7, s7, 0xffff
	s_lshl_b32 s11, s7, 2
.LBB9_10:                               ; =>This Inner Loop Header: Depth=1
	ds_read_b32 v4, v2
	v_add_u32_e32 v3, s7, v3
	v_cmp_le_i32_e32 vcc, s8, v3
	s_or_b64 s[2:3], vcc, s[2:3]
	s_waitcnt lgkmcnt(0)
	v_div_scale_f32 v5, s[16:17], v1, v1, v4
	v_rcp_f32_e32 v6, v5
	v_div_scale_f32 v7, vcc, v4, v1, v4
	v_fma_f32 v8, -v5, v6, 1.0
	v_fmac_f32_e32 v6, v8, v6
	v_mul_f32_e32 v8, v7, v6
	v_fma_f32 v9, -v5, v8, v7
	v_fmac_f32_e32 v8, v9, v6
	v_fma_f32 v5, -v5, v8, v7
	v_div_fmas_f32 v5, v5, v6, v8
	v_div_fixup_f32 v4, v5, v1, v4
	ds_write_b32 v2, v4
	v_add_u32_e32 v2, s11, v2
	s_andn2_b64 exec, exec, s[2:3]
	s_cbranch_execnz .LBB9_10
.LBB9_11:
	s_or_b64 exec, exec, s[0:1]
	s_ashr_i32 s20, s8, 31
	s_lshr_b32 s0, s20, 29
	s_add_i32 s0, s8, s0
	s_ashr_i32 s11, s0, 3
	s_lshl_b32 s0, s8, 2
	s_add_i32 s7, s0, 0
	v_cmp_gt_u32_e32 vcc, 8, v0
	s_waitcnt lgkmcnt(0)
	s_barrier
	s_and_saveexec_b64 s[2:3], vcc
	s_cbranch_execz .LBB9_18
; %bb.12:
	s_load_dword s0, s[4:5], 0x4c
	v_mul_lo_u32 v1, v0, s11
	v_lshl_add_u32 v1, v1, 2, 0
	s_waitcnt lgkmcnt(0)
	s_and_b32 s21, s0, 0xffff
	s_cmp_gt_i32 s8, 7
	s_cselect_b64 s[0:1], -1, 0
	s_mul_i32 s16, s11, s21
	v_cndmask_b32_e64 v2, 0, 1, s[0:1]
	s_lshl_b32 s22, s16, 2
	s_mov_b64 s[16:17], 0
	v_cmp_ne_u32_e64 s[0:1], 1, v2
	v_mov_b32_e32 v2, v0
	s_branch .LBB9_14
.LBB9_13:                               ;   in Loop: Header=BB9_14 Depth=1
	v_lshl_add_u32 v4, v2, 2, s7
	v_add_u32_e32 v2, s21, v2
	v_cmp_lt_u32_e32 vcc, 7, v2
	s_or_b64 s[16:17], vcc, s[16:17]
	v_add_u32_e32 v1, s22, v1
	ds_write_b32 v4, v3
	s_andn2_b64 exec, exec, s[16:17]
	s_cbranch_execz .LBB9_18
.LBB9_14:                               ; =>This Loop Header: Depth=1
                                        ;     Child Loop BB9_16 Depth 2
	s_and_b64 vcc, exec, s[0:1]
	v_mov_b32_e32 v3, 0xff800000
	s_cbranch_vccnz .LBB9_13
; %bb.15:                               ;   in Loop: Header=BB9_14 Depth=1
	v_mul_lo_u32 v4, v2, s11
	v_add_u32_e32 v5, s11, v4
	s_mov_b64 s[18:19], 0
	v_mov_b32_e32 v3, 0xff800000
	v_mov_b32_e32 v6, v1
.LBB9_16:                               ;   Parent Loop BB9_14 Depth=1
                                        ; =>  This Inner Loop Header: Depth=2
	ds_read_b32 v7, v6
	v_add_u32_e32 v4, 1, v4
	v_cmp_ge_i32_e32 vcc, v4, v5
	s_or_b64 s[18:19], vcc, s[18:19]
	v_add_u32_e32 v6, 4, v6
	s_waitcnt lgkmcnt(0)
	v_cmp_gt_f32_e32 vcc, v7, v3
	v_cndmask_b32_e32 v3, v3, v7, vcc
	s_andn2_b64 exec, exec, s[18:19]
	s_cbranch_execnz .LBB9_16
; %bb.17:                               ;   in Loop: Header=BB9_14 Depth=1
	s_or_b64 exec, exec, s[18:19]
	s_branch .LBB9_13
.LBB9_18:
	s_or_b64 exec, exec, s[2:3]
	s_cmp_lt_i32 s10, 1
	s_waitcnt lgkmcnt(0)
	s_barrier
	s_cbranch_scc1 .LBB9_21
; %bb.19:
	v_mov_b32_e32 v1, s7
	s_mov_b32 s0, 0xff800000
	v_mov_b32_e32 v2, 0xff800000
.LBB9_20:                               ; =>This Inner Loop Header: Depth=1
	ds_read2_b32 v[4:5], v1 offset1:1
	ds_read2_b32 v[6:7], v1 offset0:2 offset1:3
	ds_read2_b32 v[8:9], v1 offset0:4 offset1:5
	;; [unrolled: 1-line block ×3, first 2 shown]
	s_waitcnt lgkmcnt(3)
	v_cmp_nlg_f32_e32 vcc, s0, v4
	v_cndmask_b32_e64 v3, 0, 1, vcc
	v_cmp_lg_f32_e32 vcc, s0, v4
	v_readfirstlane_b32 s1, v3
	v_cndmask_b32_e32 v3, v2, v4, vcc
	v_cmp_gt_f32_e32 vcc, v5, v3
	s_lshl_b32 s1, s1, 3
	v_cndmask_b32_e32 v3, v3, v5, vcc
	s_and_b64 s[2:3], vcc, exec
	s_waitcnt lgkmcnt(2)
	v_cmp_gt_f32_e32 vcc, v6, v3
	v_cndmask_b32_e32 v3, v3, v6, vcc
	s_cselect_b32 s1, 1, s1
	s_and_b64 s[2:3], vcc, exec
	v_cmp_gt_f32_e32 vcc, v7, v3
	v_cndmask_b32_e32 v3, v3, v7, vcc
	s_cselect_b32 s1, 2, s1
	s_and_b64 s[2:3], vcc, exec
	s_waitcnt lgkmcnt(1)
	v_cmp_gt_f32_e32 vcc, v8, v3
	v_cndmask_b32_e32 v3, v3, v8, vcc
	s_cselect_b32 s1, 3, s1
	s_and_b64 s[2:3], vcc, exec
	v_cmp_gt_f32_e32 vcc, v9, v3
	v_cndmask_b32_e32 v3, v3, v9, vcc
	s_cselect_b32 s1, 4, s1
	s_and_b64 s[2:3], vcc, exec
	s_waitcnt lgkmcnt(0)
	v_cmp_gt_f32_e32 vcc, v10, v3
	v_cndmask_b32_e32 v3, v3, v10, vcc
	s_cselect_b32 s1, 5, s1
	s_and_b64 s[2:3], vcc, exec
	v_cmp_ngt_f32_e32 vcc, v11, v3
	s_cselect_b32 s1, 6, s1
	s_and_b64 s[2:3], vcc, exec
	s_cselect_b32 s1, s1, 7
	s_lshl_b32 s1, s1, 2
	s_add_i32 s1, s7, s1
	s_add_i32 s10, s10, -1
	v_mov_b32_e32 v3, s1
	s_cmp_lg_u32 s10, 0
	ds_write_b32 v3, v2
	s_cbranch_scc1 .LBB9_20
.LBB9_21:
	s_lshr_b32 s0, s20, 30
	s_add_i32 s0, s8, s0
	s_ashr_i32 s8, s0, 2
	v_cmp_gt_i32_e32 vcc, s8, v0
	v_lshlrev_b32_e32 v1, 2, v0
	v_lshl_add_u32 v6, v0, 4, 0
	s_and_saveexec_b64 s[2:3], vcc
	s_cbranch_execz .LBB9_26
; %bb.22:
	s_abs_i32 s18, s11
	v_cvt_f32_u32_e32 v2, s18
	s_load_dword s0, s[4:5], 0x4c
	s_sub_i32 s1, 0, s18
	s_ashr_i32 s19, s11, 31
	v_rcp_iflag_f32_e32 v2, v2
	v_lshlrev_b32_e32 v7, 2, v0
	s_waitcnt lgkmcnt(0)
	s_and_b32 s20, s0, 0xffff
	v_lshl_add_u32 v8, v0, 4, 0
	v_mul_f32_e32 v2, 0x4f7ffffe, v2
	v_cvt_u32_f32_e32 v2, v2
	s_mov_b64 s[10:11], 0
	s_lshl_b32 s21, s20, 2
	s_lshl_b32 s22, s20, 4
	v_mul_lo_u32 v3, s1, v2
	v_mul_hi_u32 v3, v2, v3
	v_add_u32_e32 v9, v2, v3
	s_mov_b32 s23, 0xff800000
	v_mov_b32_e32 v2, 0xff800000
	v_mov_b32_e32 v10, v0
	s_branch .LBB9_24
.LBB9_23:                               ;   in Loop: Header=BB9_24 Depth=1
	s_or_b64 exec, exec, s[16:17]
	v_add_u32_e32 v10, s20, v10
	v_cmp_le_i32_e64 s[0:1], s8, v10
	v_add_u32_e32 v7, s21, v7
	s_or_b64 s[10:11], s[0:1], s[10:11]
	v_add_u32_e32 v8, s22, v8
	s_andn2_b64 exec, exec, s[10:11]
	s_cbranch_execz .LBB9_26
.LBB9_24:                               ; =>This Inner Loop Header: Depth=1
	v_mul_hi_u32 v3, v7, v9
	v_mul_lo_u32 v4, v3, s18
	v_sub_u32_e32 v4, v7, v4
	v_add_u32_e32 v5, 1, v3
	v_cmp_le_u32_e64 s[0:1], s18, v4
	v_cndmask_b32_e64 v3, v3, v5, s[0:1]
	v_subrev_u32_e32 v5, s18, v4
	v_cndmask_b32_e64 v4, v4, v5, s[0:1]
	v_add_u32_e32 v5, 1, v3
	v_cmp_le_u32_e64 s[0:1], s18, v4
	v_cndmask_b32_e64 v3, v3, v5, s[0:1]
	v_xor_b32_e32 v3, s19, v3
	v_subrev_u32_e32 v3, s19, v3
	v_lshl_add_u32 v3, v3, 2, s7
	ds_read_b32 v3, v3
	s_waitcnt lgkmcnt(0)
	v_cmp_neq_f32_e64 s[0:1], s23, v3
	s_and_saveexec_b64 s[16:17], s[0:1]
	s_cbranch_execz .LBB9_23
; %bb.25:                               ;   in Loop: Header=BB9_24 Depth=1
	v_mov_b32_e32 v3, v2
	v_mov_b32_e32 v4, v2
	;; [unrolled: 1-line block ×3, first 2 shown]
	ds_write_b128 v8, v[2:5]
	s_branch .LBB9_23
.LBB9_26:
	s_or_b64 exec, exec, s[2:3]
	s_cmp_lt_i32 s9, 1
	s_waitcnt lgkmcnt(0)
	s_barrier
	s_cbranch_scc1 .LBB9_33
; %bb.27:
	s_add_u32 s2, s4, 64
	s_addc_u32 s3, s5, 0
	s_mov_b32 s7, 0
	v_mov_b32_e32 v3, 0
	v_mov_b32_e32 v5, 0xff800000
                                        ; implicit-def: $vgpr4
                                        ; implicit-def: $vgpr2
	s_branch .LBB9_29
.LBB9_28:                               ;   in Loop: Header=BB9_29 Depth=1
	s_or_b64 exec, exec, s[10:11]
	v_mov_b32_dpp v10, v8 quad_perm:[1,0,3,2] row_mask:0xf bank_mask:0xf
	v_cmp_lt_f32_e64 s[0:1], v8, v10
	v_cndmask_b32_e64 v8, v8, v10, s[0:1]
	v_mov_b32_dpp v9, v7 quad_perm:[1,0,3,2] row_mask:0xf bank_mask:0xf
	v_cndmask_b32_e64 v7, v7, v9, s[0:1]
	v_mov_b32_dpp v10, v8 quad_perm:[2,3,0,1] row_mask:0xf bank_mask:0xf
	v_cmp_gt_f32_e64 s[0:1], v10, v8
	v_cndmask_b32_e64 v8, v8, v10, s[0:1]
	v_mov_b32_dpp v9, v7 quad_perm:[2,3,0,1] row_mask:0xf bank_mask:0xf
	v_cndmask_b32_e64 v7, v7, v9, s[0:1]
	v_mov_b32_dpp v10, v8 row_half_mirror row_mask:0xf bank_mask:0xf
	v_cmp_gt_f32_e64 s[0:1], v10, v8
	v_cndmask_b32_e64 v8, v8, v10, s[0:1]
	v_mov_b32_dpp v9, v7 row_half_mirror row_mask:0xf bank_mask:0xf
	v_cndmask_b32_e64 v7, v7, v9, s[0:1]
	v_mov_b32_dpp v10, v8 row_mirror row_mask:0xf bank_mask:0xf
	v_cmp_gt_f32_e64 s[0:1], v10, v8
	v_cndmask_b32_e64 v8, v8, v10, s[0:1]
	v_mov_b32_dpp v9, v7 row_mirror row_mask:0xf bank_mask:0xf
	v_cndmask_b32_e64 v7, v7, v9, s[0:1]
	v_mov_b32_dpp v10, v8 row_bcast:15 row_mask:0xf bank_mask:0xf
	v_cmp_gt_f32_e64 s[0:1], v10, v8
	v_mov_b32_dpp v9, v7 row_bcast:15 row_mask:0xf bank_mask:0xf
	v_cndmask_b32_e64 v8, v8, v10, s[0:1]
	v_cndmask_b32_e64 v7, v7, v9, s[0:1]
	s_nop 0
	v_mov_b32_dpp v10, v8 row_bcast:31 row_mask:0xf bank_mask:0xf
	v_mov_b32_dpp v9, v7 row_bcast:31 row_mask:0xf bank_mask:0xf
	v_cmp_gt_f32_e64 s[0:1], v10, v8
	v_cndmask_b32_e64 v7, v7, v9, s[0:1]
	v_cndmask_b32_e64 v8, v8, v10, s[0:1]
	v_readlane_b32 s0, v7, 63
	s_lshl_b32 s1, s0, 2
	s_add_i32 s1, s1, 0
	v_mov_b32_e32 v7, s1
	v_readlane_b32 s10, v8, 63
	ds_write_b32 v7, v5
	v_mov_b32_e32 v7, s0
	v_cmp_eq_u32_e64 s[0:1], s7, v0
	v_cndmask_b32_e64 v2, v2, v7, s[0:1]
	v_mov_b32_e32 v7, s10
	s_add_i32 s7, s7, 1
	v_cndmask_b32_e64 v4, v4, v7, s[0:1]
	s_cmp_eq_u32 s7, s9
	v_add_f32_e32 v3, s10, v3
	s_cbranch_scc1 .LBB9_34
.LBB9_29:                               ; =>This Loop Header: Depth=1
                                        ;     Child Loop BB9_31 Depth 2
	v_mov_b32_e32 v7, s7
	v_mov_b32_e32 v8, 0xff800000
	s_and_saveexec_b64 s[10:11], vcc
	s_cbranch_execz .LBB9_28
; %bb.30:                               ;   in Loop: Header=BB9_29 Depth=1
	s_load_dword s0, s[2:3], 0xc
	s_mov_b64 s[16:17], 0
	v_mov_b32_e32 v7, s7
	v_mov_b32_e32 v8, 0xff800000
	;; [unrolled: 1-line block ×3, first 2 shown]
	s_waitcnt lgkmcnt(0)
	s_and_b32 s18, s0, 0xffff
	s_lshl_b32 s19, s18, 2
	s_lshl_b32 s20, s18, 4
	v_mov_b32_e32 v10, v1
	v_mov_b32_e32 v11, v0
.LBB9_31:                               ;   Parent Loop BB9_29 Depth=1
                                        ; =>  This Inner Loop Header: Depth=2
	ds_read_b128 v[12:15], v9
	v_add_u32_e32 v11, s18, v11
	v_cmp_le_i32_e64 s[0:1], s8, v11
	s_or_b64 s[16:17], s[0:1], s[16:17]
	v_add_u32_e32 v16, 1, v10
	s_waitcnt lgkmcnt(0)
	v_cmp_gt_f32_e64 s[0:1], v12, v8
	v_cndmask_b32_e64 v8, v8, v12, s[0:1]
	v_cndmask_b32_e64 v7, v7, v10, s[0:1]
	v_cmp_gt_f32_e64 s[0:1], v13, v8
	v_cndmask_b32_e64 v8, v8, v13, s[0:1]
	v_cndmask_b32_e64 v7, v7, v16, s[0:1]
	v_cmp_gt_f32_e64 s[0:1], v14, v8
	v_add_u32_e32 v17, 2, v10
	v_cndmask_b32_e64 v8, v8, v14, s[0:1]
	v_add_u32_e32 v18, 3, v10
	v_cndmask_b32_e64 v7, v7, v17, s[0:1]
	v_cmp_gt_f32_e64 s[0:1], v15, v8
	v_add_u32_e32 v9, s20, v9
	v_add_u32_e32 v10, s19, v10
	v_cndmask_b32_e64 v8, v8, v15, s[0:1]
	v_cndmask_b32_e64 v7, v7, v18, s[0:1]
	s_andn2_b64 exec, exec, s[16:17]
	s_cbranch_execnz .LBB9_31
; %bb.32:                               ;   in Loop: Header=BB9_29 Depth=1
	s_or_b64 exec, exec, s[16:17]
	s_branch .LBB9_28
.LBB9_33:
	v_mov_b32_e32 v3, 0
                                        ; implicit-def: $vgpr4
                                        ; implicit-def: $vgpr2
.LBB9_34:
	v_cmp_gt_i32_e32 vcc, s9, v0
	s_and_saveexec_b64 s[0:1], vcc
	s_cbranch_execz .LBB9_37
; %bb.35:
	s_load_dword s7, s[4:5], 0x38
	s_load_dwordx2 s[0:1], s[4:5], 0x20
	s_load_dword s8, s[4:5], 0x4c
	s_waitcnt lgkmcnt(0)
	v_div_scale_f32 v1, s[2:3], v3, v3, s7
	v_rcp_f32_e32 v5, v1
	v_div_scale_f32 v6, vcc, s7, v3, s7
	s_ashr_i32 s2, s6, 31
	v_fma_f32 v7, -v1, v5, 1.0
	v_fmac_f32_e32 v5, v7, v5
	v_mul_f32_e32 v7, v6, v5
	v_fma_f32 v8, -v1, v7, v6
	v_fmac_f32_e32 v7, v8, v5
	v_fma_f32 v1, -v1, v7, v6
	s_mul_i32 s1, s6, s1
	s_mul_hi_u32 s3, s6, s0
	v_div_fmas_f32 v1, v1, v5, v7
	s_add_i32 s1, s3, s1
	s_mul_i32 s2, s2, s0
	v_div_fixup_f32 v1, v1, v3, s7
	s_add_i32 s4, s1, s2
	v_mul_f32_e32 v1, v1, v4
	s_mul_i32 s2, s6, s0
	s_and_b32 s3, s8, 0xffff
	s_mov_b64 s[0:1], 0
	v_mov_b32_e32 v3, s4
	v_mov_b32_e32 v4, s13
	v_mov_b32_e32 v5, s15
.LBB9_36:                               ; =>This Inner Loop Header: Depth=1
	v_ashrrev_i32_e32 v7, 31, v0
	v_add_co_u32_e32 v6, vcc, s2, v0
	v_addc_co_u32_e32 v7, vcc, v3, v7, vcc
	v_add_u32_e32 v0, s3, v0
	v_cmp_le_i32_e32 vcc, s9, v0
	v_lshlrev_b64 v[6:7], 2, v[6:7]
	s_or_b64 s[0:1], vcc, s[0:1]
	v_add_co_u32_e32 v8, vcc, s12, v6
	v_addc_co_u32_e32 v9, vcc, v4, v7, vcc
	v_add_co_u32_e32 v6, vcc, s14, v6
	v_addc_co_u32_e32 v7, vcc, v5, v7, vcc
	global_store_dword v[8:9], v1, off
	global_store_dword v[6:7], v2, off
	s_andn2_b64 exec, exec, s[0:1]
	s_cbranch_execnz .LBB9_36
.LBB9_37:
	s_endpgm
	.section	.rodata,"a",@progbits
	.p2align	6, 0x0
	.amdhsa_kernel _ZN5aiter19grouped_topk_kernelIN3c108BFloat16EDv4_fLi8ELb1ELb0ELb1EEEvPT_PKS4_PfPimiiiif
		.amdhsa_group_segment_fixed_size 0
		.amdhsa_private_segment_fixed_size 0
		.amdhsa_kernarg_size 320
		.amdhsa_user_sgpr_count 6
		.amdhsa_user_sgpr_private_segment_buffer 1
		.amdhsa_user_sgpr_dispatch_ptr 0
		.amdhsa_user_sgpr_queue_ptr 0
		.amdhsa_user_sgpr_kernarg_segment_ptr 1
		.amdhsa_user_sgpr_dispatch_id 0
		.amdhsa_user_sgpr_flat_scratch_init 0
		.amdhsa_user_sgpr_kernarg_preload_length 0
		.amdhsa_user_sgpr_kernarg_preload_offset 0
		.amdhsa_user_sgpr_private_segment_size 0
		.amdhsa_uses_dynamic_stack 0
		.amdhsa_system_sgpr_private_segment_wavefront_offset 0
		.amdhsa_system_sgpr_workgroup_id_x 1
		.amdhsa_system_sgpr_workgroup_id_y 0
		.amdhsa_system_sgpr_workgroup_id_z 0
		.amdhsa_system_sgpr_workgroup_info 0
		.amdhsa_system_vgpr_workitem_id 0
		.amdhsa_next_free_vgpr 19
		.amdhsa_next_free_sgpr 24
		.amdhsa_accum_offset 20
		.amdhsa_reserve_vcc 1
		.amdhsa_reserve_flat_scratch 0
		.amdhsa_float_round_mode_32 0
		.amdhsa_float_round_mode_16_64 0
		.amdhsa_float_denorm_mode_32 3
		.amdhsa_float_denorm_mode_16_64 3
		.amdhsa_dx10_clamp 1
		.amdhsa_ieee_mode 1
		.amdhsa_fp16_overflow 0
		.amdhsa_tg_split 0
		.amdhsa_exception_fp_ieee_invalid_op 0
		.amdhsa_exception_fp_denorm_src 0
		.amdhsa_exception_fp_ieee_div_zero 0
		.amdhsa_exception_fp_ieee_overflow 0
		.amdhsa_exception_fp_ieee_underflow 0
		.amdhsa_exception_fp_ieee_inexact 0
		.amdhsa_exception_int_div_zero 0
	.end_amdhsa_kernel
	.section	.text._ZN5aiter19grouped_topk_kernelIN3c108BFloat16EDv4_fLi8ELb1ELb0ELb1EEEvPT_PKS4_PfPimiiiif,"axG",@progbits,_ZN5aiter19grouped_topk_kernelIN3c108BFloat16EDv4_fLi8ELb1ELb0ELb1EEEvPT_PKS4_PfPimiiiif,comdat
.Lfunc_end9:
	.size	_ZN5aiter19grouped_topk_kernelIN3c108BFloat16EDv4_fLi8ELb1ELb0ELb1EEEvPT_PKS4_PfPimiiiif, .Lfunc_end9-_ZN5aiter19grouped_topk_kernelIN3c108BFloat16EDv4_fLi8ELb1ELb0ELb1EEEvPT_PKS4_PfPimiiiif
                                        ; -- End function
	.section	.AMDGPU.csdata,"",@progbits
; Kernel info:
; codeLenInByte = 2660
; NumSgprs: 28
; NumVgprs: 19
; NumAgprs: 0
; TotalNumVgprs: 19
; ScratchSize: 0
; MemoryBound: 0
; FloatMode: 240
; IeeeMode: 1
; LDSByteSize: 0 bytes/workgroup (compile time only)
; SGPRBlocks: 3
; VGPRBlocks: 2
; NumSGPRsForWavesPerEU: 28
; NumVGPRsForWavesPerEU: 19
; AccumOffset: 20
; Occupancy: 8
; WaveLimiterHint : 0
; COMPUTE_PGM_RSRC2:SCRATCH_EN: 0
; COMPUTE_PGM_RSRC2:USER_SGPR: 6
; COMPUTE_PGM_RSRC2:TRAP_HANDLER: 0
; COMPUTE_PGM_RSRC2:TGID_X_EN: 1
; COMPUTE_PGM_RSRC2:TGID_Y_EN: 0
; COMPUTE_PGM_RSRC2:TGID_Z_EN: 0
; COMPUTE_PGM_RSRC2:TIDIG_COMP_CNT: 0
; COMPUTE_PGM_RSRC3_GFX90A:ACCUM_OFFSET: 4
; COMPUTE_PGM_RSRC3_GFX90A:TG_SPLIT: 0
	.section	.text._ZN5aiter19grouped_topk_kernelIfDv4_fLi8ELb1ELb0ELb0EEEvPT_PKS2_PfPimiiiif,"axG",@progbits,_ZN5aiter19grouped_topk_kernelIfDv4_fLi8ELb1ELb0ELb0EEEvPT_PKS2_PfPimiiiif,comdat
	.protected	_ZN5aiter19grouped_topk_kernelIfDv4_fLi8ELb1ELb0ELb0EEEvPT_PKS2_PfPimiiiif ; -- Begin function _ZN5aiter19grouped_topk_kernelIfDv4_fLi8ELb1ELb0ELb0EEEvPT_PKS2_PfPimiiiif
	.globl	_ZN5aiter19grouped_topk_kernelIfDv4_fLi8ELb1ELb0ELb0EEEvPT_PKS2_PfPimiiiif
	.p2align	8
	.type	_ZN5aiter19grouped_topk_kernelIfDv4_fLi8ELb1ELb0ELb0EEEvPT_PKS2_PfPimiiiif,@function
_ZN5aiter19grouped_topk_kernelIfDv4_fLi8ELb1ELb0ELb0EEEvPT_PKS2_PfPimiiiif: ; @_ZN5aiter19grouped_topk_kernelIfDv4_fLi8ELb1ELb0ELb0EEEvPT_PKS2_PfPimiiiif
; %bb.0:
	s_load_dwordx4 s[12:15], s[4:5], 0x28
	s_load_dwordx4 s[16:19], s[4:5], 0x10
	s_waitcnt lgkmcnt(0)
	s_ashr_i32 s15, s12, 31
	s_lshr_b32 s0, s15, 30
	s_add_i32 s0, s12, s0
	s_ashr_i32 s7, s0, 2
	v_cmp_gt_i32_e64 s[0:1], s7, v0
	s_and_saveexec_b64 s[20:21], s[0:1]
	s_cbranch_execz .LBB10_3
; %bb.1:
	s_load_dword s10, s[4:5], 0x4c
	s_load_dwordx2 s[2:3], s[4:5], 0x0
	s_mul_i32 s8, s6, s12
	s_ashr_i32 s9, s8, 31
	s_lshl_b64 s[8:9], s[8:9], 2
	s_waitcnt lgkmcnt(0)
	s_and_b32 s24, s10, 0xffff
	s_add_u32 s2, s2, s8
	v_lshlrev_b32_e32 v1, 4, v0
	s_addc_u32 s3, s3, s9
	s_mov_b32 s11, 0
	v_mov_b32_e32 v2, s3
	v_add_co_u32_e32 v6, vcc, s2, v1
	v_addc_co_u32_e32 v7, vcc, 0, v2, vcc
	s_lshl_b32 s25, s24, 4
	v_add_u32_e32 v1, 0, v1
	s_mov_b64 s[22:23], 0
	s_mov_b32 s26, 0xbfb8aa3b
	s_mov_b32 s27, 0x42ce8ed0
	;; [unrolled: 1-line block ×3, first 2 shown]
	v_mov_b32_e32 v8, 0x7f800000
	v_mov_b32_e32 v9, s11
	;; [unrolled: 1-line block ×3, first 2 shown]
.LBB10_2:                               ; =>This Inner Loop Header: Depth=1
	global_load_dwordx4 v[2:5], v[6:7], off
	v_add_co_u32_e32 v6, vcc, s25, v6
	v_add_u32_e32 v10, s24, v10
	v_addc_co_u32_e32 v7, vcc, v7, v9, vcc
	v_cmp_le_i32_e32 vcc, s7, v10
	s_or_b64 s[22:23], vcc, s[22:23]
	s_waitcnt vmcnt(0)
	v_mul_f32_e32 v11, 0xbfb8aa3b, v3
	v_mul_f32_e32 v12, 0xbfb8aa3b, v2
	v_rndne_f32_e32 v15, v11
	v_fma_f32 v16, v3, s26, -v11
	v_rndne_f32_e32 v17, v12
	v_fma_f32 v18, v2, s26, -v12
	v_mul_f32_e32 v13, 0xbfb8aa3b, v5
	v_mul_f32_e32 v14, 0xbfb8aa3b, v4
	v_sub_f32_e32 v11, v11, v15
	v_fmac_f32_e32 v16, 0xb2a5705f, v3
	v_sub_f32_e32 v12, v12, v17
	v_fmac_f32_e32 v18, 0xb2a5705f, v2
	v_rndne_f32_e32 v19, v13
	v_fma_f32 v20, v5, s26, -v13
	v_rndne_f32_e32 v21, v14
	v_fma_f32 v22, v4, s26, -v14
	v_add_f32_e32 v11, v11, v16
	v_add_f32_e32 v12, v12, v18
	v_cvt_i32_f32_e32 v15, v15
	v_cvt_i32_f32_e32 v17, v17
	v_sub_f32_e32 v13, v13, v19
	v_fmac_f32_e32 v20, 0xb2a5705f, v5
	v_sub_f32_e32 v14, v14, v21
	v_fmac_f32_e32 v22, 0xb2a5705f, v4
	v_exp_f32_e32 v11, v11
	v_exp_f32_e32 v12, v12
	v_add_f32_e32 v13, v13, v20
	v_add_f32_e32 v14, v14, v22
	v_cvt_i32_f32_e32 v19, v19
	v_cvt_i32_f32_e32 v21, v21
	v_exp_f32_e32 v13, v13
	v_exp_f32_e32 v14, v14
	v_ldexp_f32 v11, v11, v15
	v_ldexp_f32 v12, v12, v17
	v_cmp_nlt_f32_e32 vcc, s27, v2
	v_cmp_nlt_f32_e64 s[10:11], s27, v3
	v_cndmask_b32_e64 v11, 0, v11, s[10:11]
	v_cndmask_b32_e32 v12, 0, v12, vcc
	v_cmp_ngt_f32_e32 vcc, s28, v2
	v_cmp_ngt_f32_e64 s[10:11], s28, v3
	v_ldexp_f32 v13, v13, v19
	v_cmp_nlt_f32_e64 s[2:3], s27, v5
	v_ldexp_f32 v14, v14, v21
	v_cmp_nlt_f32_e64 s[8:9], s27, v4
	v_cndmask_b32_e64 v3, v8, v11, s[10:11]
	v_cndmask_b32_e32 v2, v8, v12, vcc
	v_cndmask_b32_e64 v13, 0, v13, s[2:3]
	v_cmp_ngt_f32_e64 s[2:3], s28, v5
	v_cndmask_b32_e64 v14, 0, v14, s[8:9]
	v_cmp_ngt_f32_e64 s[8:9], s28, v4
	v_pk_add_f32 v[2:3], v[2:3], 1.0 op_sel_hi:[1,0]
	v_cndmask_b32_e64 v5, v8, v13, s[2:3]
	v_cndmask_b32_e64 v4, v8, v14, s[8:9]
	v_div_scale_f32 v11, s[2:3], v3, v3, 1.0
	v_pk_add_f32 v[4:5], v[4:5], 1.0 op_sel_hi:[1,0]
	v_div_scale_f32 v13, s[2:3], v2, v2, 1.0
	v_rcp_f32_e32 v19, v11
	v_div_scale_f32 v15, s[8:9], v5, v5, 1.0
	v_rcp_f32_e32 v20, v13
	;; [unrolled: 2-line block ×3, first 2 shown]
	v_rcp_f32_e32 v22, v17
	v_fma_f32 v23, -v11, v19, 1.0
	v_div_scale_f32 v12, vcc, 1.0, v3, 1.0
	v_fma_f32 v24, -v13, v20, 1.0
	v_fmac_f32_e32 v19, v23, v19
	v_div_scale_f32 v14, s[2:3], 1.0, v2, 1.0
	v_fma_f32 v25, -v15, v21, 1.0
	v_fmac_f32_e32 v20, v24, v20
	v_mul_f32_e32 v23, v12, v19
	v_div_scale_f32 v16, s[8:9], 1.0, v5, 1.0
	v_fma_f32 v26, -v17, v22, 1.0
	v_fmac_f32_e32 v21, v25, v21
	v_mul_f32_e32 v24, v14, v20
	v_fma_f32 v27, -v11, v23, v12
	v_div_scale_f32 v18, s[10:11], 1.0, v4, 1.0
	v_fmac_f32_e32 v22, v26, v22
	v_mul_f32_e32 v25, v16, v21
	v_fma_f32 v28, -v13, v24, v14
	v_fmac_f32_e32 v23, v27, v19
	v_mul_f32_e32 v26, v18, v22
	v_fma_f32 v29, -v15, v25, v16
	v_fmac_f32_e32 v24, v28, v20
	v_fma_f32 v11, -v11, v23, v12
	v_fma_f32 v30, -v17, v26, v18
	v_fmac_f32_e32 v25, v29, v21
	v_fma_f32 v12, -v13, v24, v14
	v_div_fmas_f32 v11, v11, v19, v23
	s_mov_b64 vcc, s[2:3]
	v_fmac_f32_e32 v26, v30, v22
	v_fma_f32 v13, -v15, v25, v16
	v_div_fixup_f32 v3, v11, v3, 1.0
	v_div_fmas_f32 v11, v12, v20, v24
	s_mov_b64 vcc, s[8:9]
	v_fma_f32 v14, -v17, v26, v18
	v_div_fixup_f32 v2, v11, v2, 1.0
	v_div_fmas_f32 v11, v13, v21, v25
	s_mov_b64 vcc, s[10:11]
	v_div_fixup_f32 v5, v11, v5, 1.0
	v_div_fmas_f32 v11, v14, v22, v26
	v_div_fixup_f32 v4, v11, v4, 1.0
	ds_write_b128 v1, v[2:5]
	v_add_u32_e32 v1, s25, v1
	s_andn2_b64 exec, exec, s[22:23]
	s_cbranch_execnz .LBB10_2
.LBB10_3:
	s_or_b64 exec, exec, s[20:21]
	s_lshr_b32 s2, s15, 29
	s_add_i32 s2, s12, s2
	s_ashr_i32 s22, s2, 3
	s_lshl_b32 s2, s12, 2
	s_add_i32 s15, s2, 0
	v_cmp_gt_u32_e32 vcc, 8, v0
	s_waitcnt lgkmcnt(0)
	s_barrier
	s_and_saveexec_b64 s[8:9], vcc
	s_cbranch_execz .LBB10_10
; %bb.4:
	s_load_dword s2, s[4:5], 0x4c
	v_mul_lo_u32 v1, v0, s22
	v_lshl_add_u32 v1, v1, 2, 0
	s_waitcnt lgkmcnt(0)
	s_and_b32 s23, s2, 0xffff
	s_cmp_gt_i32 s12, 7
	s_cselect_b64 s[2:3], -1, 0
	s_mul_i32 s10, s22, s23
	v_cndmask_b32_e64 v2, 0, 1, s[2:3]
	s_lshl_b32 s12, s10, 2
	s_mov_b64 s[10:11], 0
	v_cmp_ne_u32_e64 s[2:3], 1, v2
	v_mov_b32_e32 v2, v0
	s_branch .LBB10_6
.LBB10_5:                               ;   in Loop: Header=BB10_6 Depth=1
	v_lshl_add_u32 v4, v2, 2, s15
	v_add_u32_e32 v2, s23, v2
	v_cmp_lt_u32_e32 vcc, 7, v2
	s_or_b64 s[10:11], vcc, s[10:11]
	v_add_u32_e32 v1, s12, v1
	ds_write_b32 v4, v3
	s_andn2_b64 exec, exec, s[10:11]
	s_cbranch_execz .LBB10_10
.LBB10_6:                               ; =>This Loop Header: Depth=1
                                        ;     Child Loop BB10_8 Depth 2
	s_and_b64 vcc, exec, s[2:3]
	v_mov_b32_e32 v3, 0xff800000
	s_cbranch_vccnz .LBB10_5
; %bb.7:                                ;   in Loop: Header=BB10_6 Depth=1
	v_mul_lo_u32 v4, v2, s22
	v_add_u32_e32 v5, s22, v4
	s_mov_b64 s[20:21], 0
	v_mov_b32_e32 v3, 0xff800000
	v_mov_b32_e32 v6, v1
.LBB10_8:                               ;   Parent Loop BB10_6 Depth=1
                                        ; =>  This Inner Loop Header: Depth=2
	ds_read_b32 v7, v6
	v_add_u32_e32 v4, 1, v4
	v_cmp_ge_i32_e32 vcc, v4, v5
	s_or_b64 s[20:21], vcc, s[20:21]
	v_add_u32_e32 v6, 4, v6
	s_waitcnt lgkmcnt(0)
	v_cmp_gt_f32_e32 vcc, v7, v3
	v_cndmask_b32_e32 v3, v3, v7, vcc
	s_andn2_b64 exec, exec, s[20:21]
	s_cbranch_execnz .LBB10_8
; %bb.9:                                ;   in Loop: Header=BB10_6 Depth=1
	s_or_b64 exec, exec, s[20:21]
	s_branch .LBB10_5
.LBB10_10:
	s_or_b64 exec, exec, s[8:9]
	s_cmp_lt_i32 s14, 1
	s_waitcnt lgkmcnt(0)
	s_barrier
	s_cbranch_scc1 .LBB10_13
; %bb.11:
	v_mov_b32_e32 v1, s15
	s_mov_b32 s2, 0xff800000
	v_mov_b32_e32 v2, 0xff800000
.LBB10_12:                              ; =>This Inner Loop Header: Depth=1
	ds_read2_b32 v[4:5], v1 offset1:1
	ds_read2_b32 v[6:7], v1 offset0:2 offset1:3
	ds_read2_b32 v[8:9], v1 offset0:4 offset1:5
	;; [unrolled: 1-line block ×3, first 2 shown]
	s_waitcnt lgkmcnt(3)
	v_cmp_nlg_f32_e32 vcc, s2, v4
	v_cndmask_b32_e64 v3, 0, 1, vcc
	v_cmp_lg_f32_e32 vcc, s2, v4
	v_readfirstlane_b32 s3, v3
	v_cndmask_b32_e32 v3, v2, v4, vcc
	v_cmp_gt_f32_e32 vcc, v5, v3
	s_lshl_b32 s3, s3, 3
	v_cndmask_b32_e32 v3, v3, v5, vcc
	s_and_b64 s[8:9], vcc, exec
	s_waitcnt lgkmcnt(2)
	v_cmp_gt_f32_e32 vcc, v6, v3
	v_cndmask_b32_e32 v3, v3, v6, vcc
	s_cselect_b32 s3, 1, s3
	s_and_b64 s[8:9], vcc, exec
	v_cmp_gt_f32_e32 vcc, v7, v3
	v_cndmask_b32_e32 v3, v3, v7, vcc
	s_cselect_b32 s3, 2, s3
	s_and_b64 s[8:9], vcc, exec
	s_waitcnt lgkmcnt(1)
	v_cmp_gt_f32_e32 vcc, v8, v3
	v_cndmask_b32_e32 v3, v3, v8, vcc
	s_cselect_b32 s3, 3, s3
	s_and_b64 s[8:9], vcc, exec
	v_cmp_gt_f32_e32 vcc, v9, v3
	v_cndmask_b32_e32 v3, v3, v9, vcc
	s_cselect_b32 s3, 4, s3
	s_and_b64 s[8:9], vcc, exec
	s_waitcnt lgkmcnt(0)
	v_cmp_gt_f32_e32 vcc, v10, v3
	v_cndmask_b32_e32 v3, v3, v10, vcc
	s_cselect_b32 s3, 5, s3
	s_and_b64 s[8:9], vcc, exec
	v_cmp_ngt_f32_e32 vcc, v11, v3
	s_cselect_b32 s3, 6, s3
	s_and_b64 s[8:9], vcc, exec
	s_cselect_b32 s3, s3, 7
	s_lshl_b32 s3, s3, 2
	s_add_i32 s3, s15, s3
	s_add_i32 s14, s14, -1
	v_mov_b32_e32 v3, s3
	s_cmp_lg_u32 s14, 0
	ds_write_b32 v3, v2
	s_cbranch_scc1 .LBB10_12
.LBB10_13:
	v_lshlrev_b32_e32 v1, 2, v0
	v_lshl_add_u32 v6, v0, 4, 0
	s_and_saveexec_b64 s[2:3], s[0:1]
	s_cbranch_execz .LBB10_18
; %bb.14:
	s_abs_i32 s12, s22
	v_cvt_f32_u32_e32 v2, s12
	s_load_dword s10, s[4:5], 0x4c
	s_sub_i32 s11, 0, s12
	s_ashr_i32 s14, s22, 31
	v_rcp_iflag_f32_e32 v2, v2
	v_lshlrev_b32_e32 v7, 2, v0
	s_waitcnt lgkmcnt(0)
	s_and_b32 s20, s10, 0xffff
	v_lshl_add_u32 v8, v0, 4, 0
	v_mul_f32_e32 v2, 0x4f7ffffe, v2
	v_cvt_u32_f32_e32 v2, v2
	s_mov_b64 s[8:9], 0
	s_lshl_b32 s21, s20, 2
	s_lshl_b32 s22, s20, 4
	v_mul_lo_u32 v3, s11, v2
	v_mul_hi_u32 v3, v2, v3
	v_add_u32_e32 v9, v2, v3
	s_mov_b32 s23, 0xff800000
	v_mov_b32_e32 v2, 0xff800000
	v_mov_b32_e32 v10, v0
	s_branch .LBB10_16
.LBB10_15:                              ;   in Loop: Header=BB10_16 Depth=1
	s_or_b64 exec, exec, s[10:11]
	v_add_u32_e32 v10, s20, v10
	v_cmp_le_i32_e32 vcc, s7, v10
	v_add_u32_e32 v7, s21, v7
	s_or_b64 s[8:9], vcc, s[8:9]
	v_add_u32_e32 v8, s22, v8
	s_andn2_b64 exec, exec, s[8:9]
	s_cbranch_execz .LBB10_18
.LBB10_16:                              ; =>This Inner Loop Header: Depth=1
	v_mul_hi_u32 v3, v7, v9
	v_mul_lo_u32 v4, v3, s12
	v_sub_u32_e32 v4, v7, v4
	v_add_u32_e32 v5, 1, v3
	v_cmp_le_u32_e32 vcc, s12, v4
	v_cndmask_b32_e32 v3, v3, v5, vcc
	v_subrev_u32_e32 v5, s12, v4
	v_cndmask_b32_e32 v4, v4, v5, vcc
	v_add_u32_e32 v5, 1, v3
	v_cmp_le_u32_e32 vcc, s12, v4
	v_cndmask_b32_e32 v3, v3, v5, vcc
	v_xor_b32_e32 v3, s14, v3
	v_subrev_u32_e32 v3, s14, v3
	v_lshl_add_u32 v3, v3, 2, s15
	ds_read_b32 v3, v3
	s_waitcnt lgkmcnt(0)
	v_cmp_neq_f32_e32 vcc, s23, v3
	s_and_saveexec_b64 s[10:11], vcc
	s_cbranch_execz .LBB10_15
; %bb.17:                               ;   in Loop: Header=BB10_16 Depth=1
	v_mov_b32_e32 v3, v2
	v_mov_b32_e32 v4, v2
	v_mov_b32_e32 v5, v2
	ds_write_b128 v8, v[2:5]
	s_branch .LBB10_15
.LBB10_18:
	s_or_b64 exec, exec, s[2:3]
	s_cmp_lt_i32 s13, 1
	s_waitcnt lgkmcnt(0)
	s_barrier
	s_cbranch_scc1 .LBB10_25
; %bb.19:
	s_add_u32 s2, s4, 64
	s_addc_u32 s3, s5, 0
	s_mov_b32 s12, 0
	v_mov_b32_e32 v3, 0
	v_mov_b32_e32 v5, 0xff800000
                                        ; implicit-def: $vgpr4
                                        ; implicit-def: $vgpr2
	s_branch .LBB10_21
.LBB10_20:                              ;   in Loop: Header=BB10_21 Depth=1
	s_or_b64 exec, exec, s[8:9]
	v_mov_b32_dpp v10, v8 quad_perm:[1,0,3,2] row_mask:0xf bank_mask:0xf
	v_cmp_lt_f32_e32 vcc, v8, v10
	v_cndmask_b32_e32 v8, v8, v10, vcc
	v_mov_b32_dpp v9, v7 quad_perm:[1,0,3,2] row_mask:0xf bank_mask:0xf
	v_cndmask_b32_e32 v7, v7, v9, vcc
	v_mov_b32_dpp v10, v8 quad_perm:[2,3,0,1] row_mask:0xf bank_mask:0xf
	v_cmp_gt_f32_e32 vcc, v10, v8
	v_cndmask_b32_e32 v8, v8, v10, vcc
	v_mov_b32_dpp v9, v7 quad_perm:[2,3,0,1] row_mask:0xf bank_mask:0xf
	v_cndmask_b32_e32 v7, v7, v9, vcc
	v_mov_b32_dpp v10, v8 row_half_mirror row_mask:0xf bank_mask:0xf
	v_cmp_gt_f32_e32 vcc, v10, v8
	v_cndmask_b32_e32 v8, v8, v10, vcc
	v_mov_b32_dpp v9, v7 row_half_mirror row_mask:0xf bank_mask:0xf
	v_cndmask_b32_e32 v7, v7, v9, vcc
	v_mov_b32_dpp v10, v8 row_mirror row_mask:0xf bank_mask:0xf
	v_cmp_gt_f32_e32 vcc, v10, v8
	v_cndmask_b32_e32 v8, v8, v10, vcc
	v_mov_b32_dpp v9, v7 row_mirror row_mask:0xf bank_mask:0xf
	v_cndmask_b32_e32 v7, v7, v9, vcc
	v_mov_b32_dpp v10, v8 row_bcast:15 row_mask:0xf bank_mask:0xf
	v_cmp_gt_f32_e32 vcc, v10, v8
	v_mov_b32_dpp v9, v7 row_bcast:15 row_mask:0xf bank_mask:0xf
	v_cndmask_b32_e32 v8, v8, v10, vcc
	v_cndmask_b32_e32 v7, v7, v9, vcc
	s_nop 0
	v_mov_b32_dpp v10, v8 row_bcast:31 row_mask:0xf bank_mask:0xf
	v_mov_b32_dpp v9, v7 row_bcast:31 row_mask:0xf bank_mask:0xf
	v_cmp_gt_f32_e32 vcc, v10, v8
	v_cndmask_b32_e32 v7, v7, v9, vcc
	v_readlane_b32 s9, v7, 63
	s_lshl_b32 s10, s9, 2
	s_add_i32 s10, s10, 0
	v_cndmask_b32_e32 v8, v8, v10, vcc
	v_mov_b32_e32 v7, s10
	v_readlane_b32 s8, v8, 63
	ds_write_b32 v7, v5
	v_mov_b32_e32 v7, s9
	v_cmp_eq_u32_e32 vcc, s12, v0
	v_cndmask_b32_e32 v2, v2, v7, vcc
	v_mov_b32_e32 v7, s8
	s_add_i32 s12, s12, 1
	v_cndmask_b32_e32 v4, v4, v7, vcc
	s_cmp_eq_u32 s12, s13
	v_add_f32_e32 v3, s8, v3
	s_cbranch_scc1 .LBB10_26
.LBB10_21:                              ; =>This Loop Header: Depth=1
                                        ;     Child Loop BB10_23 Depth 2
	v_mov_b32_e32 v7, s12
	v_mov_b32_e32 v8, 0xff800000
	s_and_saveexec_b64 s[8:9], s[0:1]
	s_cbranch_execz .LBB10_20
; %bb.22:                               ;   in Loop: Header=BB10_21 Depth=1
	s_load_dword s14, s[2:3], 0xc
	s_mov_b64 s[10:11], 0
	v_mov_b32_e32 v7, s12
	v_mov_b32_e32 v8, 0xff800000
	v_mov_b32_e32 v9, v6
	s_waitcnt lgkmcnt(0)
	s_and_b32 s14, s14, 0xffff
	s_lshl_b32 s15, s14, 2
	s_lshl_b32 s20, s14, 4
	v_mov_b32_e32 v10, v1
	v_mov_b32_e32 v11, v0
.LBB10_23:                              ;   Parent Loop BB10_21 Depth=1
                                        ; =>  This Inner Loop Header: Depth=2
	ds_read_b128 v[12:15], v9
	v_add_u32_e32 v11, s14, v11
	v_cmp_le_i32_e32 vcc, s7, v11
	s_or_b64 s[10:11], vcc, s[10:11]
	v_add_u32_e32 v16, 1, v10
	s_waitcnt lgkmcnt(0)
	v_cmp_gt_f32_e32 vcc, v12, v8
	v_cndmask_b32_e32 v8, v8, v12, vcc
	v_cndmask_b32_e32 v7, v7, v10, vcc
	v_cmp_gt_f32_e32 vcc, v13, v8
	v_cndmask_b32_e32 v8, v8, v13, vcc
	v_cndmask_b32_e32 v7, v7, v16, vcc
	v_cmp_gt_f32_e32 vcc, v14, v8
	v_add_u32_e32 v17, 2, v10
	v_cndmask_b32_e32 v8, v8, v14, vcc
	v_add_u32_e32 v18, 3, v10
	v_cndmask_b32_e32 v7, v7, v17, vcc
	v_cmp_gt_f32_e32 vcc, v15, v8
	v_add_u32_e32 v9, s20, v9
	v_add_u32_e32 v10, s15, v10
	v_cndmask_b32_e32 v8, v8, v15, vcc
	v_cndmask_b32_e32 v7, v7, v18, vcc
	s_andn2_b64 exec, exec, s[10:11]
	s_cbranch_execnz .LBB10_23
; %bb.24:                               ;   in Loop: Header=BB10_21 Depth=1
	s_or_b64 exec, exec, s[10:11]
	s_branch .LBB10_20
.LBB10_25:
	v_mov_b32_e32 v3, 0
                                        ; implicit-def: $vgpr4
                                        ; implicit-def: $vgpr2
.LBB10_26:
	v_cmp_gt_i32_e32 vcc, s13, v0
	s_and_saveexec_b64 s[0:1], vcc
	s_cbranch_execz .LBB10_29
; %bb.27:
	s_load_dword s7, s[4:5], 0x38
	s_load_dwordx2 s[0:1], s[4:5], 0x20
	s_load_dword s8, s[4:5], 0x4c
	s_waitcnt lgkmcnt(0)
	v_div_scale_f32 v1, s[2:3], v3, v3, s7
	v_rcp_f32_e32 v5, v1
	v_div_scale_f32 v6, vcc, s7, v3, s7
	s_ashr_i32 s2, s6, 31
	v_fma_f32 v7, -v1, v5, 1.0
	v_fmac_f32_e32 v5, v7, v5
	v_mul_f32_e32 v7, v6, v5
	v_fma_f32 v8, -v1, v7, v6
	v_fmac_f32_e32 v7, v8, v5
	v_fma_f32 v1, -v1, v7, v6
	s_mul_i32 s1, s6, s1
	s_mul_hi_u32 s3, s6, s0
	v_div_fmas_f32 v1, v1, v5, v7
	s_add_i32 s1, s3, s1
	s_mul_i32 s2, s2, s0
	v_div_fixup_f32 v1, v1, v3, s7
	s_add_i32 s4, s1, s2
	v_mul_f32_e32 v1, v1, v4
	s_mul_i32 s2, s6, s0
	s_and_b32 s3, s8, 0xffff
	s_mov_b64 s[0:1], 0
	v_mov_b32_e32 v3, s4
	v_mov_b32_e32 v4, s17
	;; [unrolled: 1-line block ×3, first 2 shown]
.LBB10_28:                              ; =>This Inner Loop Header: Depth=1
	v_ashrrev_i32_e32 v7, 31, v0
	v_add_co_u32_e32 v6, vcc, s2, v0
	v_addc_co_u32_e32 v7, vcc, v3, v7, vcc
	v_add_u32_e32 v0, s3, v0
	v_cmp_le_i32_e32 vcc, s13, v0
	v_lshlrev_b64 v[6:7], 2, v[6:7]
	s_or_b64 s[0:1], vcc, s[0:1]
	v_add_co_u32_e32 v8, vcc, s16, v6
	v_addc_co_u32_e32 v9, vcc, v4, v7, vcc
	v_add_co_u32_e32 v6, vcc, s18, v6
	v_addc_co_u32_e32 v7, vcc, v5, v7, vcc
	global_store_dword v[8:9], v1, off
	global_store_dword v[6:7], v2, off
	s_andn2_b64 exec, exec, s[0:1]
	s_cbranch_execnz .LBB10_28
.LBB10_29:
	s_endpgm
	.section	.rodata,"a",@progbits
	.p2align	6, 0x0
	.amdhsa_kernel _ZN5aiter19grouped_topk_kernelIfDv4_fLi8ELb1ELb0ELb0EEEvPT_PKS2_PfPimiiiif
		.amdhsa_group_segment_fixed_size 0
		.amdhsa_private_segment_fixed_size 0
		.amdhsa_kernarg_size 320
		.amdhsa_user_sgpr_count 6
		.amdhsa_user_sgpr_private_segment_buffer 1
		.amdhsa_user_sgpr_dispatch_ptr 0
		.amdhsa_user_sgpr_queue_ptr 0
		.amdhsa_user_sgpr_kernarg_segment_ptr 1
		.amdhsa_user_sgpr_dispatch_id 0
		.amdhsa_user_sgpr_flat_scratch_init 0
		.amdhsa_user_sgpr_kernarg_preload_length 0
		.amdhsa_user_sgpr_kernarg_preload_offset 0
		.amdhsa_user_sgpr_private_segment_size 0
		.amdhsa_uses_dynamic_stack 0
		.amdhsa_system_sgpr_private_segment_wavefront_offset 0
		.amdhsa_system_sgpr_workgroup_id_x 1
		.amdhsa_system_sgpr_workgroup_id_y 0
		.amdhsa_system_sgpr_workgroup_id_z 0
		.amdhsa_system_sgpr_workgroup_info 0
		.amdhsa_system_vgpr_workitem_id 0
		.amdhsa_next_free_vgpr 31
		.amdhsa_next_free_sgpr 29
		.amdhsa_accum_offset 32
		.amdhsa_reserve_vcc 1
		.amdhsa_reserve_flat_scratch 0
		.amdhsa_float_round_mode_32 0
		.amdhsa_float_round_mode_16_64 0
		.amdhsa_float_denorm_mode_32 3
		.amdhsa_float_denorm_mode_16_64 3
		.amdhsa_dx10_clamp 1
		.amdhsa_ieee_mode 1
		.amdhsa_fp16_overflow 0
		.amdhsa_tg_split 0
		.amdhsa_exception_fp_ieee_invalid_op 0
		.amdhsa_exception_fp_denorm_src 0
		.amdhsa_exception_fp_ieee_div_zero 0
		.amdhsa_exception_fp_ieee_overflow 0
		.amdhsa_exception_fp_ieee_underflow 0
		.amdhsa_exception_fp_ieee_inexact 0
		.amdhsa_exception_int_div_zero 0
	.end_amdhsa_kernel
	.section	.text._ZN5aiter19grouped_topk_kernelIfDv4_fLi8ELb1ELb0ELb0EEEvPT_PKS2_PfPimiiiif,"axG",@progbits,_ZN5aiter19grouped_topk_kernelIfDv4_fLi8ELb1ELb0ELb0EEEvPT_PKS2_PfPimiiiif,comdat
.Lfunc_end10:
	.size	_ZN5aiter19grouped_topk_kernelIfDv4_fLi8ELb1ELb0ELb0EEEvPT_PKS2_PfPimiiiif, .Lfunc_end10-_ZN5aiter19grouped_topk_kernelIfDv4_fLi8ELb1ELb0ELb0EEEvPT_PKS2_PfPimiiiif
                                        ; -- End function
	.section	.AMDGPU.csdata,"",@progbits
; Kernel info:
; codeLenInByte = 2392
; NumSgprs: 33
; NumVgprs: 31
; NumAgprs: 0
; TotalNumVgprs: 31
; ScratchSize: 0
; MemoryBound: 0
; FloatMode: 240
; IeeeMode: 1
; LDSByteSize: 0 bytes/workgroup (compile time only)
; SGPRBlocks: 4
; VGPRBlocks: 3
; NumSGPRsForWavesPerEU: 33
; NumVGPRsForWavesPerEU: 31
; AccumOffset: 32
; Occupancy: 8
; WaveLimiterHint : 0
; COMPUTE_PGM_RSRC2:SCRATCH_EN: 0
; COMPUTE_PGM_RSRC2:USER_SGPR: 6
; COMPUTE_PGM_RSRC2:TRAP_HANDLER: 0
; COMPUTE_PGM_RSRC2:TGID_X_EN: 1
; COMPUTE_PGM_RSRC2:TGID_Y_EN: 0
; COMPUTE_PGM_RSRC2:TGID_Z_EN: 0
; COMPUTE_PGM_RSRC2:TIDIG_COMP_CNT: 0
; COMPUTE_PGM_RSRC3_GFX90A:ACCUM_OFFSET: 7
; COMPUTE_PGM_RSRC3_GFX90A:TG_SPLIT: 0
	.section	.text._ZN5aiter19grouped_topk_kernelIN3c104HalfEDv4_fLi8ELb1ELb0ELb0EEEvPT_PKS4_PfPimiiiif,"axG",@progbits,_ZN5aiter19grouped_topk_kernelIN3c104HalfEDv4_fLi8ELb1ELb0ELb0EEEvPT_PKS4_PfPimiiiif,comdat
	.protected	_ZN5aiter19grouped_topk_kernelIN3c104HalfEDv4_fLi8ELb1ELb0ELb0EEEvPT_PKS4_PfPimiiiif ; -- Begin function _ZN5aiter19grouped_topk_kernelIN3c104HalfEDv4_fLi8ELb1ELb0ELb0EEEvPT_PKS4_PfPimiiiif
	.globl	_ZN5aiter19grouped_topk_kernelIN3c104HalfEDv4_fLi8ELb1ELb0ELb0EEEvPT_PKS4_PfPimiiiif
	.p2align	8
	.type	_ZN5aiter19grouped_topk_kernelIN3c104HalfEDv4_fLi8ELb1ELb0ELb0EEEvPT_PKS4_PfPimiiiif,@function
_ZN5aiter19grouped_topk_kernelIN3c104HalfEDv4_fLi8ELb1ELb0ELb0EEEvPT_PKS4_PfPimiiiif: ; @_ZN5aiter19grouped_topk_kernelIN3c104HalfEDv4_fLi8ELb1ELb0ELb0EEEvPT_PKS4_PfPimiiiif
; %bb.0:
	s_load_dwordx4 s[12:15], s[4:5], 0x28
	s_load_dwordx4 s[16:19], s[4:5], 0x10
	v_lshl_add_u32 v1, v0, 4, 0
	s_waitcnt lgkmcnt(0)
	s_ashr_i32 s15, s12, 31
	s_lshr_b32 s0, s15, 30
	s_add_i32 s0, s12, s0
	s_ashr_i32 s7, s0, 2
	v_cmp_gt_i32_e64 s[0:1], s7, v0
	s_and_saveexec_b64 s[20:21], s[0:1]
	s_cbranch_execz .LBB11_3
; %bb.1:
	s_load_dword s10, s[4:5], 0x4c
	s_load_dwordx2 s[2:3], s[4:5], 0x0
	s_mul_i32 s8, s6, s12
	s_ashr_i32 s9, s8, 31
	s_lshl_b64 s[8:9], s[8:9], 1
	s_waitcnt lgkmcnt(0)
	s_and_b32 s24, s10, 0xffff
	s_add_u32 s2, s2, s8
	v_lshlrev_b32_e32 v2, 3, v0
	s_addc_u32 s3, s3, s9
	s_mov_b32 s10, 0
	v_mov_b32_e32 v3, s3
	v_add_co_u32_e32 v2, vcc, s2, v2
	v_addc_co_u32_e32 v3, vcc, 0, v3, vcc
	s_lshl_b32 s25, s24, 3
	v_lshl_add_u32 v6, v0, 4, 0
	s_lshl_b32 s26, s24, 4
	s_mov_b64 s[22:23], 0
	s_mov_b32 s27, 0x3fb8aa3b
	s_mov_b32 s28, 0x32a5705f
	;; [unrolled: 1-line block ×4, first 2 shown]
	v_mov_b32_e32 v7, 0x7f800000
	v_mov_b32_e32 v8, s10
	;; [unrolled: 1-line block ×3, first 2 shown]
.LBB11_2:                               ; =>This Inner Loop Header: Depth=1
	global_load_dwordx2 v[4:5], v[2:3], off
	v_add_co_u32_e32 v2, vcc, s25, v2
	v_add_u32_e32 v9, s24, v9
	v_addc_co_u32_e32 v3, vcc, v3, v8, vcc
	v_cmp_le_i32_e32 vcc, s7, v9
	s_or_b64 s[22:23], vcc, s[22:23]
	s_waitcnt vmcnt(0)
	v_cvt_f32_f16_e64 v10, -v5
	v_cvt_f32_f16_sdwa v11, -v5 dst_sel:DWORD dst_unused:UNUSED_PAD src0_sel:WORD_1
	v_cvt_f32_f16_e64 v12, -v4
	v_cvt_f32_f16_sdwa v13, -v4 dst_sel:DWORD dst_unused:UNUSED_PAD src0_sel:WORD_1
	v_mul_f32_e32 v14, 0x3fb8aa3b, v10
	v_mul_f32_e32 v15, 0x3fb8aa3b, v11
	v_mul_f32_e32 v16, 0x3fb8aa3b, v12
	v_mul_f32_e32 v17, 0x3fb8aa3b, v13
	v_rndne_f32_e32 v18, v14
	v_fma_mix_f32 v19, -v5, s27, -v14 op_sel_hi:[1,0,0]
	v_rndne_f32_e32 v20, v15
	v_fma_mix_f32 v21, -v5, s27, -v15 op_sel:[1,0,0] op_sel_hi:[1,0,0]
	v_rndne_f32_e32 v22, v16
	v_fma_mix_f32 v23, -v4, s27, -v16 op_sel_hi:[1,0,0]
	v_rndne_f32_e32 v24, v17
	v_fma_mix_f32 v25, -v4, s27, -v17 op_sel:[1,0,0] op_sel_hi:[1,0,0]
	v_sub_f32_e32 v14, v14, v18
	v_fma_mix_f32 v19, -v5, s28, v19 op_sel_hi:[1,0,0]
	v_sub_f32_e32 v15, v15, v20
	v_fma_mix_f32 v5, -v5, s28, v21 op_sel:[1,0,0] op_sel_hi:[1,0,0]
	v_sub_f32_e32 v16, v16, v22
	v_fma_mix_f32 v21, -v4, s28, v23 op_sel_hi:[1,0,0]
	v_sub_f32_e32 v17, v17, v24
	v_fma_mix_f32 v4, -v4, s28, v25 op_sel:[1,0,0] op_sel_hi:[1,0,0]
	v_add_f32_e32 v14, v14, v19
	v_add_f32_e32 v5, v15, v5
	v_cvt_i32_f32_e32 v18, v18
	v_cvt_i32_f32_e32 v20, v20
	v_add_f32_e32 v15, v16, v21
	v_add_f32_e32 v4, v17, v4
	v_exp_f32_e32 v14, v14
	v_exp_f32_e32 v5, v5
	v_cvt_i32_f32_e32 v22, v22
	v_cvt_i32_f32_e32 v23, v24
	v_exp_f32_e32 v15, v15
	v_exp_f32_e32 v4, v4
	v_ldexp_f32 v14, v14, v18
	v_ldexp_f32 v5, v5, v20
	v_cmp_ngt_f32_e32 vcc, s29, v11
	v_cmp_ngt_f32_e64 s[10:11], s29, v10
	v_ldexp_f32 v15, v15, v22
	v_cmp_ngt_f32_e64 s[2:3], s29, v12
	v_ldexp_f32 v4, v4, v23
	v_cmp_ngt_f32_e64 s[8:9], s29, v13
	v_cndmask_b32_e64 v14, 0, v14, s[10:11]
	v_cndmask_b32_e32 v5, 0, v5, vcc
	v_cmp_nlt_f32_e32 vcc, s30, v11
	v_cmp_nlt_f32_e64 s[10:11], s30, v10
	v_cndmask_b32_e64 v11, 0, v15, s[2:3]
	v_cmp_nlt_f32_e64 s[2:3], s30, v12
	v_cndmask_b32_e64 v12, 0, v4, s[8:9]
	v_cndmask_b32_e64 v4, v7, v14, s[10:11]
	v_cndmask_b32_e32 v5, v7, v5, vcc
	v_cmp_nlt_f32_e64 s[8:9], s30, v13
	v_pk_add_f32 v[4:5], v[4:5], 1.0 op_sel_hi:[1,0]
	v_cndmask_b32_e64 v10, v7, v11, s[2:3]
	v_cndmask_b32_e64 v11, v7, v12, s[8:9]
	v_div_scale_f32 v12, s[2:3], v5, v5, 1.0
	v_pk_add_f32 v[10:11], v[10:11], 1.0 op_sel_hi:[1,0]
	v_div_scale_f32 v14, s[2:3], v4, v4, 1.0
	v_rcp_f32_e32 v20, v12
	v_div_scale_f32 v16, s[8:9], v11, v11, 1.0
	v_rcp_f32_e32 v21, v14
	;; [unrolled: 2-line block ×3, first 2 shown]
	v_rcp_f32_e32 v23, v18
	v_fma_f32 v24, -v12, v20, 1.0
	v_div_scale_f32 v13, vcc, 1.0, v5, 1.0
	v_fma_f32 v25, -v14, v21, 1.0
	v_fmac_f32_e32 v20, v24, v20
	v_div_scale_f32 v15, s[2:3], 1.0, v4, 1.0
	v_fma_f32 v26, -v16, v22, 1.0
	v_fmac_f32_e32 v21, v25, v21
	v_mul_f32_e32 v24, v13, v20
	v_div_scale_f32 v17, s[8:9], 1.0, v11, 1.0
	v_fma_f32 v27, -v18, v23, 1.0
	v_fmac_f32_e32 v22, v26, v22
	v_mul_f32_e32 v25, v15, v21
	v_fma_f32 v28, -v12, v24, v13
	v_div_scale_f32 v19, s[10:11], 1.0, v10, 1.0
	v_fmac_f32_e32 v23, v27, v23
	v_mul_f32_e32 v26, v17, v22
	v_fma_f32 v29, -v14, v25, v15
	v_fmac_f32_e32 v24, v28, v20
	v_mul_f32_e32 v27, v19, v23
	v_fma_f32 v30, -v16, v26, v17
	v_fmac_f32_e32 v25, v29, v21
	v_fma_f32 v12, -v12, v24, v13
	v_fma_f32 v31, -v18, v27, v19
	v_fmac_f32_e32 v26, v30, v22
	v_fma_f32 v14, -v14, v25, v15
	v_div_fmas_f32 v12, v12, v20, v24
	s_mov_b64 vcc, s[2:3]
	v_fmac_f32_e32 v27, v31, v23
	v_fma_f32 v15, -v16, v26, v17
	v_div_fixup_f32 v13, v12, v5, 1.0
	v_div_fmas_f32 v5, v14, v21, v25
	s_mov_b64 vcc, s[8:9]
	v_fma_f32 v16, -v18, v27, v19
	v_div_fixup_f32 v12, v5, v4, 1.0
	v_div_fmas_f32 v4, v15, v22, v26
	s_mov_b64 vcc, s[10:11]
	v_div_fixup_f32 v11, v4, v11, 1.0
	v_div_fmas_f32 v4, v16, v23, v27
	v_div_fixup_f32 v10, v4, v10, 1.0
	ds_write_b128 v6, v[10:13]
	v_add_u32_e32 v6, s26, v6
	s_andn2_b64 exec, exec, s[22:23]
	s_cbranch_execnz .LBB11_2
.LBB11_3:
	s_or_b64 exec, exec, s[20:21]
	s_lshr_b32 s2, s15, 29
	s_add_i32 s2, s12, s2
	s_ashr_i32 s22, s2, 3
	s_lshl_b32 s2, s12, 2
	s_add_i32 s15, s2, 0
	v_cmp_gt_u32_e32 vcc, 8, v0
	s_waitcnt lgkmcnt(0)
	s_barrier
	s_and_saveexec_b64 s[8:9], vcc
	s_cbranch_execz .LBB11_10
; %bb.4:
	s_load_dword s2, s[4:5], 0x4c
	v_mul_lo_u32 v2, v0, s22
	v_lshl_add_u32 v2, v2, 2, 0
	s_waitcnt lgkmcnt(0)
	s_and_b32 s23, s2, 0xffff
	s_cmp_gt_i32 s12, 7
	s_cselect_b64 s[2:3], -1, 0
	s_mul_i32 s10, s22, s23
	v_cndmask_b32_e64 v3, 0, 1, s[2:3]
	s_lshl_b32 s12, s10, 2
	s_mov_b64 s[10:11], 0
	v_cmp_ne_u32_e64 s[2:3], 1, v3
	v_mov_b32_e32 v3, v0
	s_branch .LBB11_6
.LBB11_5:                               ;   in Loop: Header=BB11_6 Depth=1
	v_lshl_add_u32 v5, v3, 2, s15
	v_add_u32_e32 v3, s23, v3
	v_cmp_lt_u32_e32 vcc, 7, v3
	s_or_b64 s[10:11], vcc, s[10:11]
	v_add_u32_e32 v2, s12, v2
	ds_write_b32 v5, v4
	s_andn2_b64 exec, exec, s[10:11]
	s_cbranch_execz .LBB11_10
.LBB11_6:                               ; =>This Loop Header: Depth=1
                                        ;     Child Loop BB11_8 Depth 2
	s_and_b64 vcc, exec, s[2:3]
	v_mov_b32_e32 v4, 0xff800000
	s_cbranch_vccnz .LBB11_5
; %bb.7:                                ;   in Loop: Header=BB11_6 Depth=1
	v_mul_lo_u32 v5, v3, s22
	v_add_u32_e32 v6, s22, v5
	s_mov_b64 s[20:21], 0
	v_mov_b32_e32 v4, 0xff800000
	v_mov_b32_e32 v7, v2
.LBB11_8:                               ;   Parent Loop BB11_6 Depth=1
                                        ; =>  This Inner Loop Header: Depth=2
	ds_read_b32 v8, v7
	v_add_u32_e32 v5, 1, v5
	v_cmp_ge_i32_e32 vcc, v5, v6
	s_or_b64 s[20:21], vcc, s[20:21]
	v_add_u32_e32 v7, 4, v7
	s_waitcnt lgkmcnt(0)
	v_cmp_gt_f32_e32 vcc, v8, v4
	v_cndmask_b32_e32 v4, v4, v8, vcc
	s_andn2_b64 exec, exec, s[20:21]
	s_cbranch_execnz .LBB11_8
; %bb.9:                                ;   in Loop: Header=BB11_6 Depth=1
	s_or_b64 exec, exec, s[20:21]
	s_branch .LBB11_5
.LBB11_10:
	s_or_b64 exec, exec, s[8:9]
	s_cmp_lt_i32 s14, 1
	s_waitcnt lgkmcnt(0)
	s_barrier
	s_cbranch_scc1 .LBB11_13
; %bb.11:
	v_mov_b32_e32 v2, s15
	s_mov_b32 s2, 0xff800000
	v_mov_b32_e32 v3, 0xff800000
.LBB11_12:                              ; =>This Inner Loop Header: Depth=1
	ds_read2_b32 v[4:5], v2 offset1:1
	ds_read2_b32 v[6:7], v2 offset0:2 offset1:3
	ds_read2_b32 v[8:9], v2 offset0:4 offset1:5
	;; [unrolled: 1-line block ×3, first 2 shown]
	s_waitcnt lgkmcnt(3)
	v_cmp_nlg_f32_e32 vcc, s2, v4
	v_cndmask_b32_e64 v12, 0, 1, vcc
	v_cmp_lg_f32_e32 vcc, s2, v4
	v_cndmask_b32_e32 v4, v3, v4, vcc
	v_readfirstlane_b32 s3, v12
	v_cmp_gt_f32_e32 vcc, v5, v4
	s_lshl_b32 s3, s3, 3
	v_cndmask_b32_e32 v4, v4, v5, vcc
	s_and_b64 s[8:9], vcc, exec
	s_waitcnt lgkmcnt(2)
	v_cmp_gt_f32_e32 vcc, v6, v4
	v_cndmask_b32_e32 v4, v4, v6, vcc
	s_cselect_b32 s3, 1, s3
	s_and_b64 s[8:9], vcc, exec
	v_cmp_gt_f32_e32 vcc, v7, v4
	v_cndmask_b32_e32 v4, v4, v7, vcc
	s_cselect_b32 s3, 2, s3
	s_and_b64 s[8:9], vcc, exec
	s_waitcnt lgkmcnt(1)
	v_cmp_gt_f32_e32 vcc, v8, v4
	v_cndmask_b32_e32 v4, v4, v8, vcc
	s_cselect_b32 s3, 3, s3
	s_and_b64 s[8:9], vcc, exec
	v_cmp_gt_f32_e32 vcc, v9, v4
	v_cndmask_b32_e32 v4, v4, v9, vcc
	s_cselect_b32 s3, 4, s3
	s_and_b64 s[8:9], vcc, exec
	s_waitcnt lgkmcnt(0)
	v_cmp_gt_f32_e32 vcc, v10, v4
	v_cndmask_b32_e32 v4, v4, v10, vcc
	s_cselect_b32 s3, 5, s3
	s_and_b64 s[8:9], vcc, exec
	v_cmp_ngt_f32_e32 vcc, v11, v4
	s_cselect_b32 s3, 6, s3
	s_and_b64 s[8:9], vcc, exec
	s_cselect_b32 s3, s3, 7
	s_lshl_b32 s3, s3, 2
	s_add_i32 s3, s15, s3
	s_add_i32 s14, s14, -1
	v_mov_b32_e32 v4, s3
	s_cmp_lg_u32 s14, 0
	ds_write_b32 v4, v3
	s_cbranch_scc1 .LBB11_12
.LBB11_13:
	v_lshlrev_b32_e32 v6, 2, v0
	s_and_saveexec_b64 s[2:3], s[0:1]
	s_cbranch_execz .LBB11_18
; %bb.14:
	s_abs_i32 s12, s22
	v_cvt_f32_u32_e32 v2, s12
	s_load_dword s10, s[4:5], 0x4c
	s_sub_i32 s11, 0, s12
	s_ashr_i32 s14, s22, 31
	v_rcp_iflag_f32_e32 v2, v2
	v_lshlrev_b32_e32 v7, 2, v0
	s_waitcnt lgkmcnt(0)
	s_and_b32 s20, s10, 0xffff
	v_lshl_add_u32 v8, v0, 4, 0
	v_mul_f32_e32 v2, 0x4f7ffffe, v2
	v_cvt_u32_f32_e32 v2, v2
	s_mov_b64 s[8:9], 0
	s_lshl_b32 s21, s20, 2
	s_lshl_b32 s22, s20, 4
	v_mul_lo_u32 v3, s11, v2
	v_mul_hi_u32 v3, v2, v3
	v_add_u32_e32 v9, v2, v3
	s_mov_b32 s23, 0xff800000
	v_mov_b32_e32 v2, 0xff800000
	v_mov_b32_e32 v10, v0
	s_branch .LBB11_16
.LBB11_15:                              ;   in Loop: Header=BB11_16 Depth=1
	s_or_b64 exec, exec, s[10:11]
	v_add_u32_e32 v10, s20, v10
	v_cmp_le_i32_e32 vcc, s7, v10
	v_add_u32_e32 v7, s21, v7
	s_or_b64 s[8:9], vcc, s[8:9]
	v_add_u32_e32 v8, s22, v8
	s_andn2_b64 exec, exec, s[8:9]
	s_cbranch_execz .LBB11_18
.LBB11_16:                              ; =>This Inner Loop Header: Depth=1
	v_mul_hi_u32 v3, v7, v9
	v_mul_lo_u32 v4, v3, s12
	v_sub_u32_e32 v4, v7, v4
	v_add_u32_e32 v5, 1, v3
	v_cmp_le_u32_e32 vcc, s12, v4
	v_cndmask_b32_e32 v3, v3, v5, vcc
	v_subrev_u32_e32 v5, s12, v4
	v_cndmask_b32_e32 v4, v4, v5, vcc
	v_add_u32_e32 v5, 1, v3
	v_cmp_le_u32_e32 vcc, s12, v4
	v_cndmask_b32_e32 v3, v3, v5, vcc
	v_xor_b32_e32 v3, s14, v3
	v_subrev_u32_e32 v3, s14, v3
	v_lshl_add_u32 v3, v3, 2, s15
	ds_read_b32 v3, v3
	s_waitcnt lgkmcnt(0)
	v_cmp_neq_f32_e32 vcc, s23, v3
	s_and_saveexec_b64 s[10:11], vcc
	s_cbranch_execz .LBB11_15
; %bb.17:                               ;   in Loop: Header=BB11_16 Depth=1
	v_mov_b32_e32 v3, v2
	v_mov_b32_e32 v4, v2
	;; [unrolled: 1-line block ×3, first 2 shown]
	ds_write_b128 v8, v[2:5]
	s_branch .LBB11_15
.LBB11_18:
	s_or_b64 exec, exec, s[2:3]
	s_cmp_lt_i32 s13, 1
	s_waitcnt lgkmcnt(0)
	s_barrier
	s_cbranch_scc1 .LBB11_25
; %bb.19:
	s_add_u32 s2, s4, 64
	s_addc_u32 s3, s5, 0
	s_mov_b32 s12, 0
	v_mov_b32_e32 v3, 0
	v_mov_b32_e32 v5, 0xff800000
                                        ; implicit-def: $vgpr4
                                        ; implicit-def: $vgpr2
	s_branch .LBB11_21
.LBB11_20:                              ;   in Loop: Header=BB11_21 Depth=1
	s_or_b64 exec, exec, s[8:9]
	v_mov_b32_dpp v10, v8 quad_perm:[1,0,3,2] row_mask:0xf bank_mask:0xf
	v_cmp_lt_f32_e32 vcc, v8, v10
	v_cndmask_b32_e32 v8, v8, v10, vcc
	v_mov_b32_dpp v9, v7 quad_perm:[1,0,3,2] row_mask:0xf bank_mask:0xf
	v_cndmask_b32_e32 v7, v7, v9, vcc
	v_mov_b32_dpp v10, v8 quad_perm:[2,3,0,1] row_mask:0xf bank_mask:0xf
	v_cmp_gt_f32_e32 vcc, v10, v8
	v_cndmask_b32_e32 v8, v8, v10, vcc
	v_mov_b32_dpp v9, v7 quad_perm:[2,3,0,1] row_mask:0xf bank_mask:0xf
	v_cndmask_b32_e32 v7, v7, v9, vcc
	v_mov_b32_dpp v10, v8 row_half_mirror row_mask:0xf bank_mask:0xf
	v_cmp_gt_f32_e32 vcc, v10, v8
	v_cndmask_b32_e32 v8, v8, v10, vcc
	v_mov_b32_dpp v9, v7 row_half_mirror row_mask:0xf bank_mask:0xf
	v_cndmask_b32_e32 v7, v7, v9, vcc
	v_mov_b32_dpp v10, v8 row_mirror row_mask:0xf bank_mask:0xf
	v_cmp_gt_f32_e32 vcc, v10, v8
	v_cndmask_b32_e32 v8, v8, v10, vcc
	v_mov_b32_dpp v9, v7 row_mirror row_mask:0xf bank_mask:0xf
	v_cndmask_b32_e32 v7, v7, v9, vcc
	v_mov_b32_dpp v10, v8 row_bcast:15 row_mask:0xf bank_mask:0xf
	v_cmp_gt_f32_e32 vcc, v10, v8
	v_mov_b32_dpp v9, v7 row_bcast:15 row_mask:0xf bank_mask:0xf
	v_cndmask_b32_e32 v8, v8, v10, vcc
	v_cndmask_b32_e32 v7, v7, v9, vcc
	s_nop 0
	v_mov_b32_dpp v10, v8 row_bcast:31 row_mask:0xf bank_mask:0xf
	v_mov_b32_dpp v9, v7 row_bcast:31 row_mask:0xf bank_mask:0xf
	v_cmp_gt_f32_e32 vcc, v10, v8
	v_cndmask_b32_e32 v7, v7, v9, vcc
	v_readlane_b32 s9, v7, 63
	s_lshl_b32 s10, s9, 2
	s_add_i32 s10, s10, 0
	v_cndmask_b32_e32 v8, v8, v10, vcc
	v_mov_b32_e32 v7, s10
	v_readlane_b32 s8, v8, 63
	ds_write_b32 v7, v5
	v_mov_b32_e32 v7, s9
	v_cmp_eq_u32_e32 vcc, s12, v0
	v_cndmask_b32_e32 v2, v2, v7, vcc
	v_mov_b32_e32 v7, s8
	s_add_i32 s12, s12, 1
	v_cndmask_b32_e32 v4, v4, v7, vcc
	s_cmp_eq_u32 s12, s13
	v_add_f32_e32 v3, s8, v3
	s_cbranch_scc1 .LBB11_26
.LBB11_21:                              ; =>This Loop Header: Depth=1
                                        ;     Child Loop BB11_23 Depth 2
	v_mov_b32_e32 v7, s12
	v_mov_b32_e32 v8, 0xff800000
	s_and_saveexec_b64 s[8:9], s[0:1]
	s_cbranch_execz .LBB11_20
; %bb.22:                               ;   in Loop: Header=BB11_21 Depth=1
	s_load_dword s14, s[2:3], 0xc
	s_mov_b64 s[10:11], 0
	v_mov_b32_e32 v7, s12
	v_mov_b32_e32 v8, 0xff800000
	;; [unrolled: 1-line block ×3, first 2 shown]
	s_waitcnt lgkmcnt(0)
	s_and_b32 s14, s14, 0xffff
	s_lshl_b32 s15, s14, 2
	s_lshl_b32 s20, s14, 4
	v_mov_b32_e32 v10, v6
	v_mov_b32_e32 v11, v0
.LBB11_23:                              ;   Parent Loop BB11_21 Depth=1
                                        ; =>  This Inner Loop Header: Depth=2
	ds_read_b128 v[12:15], v9
	v_add_u32_e32 v11, s14, v11
	v_cmp_le_i32_e32 vcc, s7, v11
	s_or_b64 s[10:11], vcc, s[10:11]
	v_add_u32_e32 v16, 1, v10
	s_waitcnt lgkmcnt(0)
	v_cmp_gt_f32_e32 vcc, v12, v8
	v_cndmask_b32_e32 v8, v8, v12, vcc
	v_cndmask_b32_e32 v7, v7, v10, vcc
	v_cmp_gt_f32_e32 vcc, v13, v8
	v_cndmask_b32_e32 v8, v8, v13, vcc
	v_cndmask_b32_e32 v7, v7, v16, vcc
	v_cmp_gt_f32_e32 vcc, v14, v8
	v_add_u32_e32 v17, 2, v10
	v_cndmask_b32_e32 v8, v8, v14, vcc
	v_add_u32_e32 v18, 3, v10
	v_cndmask_b32_e32 v7, v7, v17, vcc
	v_cmp_gt_f32_e32 vcc, v15, v8
	v_add_u32_e32 v9, s20, v9
	v_add_u32_e32 v10, s15, v10
	v_cndmask_b32_e32 v8, v8, v15, vcc
	v_cndmask_b32_e32 v7, v7, v18, vcc
	s_andn2_b64 exec, exec, s[10:11]
	s_cbranch_execnz .LBB11_23
; %bb.24:                               ;   in Loop: Header=BB11_21 Depth=1
	s_or_b64 exec, exec, s[10:11]
	s_branch .LBB11_20
.LBB11_25:
	v_mov_b32_e32 v3, 0
                                        ; implicit-def: $vgpr4
                                        ; implicit-def: $vgpr2
.LBB11_26:
	v_cmp_gt_i32_e32 vcc, s13, v0
	s_and_saveexec_b64 s[0:1], vcc
	s_cbranch_execz .LBB11_29
; %bb.27:
	s_load_dword s7, s[4:5], 0x38
	s_load_dwordx2 s[0:1], s[4:5], 0x20
	s_load_dword s8, s[4:5], 0x4c
	s_waitcnt lgkmcnt(0)
	v_div_scale_f32 v1, s[2:3], v3, v3, s7
	v_rcp_f32_e32 v5, v1
	v_div_scale_f32 v6, vcc, s7, v3, s7
	s_ashr_i32 s2, s6, 31
	v_fma_f32 v7, -v1, v5, 1.0
	v_fmac_f32_e32 v5, v7, v5
	v_mul_f32_e32 v7, v6, v5
	v_fma_f32 v8, -v1, v7, v6
	v_fmac_f32_e32 v7, v8, v5
	v_fma_f32 v1, -v1, v7, v6
	s_mul_i32 s1, s6, s1
	s_mul_hi_u32 s3, s6, s0
	v_div_fmas_f32 v1, v1, v5, v7
	s_add_i32 s1, s3, s1
	s_mul_i32 s2, s2, s0
	v_div_fixup_f32 v1, v1, v3, s7
	s_add_i32 s4, s1, s2
	v_mul_f32_e32 v1, v1, v4
	s_mul_i32 s2, s6, s0
	s_and_b32 s3, s8, 0xffff
	s_mov_b64 s[0:1], 0
	v_mov_b32_e32 v3, s4
	v_mov_b32_e32 v4, s17
	v_mov_b32_e32 v5, s19
.LBB11_28:                              ; =>This Inner Loop Header: Depth=1
	v_ashrrev_i32_e32 v7, 31, v0
	v_add_co_u32_e32 v6, vcc, s2, v0
	v_addc_co_u32_e32 v7, vcc, v3, v7, vcc
	v_add_u32_e32 v0, s3, v0
	v_cmp_le_i32_e32 vcc, s13, v0
	v_lshlrev_b64 v[6:7], 2, v[6:7]
	s_or_b64 s[0:1], vcc, s[0:1]
	v_add_co_u32_e32 v8, vcc, s16, v6
	v_addc_co_u32_e32 v9, vcc, v4, v7, vcc
	v_add_co_u32_e32 v6, vcc, s18, v6
	v_addc_co_u32_e32 v7, vcc, v5, v7, vcc
	global_store_dword v[8:9], v1, off
	global_store_dword v[6:7], v2, off
	s_andn2_b64 exec, exec, s[0:1]
	s_cbranch_execnz .LBB11_28
.LBB11_29:
	s_endpgm
	.section	.rodata,"a",@progbits
	.p2align	6, 0x0
	.amdhsa_kernel _ZN5aiter19grouped_topk_kernelIN3c104HalfEDv4_fLi8ELb1ELb0ELb0EEEvPT_PKS4_PfPimiiiif
		.amdhsa_group_segment_fixed_size 0
		.amdhsa_private_segment_fixed_size 0
		.amdhsa_kernarg_size 320
		.amdhsa_user_sgpr_count 6
		.amdhsa_user_sgpr_private_segment_buffer 1
		.amdhsa_user_sgpr_dispatch_ptr 0
		.amdhsa_user_sgpr_queue_ptr 0
		.amdhsa_user_sgpr_kernarg_segment_ptr 1
		.amdhsa_user_sgpr_dispatch_id 0
		.amdhsa_user_sgpr_flat_scratch_init 0
		.amdhsa_user_sgpr_kernarg_preload_length 0
		.amdhsa_user_sgpr_kernarg_preload_offset 0
		.amdhsa_user_sgpr_private_segment_size 0
		.amdhsa_uses_dynamic_stack 0
		.amdhsa_system_sgpr_private_segment_wavefront_offset 0
		.amdhsa_system_sgpr_workgroup_id_x 1
		.amdhsa_system_sgpr_workgroup_id_y 0
		.amdhsa_system_sgpr_workgroup_id_z 0
		.amdhsa_system_sgpr_workgroup_info 0
		.amdhsa_system_vgpr_workitem_id 0
		.amdhsa_next_free_vgpr 32
		.amdhsa_next_free_sgpr 31
		.amdhsa_accum_offset 32
		.amdhsa_reserve_vcc 1
		.amdhsa_reserve_flat_scratch 0
		.amdhsa_float_round_mode_32 0
		.amdhsa_float_round_mode_16_64 0
		.amdhsa_float_denorm_mode_32 3
		.amdhsa_float_denorm_mode_16_64 3
		.amdhsa_dx10_clamp 1
		.amdhsa_ieee_mode 1
		.amdhsa_fp16_overflow 0
		.amdhsa_tg_split 0
		.amdhsa_exception_fp_ieee_invalid_op 0
		.amdhsa_exception_fp_denorm_src 0
		.amdhsa_exception_fp_ieee_div_zero 0
		.amdhsa_exception_fp_ieee_overflow 0
		.amdhsa_exception_fp_ieee_underflow 0
		.amdhsa_exception_fp_ieee_inexact 0
		.amdhsa_exception_int_div_zero 0
	.end_amdhsa_kernel
	.section	.text._ZN5aiter19grouped_topk_kernelIN3c104HalfEDv4_fLi8ELb1ELb0ELb0EEEvPT_PKS4_PfPimiiiif,"axG",@progbits,_ZN5aiter19grouped_topk_kernelIN3c104HalfEDv4_fLi8ELb1ELb0ELb0EEEvPT_PKS4_PfPimiiiif,comdat
.Lfunc_end11:
	.size	_ZN5aiter19grouped_topk_kernelIN3c104HalfEDv4_fLi8ELb1ELb0ELb0EEEvPT_PKS4_PfPimiiiif, .Lfunc_end11-_ZN5aiter19grouped_topk_kernelIN3c104HalfEDv4_fLi8ELb1ELb0ELb0EEEvPT_PKS4_PfPimiiiif
                                        ; -- End function
	.section	.AMDGPU.csdata,"",@progbits
; Kernel info:
; codeLenInByte = 2440
; NumSgprs: 35
; NumVgprs: 32
; NumAgprs: 0
; TotalNumVgprs: 32
; ScratchSize: 0
; MemoryBound: 0
; FloatMode: 240
; IeeeMode: 1
; LDSByteSize: 0 bytes/workgroup (compile time only)
; SGPRBlocks: 4
; VGPRBlocks: 3
; NumSGPRsForWavesPerEU: 35
; NumVGPRsForWavesPerEU: 32
; AccumOffset: 32
; Occupancy: 8
; WaveLimiterHint : 0
; COMPUTE_PGM_RSRC2:SCRATCH_EN: 0
; COMPUTE_PGM_RSRC2:USER_SGPR: 6
; COMPUTE_PGM_RSRC2:TRAP_HANDLER: 0
; COMPUTE_PGM_RSRC2:TGID_X_EN: 1
; COMPUTE_PGM_RSRC2:TGID_Y_EN: 0
; COMPUTE_PGM_RSRC2:TGID_Z_EN: 0
; COMPUTE_PGM_RSRC2:TIDIG_COMP_CNT: 0
; COMPUTE_PGM_RSRC3_GFX90A:ACCUM_OFFSET: 7
; COMPUTE_PGM_RSRC3_GFX90A:TG_SPLIT: 0
	.section	.text._ZN5aiter19grouped_topk_kernelIN3c108BFloat16EDv4_fLi8ELb1ELb0ELb0EEEvPT_PKS4_PfPimiiiif,"axG",@progbits,_ZN5aiter19grouped_topk_kernelIN3c108BFloat16EDv4_fLi8ELb1ELb0ELb0EEEvPT_PKS4_PfPimiiiif,comdat
	.protected	_ZN5aiter19grouped_topk_kernelIN3c108BFloat16EDv4_fLi8ELb1ELb0ELb0EEEvPT_PKS4_PfPimiiiif ; -- Begin function _ZN5aiter19grouped_topk_kernelIN3c108BFloat16EDv4_fLi8ELb1ELb0ELb0EEEvPT_PKS4_PfPimiiiif
	.globl	_ZN5aiter19grouped_topk_kernelIN3c108BFloat16EDv4_fLi8ELb1ELb0ELb0EEEvPT_PKS4_PfPimiiiif
	.p2align	8
	.type	_ZN5aiter19grouped_topk_kernelIN3c108BFloat16EDv4_fLi8ELb1ELb0ELb0EEEvPT_PKS4_PfPimiiiif,@function
_ZN5aiter19grouped_topk_kernelIN3c108BFloat16EDv4_fLi8ELb1ELb0ELb0EEEvPT_PKS4_PfPimiiiif: ; @_ZN5aiter19grouped_topk_kernelIN3c108BFloat16EDv4_fLi8ELb1ELb0ELb0EEEvPT_PKS4_PfPimiiiif
; %bb.0:
	s_load_dwordx4 s[12:15], s[4:5], 0x28
	s_load_dwordx4 s[16:19], s[4:5], 0x10
	v_lshl_add_u32 v1, v0, 4, 0
	s_waitcnt lgkmcnt(0)
	s_ashr_i32 s15, s12, 31
	s_lshr_b32 s0, s15, 30
	s_add_i32 s0, s12, s0
	s_ashr_i32 s7, s0, 2
	v_cmp_gt_i32_e64 s[0:1], s7, v0
	s_and_saveexec_b64 s[20:21], s[0:1]
	s_cbranch_execz .LBB12_3
; %bb.1:
	s_load_dword s10, s[4:5], 0x4c
	s_load_dwordx2 s[2:3], s[4:5], 0x0
	s_mul_i32 s8, s6, s12
	s_ashr_i32 s9, s8, 31
	s_lshl_b64 s[8:9], s[8:9], 1
	s_waitcnt lgkmcnt(0)
	s_and_b32 s24, s10, 0xffff
	s_add_u32 s2, s2, s8
	v_lshlrev_b32_e32 v2, 3, v0
	s_addc_u32 s3, s3, s9
	s_mov_b32 s10, 0
	v_mov_b32_e32 v3, s3
	v_add_co_u32_e32 v2, vcc, s2, v2
	v_addc_co_u32_e32 v3, vcc, 0, v3, vcc
	s_lshl_b32 s25, s24, 3
	v_lshl_add_u32 v6, v0, 4, 0
	s_lshl_b32 s26, s24, 4
	s_mov_b64 s[22:23], 0
	s_mov_b32 s27, 0xbfb8aa3b
	s_mov_b32 s28, 0x42ce8ed0
	;; [unrolled: 1-line block ×3, first 2 shown]
	v_mov_b32_e32 v7, 0x7f800000
	v_mov_b32_e32 v8, s10
	;; [unrolled: 1-line block ×3, first 2 shown]
.LBB12_2:                               ; =>This Inner Loop Header: Depth=1
	global_load_dwordx2 v[4:5], v[2:3], off
	v_add_co_u32_e32 v2, vcc, s25, v2
	v_add_u32_e32 v9, s24, v9
	v_addc_co_u32_e32 v3, vcc, v3, v8, vcc
	v_cmp_le_i32_e32 vcc, s7, v9
	s_or_b64 s[22:23], vcc, s[22:23]
	s_waitcnt vmcnt(0)
	v_cvt_f32_u32_sdwa v10, v5 dst_sel:DWORD dst_unused:UNUSED_PAD src0_sel:WORD_1
	v_cvt_f32_u32_sdwa v5, v5 dst_sel:DWORD dst_unused:UNUSED_PAD src0_sel:WORD_0
	v_cvt_f32_u32_sdwa v11, v4 dst_sel:DWORD dst_unused:UNUSED_PAD src0_sel:WORD_1
	v_cvt_f32_u32_sdwa v4, v4 dst_sel:DWORD dst_unused:UNUSED_PAD src0_sel:WORD_0
	v_mul_f32_e32 v12, 0xbfb8aa3b, v10
	v_mul_f32_e32 v13, 0xbfb8aa3b, v5
	v_fma_f32 v16, v10, s27, -v12
	v_mul_f32_e32 v15, 0xbfb8aa3b, v4
	v_rndne_f32_e32 v17, v12
	v_fma_f32 v18, v5, s27, -v13
	v_rndne_f32_e32 v19, v13
	v_mul_f32_e32 v14, 0xbfb8aa3b, v11
	v_fma_f32 v22, v4, s27, -v15
	v_rndne_f32_e32 v23, v15
	v_fmac_f32_e32 v16, 0xb2a5705f, v10
	v_sub_f32_e32 v12, v12, v17
	v_fmac_f32_e32 v18, 0xb2a5705f, v5
	v_sub_f32_e32 v13, v13, v19
	v_fma_f32 v20, v11, s27, -v14
	v_rndne_f32_e32 v21, v14
	v_fmac_f32_e32 v22, 0xb2a5705f, v4
	v_sub_f32_e32 v15, v15, v23
	v_add_f32_e32 v12, v12, v16
	v_add_f32_e32 v13, v13, v18
	v_cvt_i32_f32_e32 v17, v17
	v_cvt_i32_f32_e32 v19, v19
	v_fmac_f32_e32 v20, 0xb2a5705f, v11
	v_sub_f32_e32 v14, v14, v21
	v_add_f32_e32 v15, v15, v22
	v_exp_f32_e32 v12, v12
	v_exp_f32_e32 v13, v13
	v_cvt_i32_f32_e32 v23, v23
	v_add_f32_e32 v14, v14, v20
	v_exp_f32_e32 v15, v15
	v_cvt_i32_f32_e32 v21, v21
	v_exp_f32_e32 v14, v14
	v_ldexp_f32 v12, v12, v17
	v_ldexp_f32 v13, v13, v19
	v_cmp_nlt_f32_e32 vcc, s28, v5
	v_cmp_nlt_f32_e64 s[10:11], s28, v10
	v_ldexp_f32 v15, v15, v23
	v_cmp_nlt_f32_e64 s[8:9], s28, v4
	v_cndmask_b32_e64 v12, 0, v12, s[10:11]
	v_cndmask_b32_e32 v13, 0, v13, vcc
	v_cmp_ngt_f32_e32 vcc, s29, v5
	v_cmp_ngt_f32_e64 s[10:11], s29, v10
	v_ldexp_f32 v14, v14, v21
	v_cmp_nlt_f32_e64 s[2:3], s28, v11
	v_cndmask_b32_e64 v15, 0, v15, s[8:9]
	v_cmp_ngt_f32_e64 s[8:9], s29, v4
	v_cndmask_b32_e64 v5, v7, v12, s[10:11]
	v_cndmask_b32_e32 v4, v7, v13, vcc
	v_cndmask_b32_e64 v14, 0, v14, s[2:3]
	v_cmp_ngt_f32_e64 s[2:3], s29, v11
	v_pk_add_f32 v[4:5], v[4:5], 1.0 op_sel_hi:[1,0]
	v_cndmask_b32_e64 v11, v7, v14, s[2:3]
	v_cndmask_b32_e64 v10, v7, v15, s[8:9]
	v_div_scale_f32 v12, s[2:3], v5, v5, 1.0
	v_pk_add_f32 v[10:11], v[10:11], 1.0 op_sel_hi:[1,0]
	v_div_scale_f32 v14, s[2:3], v4, v4, 1.0
	v_rcp_f32_e32 v20, v12
	v_div_scale_f32 v16, s[8:9], v11, v11, 1.0
	v_rcp_f32_e32 v21, v14
	;; [unrolled: 2-line block ×3, first 2 shown]
	v_rcp_f32_e32 v23, v18
	v_fma_f32 v24, -v12, v20, 1.0
	v_div_scale_f32 v13, vcc, 1.0, v5, 1.0
	v_fma_f32 v25, -v14, v21, 1.0
	v_fmac_f32_e32 v20, v24, v20
	v_div_scale_f32 v15, s[2:3], 1.0, v4, 1.0
	v_fma_f32 v26, -v16, v22, 1.0
	v_fmac_f32_e32 v21, v25, v21
	v_mul_f32_e32 v24, v13, v20
	v_div_scale_f32 v17, s[8:9], 1.0, v11, 1.0
	v_fma_f32 v27, -v18, v23, 1.0
	v_fmac_f32_e32 v22, v26, v22
	v_mul_f32_e32 v25, v15, v21
	v_fma_f32 v28, -v12, v24, v13
	v_div_scale_f32 v19, s[10:11], 1.0, v10, 1.0
	v_fmac_f32_e32 v23, v27, v23
	v_mul_f32_e32 v26, v17, v22
	v_fma_f32 v29, -v14, v25, v15
	v_fmac_f32_e32 v24, v28, v20
	v_mul_f32_e32 v27, v19, v23
	v_fma_f32 v30, -v16, v26, v17
	v_fmac_f32_e32 v25, v29, v21
	v_fma_f32 v12, -v12, v24, v13
	v_fma_f32 v31, -v18, v27, v19
	v_fmac_f32_e32 v26, v30, v22
	v_fma_f32 v14, -v14, v25, v15
	v_div_fmas_f32 v12, v12, v20, v24
	s_mov_b64 vcc, s[2:3]
	v_fmac_f32_e32 v27, v31, v23
	v_fma_f32 v15, -v16, v26, v17
	v_div_fixup_f32 v13, v12, v5, 1.0
	v_div_fmas_f32 v5, v14, v21, v25
	s_mov_b64 vcc, s[8:9]
	v_fma_f32 v16, -v18, v27, v19
	v_div_fixup_f32 v12, v5, v4, 1.0
	v_div_fmas_f32 v4, v15, v22, v26
	s_mov_b64 vcc, s[10:11]
	v_div_fixup_f32 v11, v4, v11, 1.0
	v_div_fmas_f32 v4, v16, v23, v27
	v_div_fixup_f32 v10, v4, v10, 1.0
	ds_write_b128 v6, v[10:13]
	v_add_u32_e32 v6, s26, v6
	s_andn2_b64 exec, exec, s[22:23]
	s_cbranch_execnz .LBB12_2
.LBB12_3:
	s_or_b64 exec, exec, s[20:21]
	s_lshr_b32 s2, s15, 29
	s_add_i32 s2, s12, s2
	s_ashr_i32 s22, s2, 3
	s_lshl_b32 s2, s12, 2
	s_add_i32 s15, s2, 0
	v_cmp_gt_u32_e32 vcc, 8, v0
	s_waitcnt lgkmcnt(0)
	s_barrier
	s_and_saveexec_b64 s[8:9], vcc
	s_cbranch_execz .LBB12_10
; %bb.4:
	s_load_dword s2, s[4:5], 0x4c
	v_mul_lo_u32 v2, v0, s22
	v_lshl_add_u32 v2, v2, 2, 0
	s_waitcnt lgkmcnt(0)
	s_and_b32 s23, s2, 0xffff
	s_cmp_gt_i32 s12, 7
	s_cselect_b64 s[2:3], -1, 0
	s_mul_i32 s10, s22, s23
	v_cndmask_b32_e64 v3, 0, 1, s[2:3]
	s_lshl_b32 s12, s10, 2
	s_mov_b64 s[10:11], 0
	v_cmp_ne_u32_e64 s[2:3], 1, v3
	v_mov_b32_e32 v3, v0
	s_branch .LBB12_6
.LBB12_5:                               ;   in Loop: Header=BB12_6 Depth=1
	v_lshl_add_u32 v5, v3, 2, s15
	v_add_u32_e32 v3, s23, v3
	v_cmp_lt_u32_e32 vcc, 7, v3
	s_or_b64 s[10:11], vcc, s[10:11]
	v_add_u32_e32 v2, s12, v2
	ds_write_b32 v5, v4
	s_andn2_b64 exec, exec, s[10:11]
	s_cbranch_execz .LBB12_10
.LBB12_6:                               ; =>This Loop Header: Depth=1
                                        ;     Child Loop BB12_8 Depth 2
	s_and_b64 vcc, exec, s[2:3]
	v_mov_b32_e32 v4, 0xff800000
	s_cbranch_vccnz .LBB12_5
; %bb.7:                                ;   in Loop: Header=BB12_6 Depth=1
	v_mul_lo_u32 v5, v3, s22
	v_add_u32_e32 v6, s22, v5
	s_mov_b64 s[20:21], 0
	v_mov_b32_e32 v4, 0xff800000
	v_mov_b32_e32 v7, v2
.LBB12_8:                               ;   Parent Loop BB12_6 Depth=1
                                        ; =>  This Inner Loop Header: Depth=2
	ds_read_b32 v8, v7
	v_add_u32_e32 v5, 1, v5
	v_cmp_ge_i32_e32 vcc, v5, v6
	s_or_b64 s[20:21], vcc, s[20:21]
	v_add_u32_e32 v7, 4, v7
	s_waitcnt lgkmcnt(0)
	v_cmp_gt_f32_e32 vcc, v8, v4
	v_cndmask_b32_e32 v4, v4, v8, vcc
	s_andn2_b64 exec, exec, s[20:21]
	s_cbranch_execnz .LBB12_8
; %bb.9:                                ;   in Loop: Header=BB12_6 Depth=1
	s_or_b64 exec, exec, s[20:21]
	s_branch .LBB12_5
.LBB12_10:
	s_or_b64 exec, exec, s[8:9]
	s_cmp_lt_i32 s14, 1
	s_waitcnt lgkmcnt(0)
	s_barrier
	s_cbranch_scc1 .LBB12_13
; %bb.11:
	v_mov_b32_e32 v2, s15
	s_mov_b32 s2, 0xff800000
	v_mov_b32_e32 v3, 0xff800000
.LBB12_12:                              ; =>This Inner Loop Header: Depth=1
	ds_read2_b32 v[4:5], v2 offset1:1
	ds_read2_b32 v[6:7], v2 offset0:2 offset1:3
	ds_read2_b32 v[8:9], v2 offset0:4 offset1:5
	;; [unrolled: 1-line block ×3, first 2 shown]
	s_waitcnt lgkmcnt(3)
	v_cmp_nlg_f32_e32 vcc, s2, v4
	v_cndmask_b32_e64 v12, 0, 1, vcc
	v_cmp_lg_f32_e32 vcc, s2, v4
	v_cndmask_b32_e32 v4, v3, v4, vcc
	v_readfirstlane_b32 s3, v12
	v_cmp_gt_f32_e32 vcc, v5, v4
	s_lshl_b32 s3, s3, 3
	v_cndmask_b32_e32 v4, v4, v5, vcc
	s_and_b64 s[8:9], vcc, exec
	s_waitcnt lgkmcnt(2)
	v_cmp_gt_f32_e32 vcc, v6, v4
	v_cndmask_b32_e32 v4, v4, v6, vcc
	s_cselect_b32 s3, 1, s3
	s_and_b64 s[8:9], vcc, exec
	v_cmp_gt_f32_e32 vcc, v7, v4
	v_cndmask_b32_e32 v4, v4, v7, vcc
	s_cselect_b32 s3, 2, s3
	s_and_b64 s[8:9], vcc, exec
	s_waitcnt lgkmcnt(1)
	v_cmp_gt_f32_e32 vcc, v8, v4
	v_cndmask_b32_e32 v4, v4, v8, vcc
	s_cselect_b32 s3, 3, s3
	s_and_b64 s[8:9], vcc, exec
	v_cmp_gt_f32_e32 vcc, v9, v4
	v_cndmask_b32_e32 v4, v4, v9, vcc
	s_cselect_b32 s3, 4, s3
	s_and_b64 s[8:9], vcc, exec
	s_waitcnt lgkmcnt(0)
	v_cmp_gt_f32_e32 vcc, v10, v4
	v_cndmask_b32_e32 v4, v4, v10, vcc
	s_cselect_b32 s3, 5, s3
	s_and_b64 s[8:9], vcc, exec
	v_cmp_ngt_f32_e32 vcc, v11, v4
	s_cselect_b32 s3, 6, s3
	s_and_b64 s[8:9], vcc, exec
	s_cselect_b32 s3, s3, 7
	s_lshl_b32 s3, s3, 2
	s_add_i32 s3, s15, s3
	s_add_i32 s14, s14, -1
	v_mov_b32_e32 v4, s3
	s_cmp_lg_u32 s14, 0
	ds_write_b32 v4, v3
	s_cbranch_scc1 .LBB12_12
.LBB12_13:
	v_lshlrev_b32_e32 v6, 2, v0
	s_and_saveexec_b64 s[2:3], s[0:1]
	s_cbranch_execz .LBB12_18
; %bb.14:
	s_abs_i32 s12, s22
	v_cvt_f32_u32_e32 v2, s12
	s_load_dword s10, s[4:5], 0x4c
	s_sub_i32 s11, 0, s12
	s_ashr_i32 s14, s22, 31
	v_rcp_iflag_f32_e32 v2, v2
	v_lshlrev_b32_e32 v7, 2, v0
	s_waitcnt lgkmcnt(0)
	s_and_b32 s20, s10, 0xffff
	v_lshl_add_u32 v8, v0, 4, 0
	v_mul_f32_e32 v2, 0x4f7ffffe, v2
	v_cvt_u32_f32_e32 v2, v2
	s_mov_b64 s[8:9], 0
	s_lshl_b32 s21, s20, 2
	s_lshl_b32 s22, s20, 4
	v_mul_lo_u32 v3, s11, v2
	v_mul_hi_u32 v3, v2, v3
	v_add_u32_e32 v9, v2, v3
	s_mov_b32 s23, 0xff800000
	v_mov_b32_e32 v2, 0xff800000
	v_mov_b32_e32 v10, v0
	s_branch .LBB12_16
.LBB12_15:                              ;   in Loop: Header=BB12_16 Depth=1
	s_or_b64 exec, exec, s[10:11]
	v_add_u32_e32 v10, s20, v10
	v_cmp_le_i32_e32 vcc, s7, v10
	v_add_u32_e32 v7, s21, v7
	s_or_b64 s[8:9], vcc, s[8:9]
	v_add_u32_e32 v8, s22, v8
	s_andn2_b64 exec, exec, s[8:9]
	s_cbranch_execz .LBB12_18
.LBB12_16:                              ; =>This Inner Loop Header: Depth=1
	v_mul_hi_u32 v3, v7, v9
	v_mul_lo_u32 v4, v3, s12
	v_sub_u32_e32 v4, v7, v4
	v_add_u32_e32 v5, 1, v3
	v_cmp_le_u32_e32 vcc, s12, v4
	v_cndmask_b32_e32 v3, v3, v5, vcc
	v_subrev_u32_e32 v5, s12, v4
	v_cndmask_b32_e32 v4, v4, v5, vcc
	v_add_u32_e32 v5, 1, v3
	v_cmp_le_u32_e32 vcc, s12, v4
	v_cndmask_b32_e32 v3, v3, v5, vcc
	v_xor_b32_e32 v3, s14, v3
	v_subrev_u32_e32 v3, s14, v3
	v_lshl_add_u32 v3, v3, 2, s15
	ds_read_b32 v3, v3
	s_waitcnt lgkmcnt(0)
	v_cmp_neq_f32_e32 vcc, s23, v3
	s_and_saveexec_b64 s[10:11], vcc
	s_cbranch_execz .LBB12_15
; %bb.17:                               ;   in Loop: Header=BB12_16 Depth=1
	v_mov_b32_e32 v3, v2
	v_mov_b32_e32 v4, v2
	v_mov_b32_e32 v5, v2
	ds_write_b128 v8, v[2:5]
	s_branch .LBB12_15
.LBB12_18:
	s_or_b64 exec, exec, s[2:3]
	s_cmp_lt_i32 s13, 1
	s_waitcnt lgkmcnt(0)
	s_barrier
	s_cbranch_scc1 .LBB12_25
; %bb.19:
	s_add_u32 s2, s4, 64
	s_addc_u32 s3, s5, 0
	s_mov_b32 s12, 0
	v_mov_b32_e32 v3, 0
	v_mov_b32_e32 v5, 0xff800000
                                        ; implicit-def: $vgpr4
                                        ; implicit-def: $vgpr2
	s_branch .LBB12_21
.LBB12_20:                              ;   in Loop: Header=BB12_21 Depth=1
	s_or_b64 exec, exec, s[8:9]
	v_mov_b32_dpp v10, v8 quad_perm:[1,0,3,2] row_mask:0xf bank_mask:0xf
	v_cmp_lt_f32_e32 vcc, v8, v10
	v_cndmask_b32_e32 v8, v8, v10, vcc
	v_mov_b32_dpp v9, v7 quad_perm:[1,0,3,2] row_mask:0xf bank_mask:0xf
	v_cndmask_b32_e32 v7, v7, v9, vcc
	v_mov_b32_dpp v10, v8 quad_perm:[2,3,0,1] row_mask:0xf bank_mask:0xf
	v_cmp_gt_f32_e32 vcc, v10, v8
	v_cndmask_b32_e32 v8, v8, v10, vcc
	v_mov_b32_dpp v9, v7 quad_perm:[2,3,0,1] row_mask:0xf bank_mask:0xf
	v_cndmask_b32_e32 v7, v7, v9, vcc
	v_mov_b32_dpp v10, v8 row_half_mirror row_mask:0xf bank_mask:0xf
	v_cmp_gt_f32_e32 vcc, v10, v8
	v_cndmask_b32_e32 v8, v8, v10, vcc
	v_mov_b32_dpp v9, v7 row_half_mirror row_mask:0xf bank_mask:0xf
	v_cndmask_b32_e32 v7, v7, v9, vcc
	v_mov_b32_dpp v10, v8 row_mirror row_mask:0xf bank_mask:0xf
	v_cmp_gt_f32_e32 vcc, v10, v8
	v_cndmask_b32_e32 v8, v8, v10, vcc
	v_mov_b32_dpp v9, v7 row_mirror row_mask:0xf bank_mask:0xf
	v_cndmask_b32_e32 v7, v7, v9, vcc
	v_mov_b32_dpp v10, v8 row_bcast:15 row_mask:0xf bank_mask:0xf
	v_cmp_gt_f32_e32 vcc, v10, v8
	v_mov_b32_dpp v9, v7 row_bcast:15 row_mask:0xf bank_mask:0xf
	v_cndmask_b32_e32 v8, v8, v10, vcc
	v_cndmask_b32_e32 v7, v7, v9, vcc
	s_nop 0
	v_mov_b32_dpp v10, v8 row_bcast:31 row_mask:0xf bank_mask:0xf
	v_mov_b32_dpp v9, v7 row_bcast:31 row_mask:0xf bank_mask:0xf
	v_cmp_gt_f32_e32 vcc, v10, v8
	v_cndmask_b32_e32 v7, v7, v9, vcc
	v_readlane_b32 s9, v7, 63
	s_lshl_b32 s10, s9, 2
	s_add_i32 s10, s10, 0
	v_cndmask_b32_e32 v8, v8, v10, vcc
	v_mov_b32_e32 v7, s10
	v_readlane_b32 s8, v8, 63
	ds_write_b32 v7, v5
	v_mov_b32_e32 v7, s9
	v_cmp_eq_u32_e32 vcc, s12, v0
	v_cndmask_b32_e32 v2, v2, v7, vcc
	v_mov_b32_e32 v7, s8
	s_add_i32 s12, s12, 1
	v_cndmask_b32_e32 v4, v4, v7, vcc
	s_cmp_eq_u32 s12, s13
	v_add_f32_e32 v3, s8, v3
	s_cbranch_scc1 .LBB12_26
.LBB12_21:                              ; =>This Loop Header: Depth=1
                                        ;     Child Loop BB12_23 Depth 2
	v_mov_b32_e32 v7, s12
	v_mov_b32_e32 v8, 0xff800000
	s_and_saveexec_b64 s[8:9], s[0:1]
	s_cbranch_execz .LBB12_20
; %bb.22:                               ;   in Loop: Header=BB12_21 Depth=1
	s_load_dword s14, s[2:3], 0xc
	s_mov_b64 s[10:11], 0
	v_mov_b32_e32 v7, s12
	v_mov_b32_e32 v8, 0xff800000
	;; [unrolled: 1-line block ×3, first 2 shown]
	s_waitcnt lgkmcnt(0)
	s_and_b32 s14, s14, 0xffff
	s_lshl_b32 s15, s14, 2
	s_lshl_b32 s20, s14, 4
	v_mov_b32_e32 v10, v6
	v_mov_b32_e32 v11, v0
.LBB12_23:                              ;   Parent Loop BB12_21 Depth=1
                                        ; =>  This Inner Loop Header: Depth=2
	ds_read_b128 v[12:15], v9
	v_add_u32_e32 v11, s14, v11
	v_cmp_le_i32_e32 vcc, s7, v11
	s_or_b64 s[10:11], vcc, s[10:11]
	v_add_u32_e32 v16, 1, v10
	s_waitcnt lgkmcnt(0)
	v_cmp_gt_f32_e32 vcc, v12, v8
	v_cndmask_b32_e32 v8, v8, v12, vcc
	v_cndmask_b32_e32 v7, v7, v10, vcc
	v_cmp_gt_f32_e32 vcc, v13, v8
	v_cndmask_b32_e32 v8, v8, v13, vcc
	v_cndmask_b32_e32 v7, v7, v16, vcc
	v_cmp_gt_f32_e32 vcc, v14, v8
	v_add_u32_e32 v17, 2, v10
	v_cndmask_b32_e32 v8, v8, v14, vcc
	v_add_u32_e32 v18, 3, v10
	v_cndmask_b32_e32 v7, v7, v17, vcc
	v_cmp_gt_f32_e32 vcc, v15, v8
	v_add_u32_e32 v9, s20, v9
	v_add_u32_e32 v10, s15, v10
	v_cndmask_b32_e32 v8, v8, v15, vcc
	v_cndmask_b32_e32 v7, v7, v18, vcc
	s_andn2_b64 exec, exec, s[10:11]
	s_cbranch_execnz .LBB12_23
; %bb.24:                               ;   in Loop: Header=BB12_21 Depth=1
	s_or_b64 exec, exec, s[10:11]
	s_branch .LBB12_20
.LBB12_25:
	v_mov_b32_e32 v3, 0
                                        ; implicit-def: $vgpr4
                                        ; implicit-def: $vgpr2
.LBB12_26:
	v_cmp_gt_i32_e32 vcc, s13, v0
	s_and_saveexec_b64 s[0:1], vcc
	s_cbranch_execz .LBB12_29
; %bb.27:
	s_load_dword s7, s[4:5], 0x38
	s_load_dwordx2 s[0:1], s[4:5], 0x20
	s_load_dword s8, s[4:5], 0x4c
	s_waitcnt lgkmcnt(0)
	v_div_scale_f32 v1, s[2:3], v3, v3, s7
	v_rcp_f32_e32 v5, v1
	v_div_scale_f32 v6, vcc, s7, v3, s7
	s_ashr_i32 s2, s6, 31
	v_fma_f32 v7, -v1, v5, 1.0
	v_fmac_f32_e32 v5, v7, v5
	v_mul_f32_e32 v7, v6, v5
	v_fma_f32 v8, -v1, v7, v6
	v_fmac_f32_e32 v7, v8, v5
	v_fma_f32 v1, -v1, v7, v6
	s_mul_i32 s1, s6, s1
	s_mul_hi_u32 s3, s6, s0
	v_div_fmas_f32 v1, v1, v5, v7
	s_add_i32 s1, s3, s1
	s_mul_i32 s2, s2, s0
	v_div_fixup_f32 v1, v1, v3, s7
	s_add_i32 s4, s1, s2
	v_mul_f32_e32 v1, v1, v4
	s_mul_i32 s2, s6, s0
	s_and_b32 s3, s8, 0xffff
	s_mov_b64 s[0:1], 0
	v_mov_b32_e32 v3, s4
	v_mov_b32_e32 v4, s17
	;; [unrolled: 1-line block ×3, first 2 shown]
.LBB12_28:                              ; =>This Inner Loop Header: Depth=1
	v_ashrrev_i32_e32 v7, 31, v0
	v_add_co_u32_e32 v6, vcc, s2, v0
	v_addc_co_u32_e32 v7, vcc, v3, v7, vcc
	v_add_u32_e32 v0, s3, v0
	v_cmp_le_i32_e32 vcc, s13, v0
	v_lshlrev_b64 v[6:7], 2, v[6:7]
	s_or_b64 s[0:1], vcc, s[0:1]
	v_add_co_u32_e32 v8, vcc, s16, v6
	v_addc_co_u32_e32 v9, vcc, v4, v7, vcc
	v_add_co_u32_e32 v6, vcc, s18, v6
	v_addc_co_u32_e32 v7, vcc, v5, v7, vcc
	global_store_dword v[8:9], v1, off
	global_store_dword v[6:7], v2, off
	s_andn2_b64 exec, exec, s[0:1]
	s_cbranch_execnz .LBB12_28
.LBB12_29:
	s_endpgm
	.section	.rodata,"a",@progbits
	.p2align	6, 0x0
	.amdhsa_kernel _ZN5aiter19grouped_topk_kernelIN3c108BFloat16EDv4_fLi8ELb1ELb0ELb0EEEvPT_PKS4_PfPimiiiif
		.amdhsa_group_segment_fixed_size 0
		.amdhsa_private_segment_fixed_size 0
		.amdhsa_kernarg_size 320
		.amdhsa_user_sgpr_count 6
		.amdhsa_user_sgpr_private_segment_buffer 1
		.amdhsa_user_sgpr_dispatch_ptr 0
		.amdhsa_user_sgpr_queue_ptr 0
		.amdhsa_user_sgpr_kernarg_segment_ptr 1
		.amdhsa_user_sgpr_dispatch_id 0
		.amdhsa_user_sgpr_flat_scratch_init 0
		.amdhsa_user_sgpr_kernarg_preload_length 0
		.amdhsa_user_sgpr_kernarg_preload_offset 0
		.amdhsa_user_sgpr_private_segment_size 0
		.amdhsa_uses_dynamic_stack 0
		.amdhsa_system_sgpr_private_segment_wavefront_offset 0
		.amdhsa_system_sgpr_workgroup_id_x 1
		.amdhsa_system_sgpr_workgroup_id_y 0
		.amdhsa_system_sgpr_workgroup_id_z 0
		.amdhsa_system_sgpr_workgroup_info 0
		.amdhsa_system_vgpr_workitem_id 0
		.amdhsa_next_free_vgpr 32
		.amdhsa_next_free_sgpr 30
		.amdhsa_accum_offset 32
		.amdhsa_reserve_vcc 1
		.amdhsa_reserve_flat_scratch 0
		.amdhsa_float_round_mode_32 0
		.amdhsa_float_round_mode_16_64 0
		.amdhsa_float_denorm_mode_32 3
		.amdhsa_float_denorm_mode_16_64 3
		.amdhsa_dx10_clamp 1
		.amdhsa_ieee_mode 1
		.amdhsa_fp16_overflow 0
		.amdhsa_tg_split 0
		.amdhsa_exception_fp_ieee_invalid_op 0
		.amdhsa_exception_fp_denorm_src 0
		.amdhsa_exception_fp_ieee_div_zero 0
		.amdhsa_exception_fp_ieee_overflow 0
		.amdhsa_exception_fp_ieee_underflow 0
		.amdhsa_exception_fp_ieee_inexact 0
		.amdhsa_exception_int_div_zero 0
	.end_amdhsa_kernel
	.section	.text._ZN5aiter19grouped_topk_kernelIN3c108BFloat16EDv4_fLi8ELb1ELb0ELb0EEEvPT_PKS4_PfPimiiiif,"axG",@progbits,_ZN5aiter19grouped_topk_kernelIN3c108BFloat16EDv4_fLi8ELb1ELb0ELb0EEEvPT_PKS4_PfPimiiiif,comdat
.Lfunc_end12:
	.size	_ZN5aiter19grouped_topk_kernelIN3c108BFloat16EDv4_fLi8ELb1ELb0ELb0EEEvPT_PKS4_PfPimiiiif, .Lfunc_end12-_ZN5aiter19grouped_topk_kernelIN3c108BFloat16EDv4_fLi8ELb1ELb0ELb0EEEvPT_PKS4_PfPimiiiif
                                        ; -- End function
	.section	.AMDGPU.csdata,"",@progbits
; Kernel info:
; codeLenInByte = 2432
; NumSgprs: 34
; NumVgprs: 32
; NumAgprs: 0
; TotalNumVgprs: 32
; ScratchSize: 0
; MemoryBound: 0
; FloatMode: 240
; IeeeMode: 1
; LDSByteSize: 0 bytes/workgroup (compile time only)
; SGPRBlocks: 4
; VGPRBlocks: 3
; NumSGPRsForWavesPerEU: 34
; NumVGPRsForWavesPerEU: 32
; AccumOffset: 32
; Occupancy: 8
; WaveLimiterHint : 0
; COMPUTE_PGM_RSRC2:SCRATCH_EN: 0
; COMPUTE_PGM_RSRC2:USER_SGPR: 6
; COMPUTE_PGM_RSRC2:TRAP_HANDLER: 0
; COMPUTE_PGM_RSRC2:TGID_X_EN: 1
; COMPUTE_PGM_RSRC2:TGID_Y_EN: 0
; COMPUTE_PGM_RSRC2:TGID_Z_EN: 0
; COMPUTE_PGM_RSRC2:TIDIG_COMP_CNT: 0
; COMPUTE_PGM_RSRC3_GFX90A:ACCUM_OFFSET: 7
; COMPUTE_PGM_RSRC3_GFX90A:TG_SPLIT: 0
	.section	.text._ZN5aiter28grouped_topk_opt_sort_kernelIfDv4_fLi8ELb0ELb1ELb0EEEvPT_PKS2_PfPimiiiif,"axG",@progbits,_ZN5aiter28grouped_topk_opt_sort_kernelIfDv4_fLi8ELb0ELb1ELb0EEEvPT_PKS2_PfPimiiiif,comdat
	.protected	_ZN5aiter28grouped_topk_opt_sort_kernelIfDv4_fLi8ELb0ELb1ELb0EEEvPT_PKS2_PfPimiiiif ; -- Begin function _ZN5aiter28grouped_topk_opt_sort_kernelIfDv4_fLi8ELb0ELb1ELb0EEEvPT_PKS2_PfPimiiiif
	.globl	_ZN5aiter28grouped_topk_opt_sort_kernelIfDv4_fLi8ELb0ELb1ELb0EEEvPT_PKS2_PfPimiiiif
	.p2align	8
	.type	_ZN5aiter28grouped_topk_opt_sort_kernelIfDv4_fLi8ELb0ELb1ELb0EEEvPT_PKS2_PfPimiiiif,@function
_ZN5aiter28grouped_topk_opt_sort_kernelIfDv4_fLi8ELb0ELb1ELb0EEEvPT_PKS2_PfPimiiiif: ; @_ZN5aiter28grouped_topk_opt_sort_kernelIfDv4_fLi8ELb0ELb1ELb0EEEvPT_PKS2_PfPimiiiif
; %bb.0:
	s_load_dwordx4 s[16:19], s[4:5], 0x28
	s_load_dwordx4 s[12:15], s[4:5], 0x0
	v_lshlrev_b32_e32 v19, 4, v0
	v_bfe_u32 v15, v0, 1, 1
	v_and_b32_e32 v14, 1, v0
	s_waitcnt lgkmcnt(0)
	s_lshl_b32 s1, s16, 2
	s_mul_i32 s0, s6, s16
	s_add_i32 s7, s1, 0
	s_ashr_i32 s1, s0, 31
	s_lshl_b64 s[0:1], s[0:1], 2
	s_add_u32 s0, s12, s0
	s_addc_u32 s1, s13, s1
	global_load_dwordx4 v[6:9], v19, s[0:1]
	global_load_dwordx4 v[2:5], v19, s[14:15]
	v_mov_b32_e32 v1, 0xff800000
	v_mov_b32_e32 v11, 0x7f800000
	v_bfe_u32 v12, v0, 2, 1
	v_cmp_eq_u32_e32 vcc, v14, v15
	v_cndmask_b32_e32 v16, v1, v11, vcc
	v_cmp_eq_u32_e32 vcc, v15, v12
	s_mov_b32 s0, 0x652b82fe
	v_and_b32_e32 v20, 4, v0
	v_cndmask_b32_e32 v17, v1, v11, vcc
	v_cmp_eq_u32_e32 vcc, v14, v12
	s_mov_b32 s1, 0xbff71547
	v_cndmask_b32_e32 v18, v1, v11, vcc
	v_cmp_eq_u32_e32 vcc, 0, v20
	s_mov_b32 s8, 0xc2fc0000
	v_mov_b32_e32 v24, 0x42800000
	v_cndmask_b32_e32 v27, v1, v11, vcc
	v_mov_b32_e32 v25, 0x1f800000
	s_mov_b32 s10, 0xff800000
	v_mbcnt_lo_u32_b32 v10, -1, 0
	v_mbcnt_hi_u32_b32 v10, -1, v10
	v_lshlrev_b32_e32 v26, 3, v0
	v_and_b32_e32 v13, 64, v10
	v_add_u32_e32 v19, 0, v19
	s_waitcnt vmcnt(1)
	v_cvt_f64_f32_e32 v[20:21], v6
	v_cvt_f64_f32_e32 v[6:7], v7
	v_cvt_f64_f32_e32 v[22:23], v8
	v_mul_f64 v[20:21], v[20:21], s[0:1]
	v_mul_f64 v[6:7], v[6:7], s[0:1]
	v_cvt_f64_f32_e32 v[8:9], v9
	v_mul_f64 v[22:23], v[22:23], s[0:1]
	v_cvt_f32_f64_e32 v20, v[20:21]
	v_cvt_f32_f64_e32 v6, v[6:7]
	v_mul_f64 v[8:9], v[8:9], s[0:1]
	v_cvt_f32_f64_e32 v7, v[22:23]
	v_cmp_gt_f32_e32 vcc, s8, v20
	v_cmp_gt_f32_e64 s[0:1], s8, v6
	v_cvt_f32_f64_e32 v8, v[8:9]
	v_cndmask_b32_e32 v9, 0, v24, vcc
	v_cndmask_b32_e64 v21, 0, v24, s[0:1]
	v_cmp_gt_f32_e64 s[2:3], s8, v7
	v_cndmask_b32_e64 v22, 0, v24, s[2:3]
	v_cmp_gt_f32_e64 s[8:9], s8, v8
	v_add_f32_e32 v9, v20, v9
	v_add_f32_e32 v6, v6, v21
	v_cndmask_b32_e64 v23, 0, v24, s[8:9]
	v_add_f32_e32 v7, v7, v22
	v_exp_f32_e32 v9, v9
	v_exp_f32_e32 v6, v6
	v_add_f32_e32 v8, v8, v23
	v_exp_f32_e32 v7, v7
	v_exp_f32_e32 v8, v8
	v_cndmask_b32_e32 v20, 1.0, v25, vcc
	v_cndmask_b32_e64 v21, 1.0, v25, s[0:1]
	v_cndmask_b32_e64 v22, 1.0, v25, s[2:3]
	v_fma_f32 v9, v9, v20, 1.0
	v_fma_f32 v20, v6, v21, 1.0
	v_cndmask_b32_e64 v23, 1.0, v25, s[8:9]
	v_fma_f32 v21, v7, v22, 1.0
	v_rcp_f32_e32 v6, v9
	v_rcp_f32_e32 v7, v20
	v_fma_f32 v22, v8, v23, 1.0
	v_rcp_f32_e32 v8, v21
	v_rcp_f32_e32 v9, v22
	s_waitcnt vmcnt(0)
	v_pk_add_f32 v[2:3], v[2:3], v[6:7]
	v_cmp_o_f32_e32 vcc, v3, v3
	v_cndmask_b32_e32 v3, v1, v3, vcc
	v_pk_add_f32 v[4:5], v[4:5], v[8:9]
	v_cmp_o_f32_e32 vcc, v2, v2
	v_cndmask_b32_e32 v2, v1, v2, vcc
	v_cmp_o_f32_e32 vcc, v5, v5
	v_cndmask_b32_e32 v5, v1, v5, vcc
	;; [unrolled: 2-line block ×3, first 2 shown]
	v_med3_f32 v6, v3, v2, s10
	v_max_f32_e32 v7, v3, v2
	v_med3_f32 v6, v4, v7, v6
	v_max_f32_e32 v7, v4, v7
	;; [unrolled: 2-line block ×3, first 2 shown]
	v_and_or_b32 v20, v26, 56, v13
	v_mov_b32_dpp v9, v6 quad_perm:[1,0,3,2] row_mask:0xf bank_mask:0xf bound_ctrl:1
	v_max_f32_e32 v9, v9, v9
	v_mov_b32_dpp v8, v7 quad_perm:[1,0,3,2] row_mask:0xf bank_mask:0xf bound_ctrl:1
	v_max_f32_e32 v6, v9, v6
	v_med3_f32 v6, v8, v7, v6
	v_max_f32_e32 v21, v8, v8
	v_max_f32_e32 v9, v21, v7
	v_mov_b32_dpp v8, v6 quad_perm:[2,3,0,1] row_mask:0xf bank_mask:0xf bound_ctrl:1
	v_max_f32_e32 v8, v8, v8
	v_mov_b32_dpp v7, v9 quad_perm:[2,3,0,1] row_mask:0xf bank_mask:0xf bound_ctrl:1
	v_max_f32_e32 v6, v8, v6
	v_max_f32_e32 v21, v7, v7
	v_med3_f32 v6, v7, v9, v6
	v_max_f32_e32 v21, v21, v9
	v_lshlrev_b32_e32 v20, 2, v20
	v_mov_b32_dpp v9, v6 row_half_mirror row_mask:0xf bank_mask:0xf bound_ctrl:1
	v_mov_b32_dpp v8, v21 row_half_mirror row_mask:0xf bank_mask:0xf bound_ctrl:1
	v_max_f32_e32 v9, v9, v9
	v_max_f32_e32 v7, v8, v8
	;; [unrolled: 1-line block ×4, first 2 shown]
	v_med3_f32 v6, v8, v21, v6
	v_add_f32_e32 v6, v7, v6
	ds_bpermute_b32 v9, v20, v6
	v_cmp_eq_u32_e32 vcc, 0, v15
	v_cndmask_b32_e32 v6, v1, v11, vcc
	v_cmp_eq_u32_e32 vcc, 0, v14
	v_cndmask_b32_e32 v7, v1, v11, vcc
	s_waitcnt lgkmcnt(0)
	v_mov_b32_dpp v20, v9 quad_perm:[1,0,3,2] row_mask:0xf bank_mask:0xf bound_ctrl:1
	v_med3_f32 v20, v9, v20, v16
	v_lshlrev_b32_e32 v8, 2, v13
	ds_write_b128 v19, v[2:5]
	v_mov_b32_dpp v21, v20 quad_perm:[2,3,0,1] row_mask:0xf bank_mask:0xf bound_ctrl:1
	v_med3_f32 v20, v20, v21, v17
	s_nop 1
	v_mov_b32_dpp v21, v20 quad_perm:[1,0,3,2] row_mask:0xf bank_mask:0xf bound_ctrl:1
	v_med3_f32 v20, v20, v21, v18
	s_nop 1
	v_mov_b32_dpp v21, v20 row_shl:4 row_mask:0xf bank_mask:0x5 bound_ctrl:1
	s_nop 1
	v_mov_b32_dpp v21, v20 row_shr:4 row_mask:0xf bank_mask:0xa bound_ctrl:1
	v_med3_f32 v20, v20, v21, v27
	s_nop 1
	v_mov_b32_dpp v21, v20 quad_perm:[2,3,0,1] row_mask:0xf bank_mask:0xf bound_ctrl:1
	v_med3_f32 v20, v20, v21, v6
	s_nop 1
	v_mov_b32_dpp v21, v20 quad_perm:[1,0,3,2] row_mask:0xf bank_mask:0xf bound_ctrl:1
	v_med3_f32 v20, v20, v21, v7
	ds_bpermute_b32 v20, v8, v20 offset:12
	v_bfe_i32 v21, v10, 3, 1
	s_waitcnt lgkmcnt(0)
	v_cmp_gt_f32_e32 vcc, v9, v20
	v_cndmask_b32_e64 v2, 0, 1, vcc
	s_nop 1
	v_mov_b32_dpp v2, v2 row_shr:1 row_mask:0xf bank_mask:0xf bound_ctrl:1
	v_addc_co_u32_e64 v3, s[0:1], 0, v2, vcc
	s_nop 1
	v_mov_b32_dpp v3, v3 row_shr:2 row_mask:0xf bank_mask:0xf bound_ctrl:1
	v_addc_co_u32_e32 v2, vcc, v3, v2, vcc
	v_cmp_eq_f32_e32 vcc, v9, v20
	s_nop 0
	v_add_u32_dpp v2, v2, v2 row_shr:4 row_mask:0xf bank_mask:0xf bound_ctrl:1
	s_nop 1
	v_add_u32_dpp v2, v2, v2 row_shr:8 row_mask:0xf bank_mask:0xf bound_ctrl:1
	s_nop 1
	v_and_b32_dpp v3, v2, v21 row_newbcast:7 row_mask:0xf bank_mask:0xf bound_ctrl:1
	v_sub_u32_e32 v2, v2, v3
	v_cndmask_b32_e64 v3, 0, 1, vcc
	v_readlane_b32 s2, v2, 7
	s_nop 0
	v_mov_b32_dpp v3, v3 row_shr:1 row_mask:0xf bank_mask:0xf bound_ctrl:1
	v_addc_co_u32_e64 v4, s[0:1], 0, v3, vcc
	s_nop 1
	v_mov_b32_dpp v4, v4 row_shr:2 row_mask:0xf bank_mask:0xf bound_ctrl:1
	v_addc_co_u32_e64 v3, s[0:1], v4, v3, vcc
	s_nop 1
	v_add_u32_dpp v3, v3, v3 row_shr:4 row_mask:0xf bank_mask:0xf bound_ctrl:1
	s_nop 1
	v_add_u32_dpp v3, v3, v3 row_shr:8 row_mask:0xf bank_mask:0xf bound_ctrl:1
	s_nop 1
	v_and_b32_dpp v4, v3, v21 row_newbcast:7 row_mask:0xf bank_mask:0xf bound_ctrl:1
	v_add_u32_e32 v3, s2, v3
	v_sub_u32_e32 v3, v3, v4
	v_cndmask_b32_e32 v2, v2, v3, vcc
	v_cmp_ge_f32_e32 vcc, v9, v20
	v_cmp_ge_i32_e64 s[0:1], s18, v2
	s_and_b64 s[0:1], vcc, s[0:1]
	v_cmp_gt_u32_e32 vcc, 8, v0
	s_and_b64 s[2:3], vcc, s[0:1]
	s_and_saveexec_b64 s[0:1], s[2:3]
	s_cbranch_execz .LBB13_2
; %bb.1:
	v_lshl_add_u32 v2, v2, 2, s7
	ds_write_b32 v2, v0 offset:28
.LBB13_2:
	s_or_b64 exec, exec, s[0:1]
	v_lshrrev_b32_e32 v2, 3, v0
	v_and_b32_e32 v2, 0x7c, v2
	v_add_u32_e32 v2, s7, v2
	s_waitcnt lgkmcnt(0)
	s_barrier
	ds_read_b32 v2, v2 offset:32
	v_add_u32_e32 v3, 64, v0
	v_and_b32_e32 v9, 31, v0
	v_lshrrev_b32_e32 v3, 3, v3
	v_and_b32_e32 v3, 0xfc, v3
	s_waitcnt lgkmcnt(0)
	v_lshl_or_b32 v4, v2, 5, v9
	v_add_u32_e32 v3, s7, v3
	v_lshl_add_u32 v2, v4, 2, 0
	ds_read_b32 v3, v3 offset:32
	ds_read_b32 v5, v2
	v_bfe_u32 v21, v0, 3, 1
	v_cmp_eq_u32_e32 vcc, v12, v21
	v_cndmask_b32_e32 v22, v1, v11, vcc
	v_cmp_eq_u32_e32 vcc, v15, v21
	s_waitcnt lgkmcnt(0)
	v_mov_b32_dpp v19, v5 quad_perm:[1,0,3,2] row_mask:0xf bank_mask:0xf bound_ctrl:1
	v_med3_f32 v19, v5, v19, v16
	v_cndmask_b32_e32 v23, v1, v11, vcc
	v_cmp_eq_u32_e32 vcc, v14, v21
	v_mov_b32_dpp v20, v19 quad_perm:[2,3,0,1] row_mask:0xf bank_mask:0xf bound_ctrl:1
	v_med3_f32 v19, v19, v20, v17
	v_cndmask_b32_e32 v24, v1, v11, vcc
	v_bfe_u32 v25, v0, 4, 1
	v_mov_b32_dpp v20, v19 quad_perm:[1,0,3,2] row_mask:0xf bank_mask:0xf bound_ctrl:1
	v_med3_f32 v19, v19, v20, v18
	v_cmp_eq_u32_e32 vcc, v21, v25
	v_cndmask_b32_e32 v26, v1, v11, vcc
	v_mov_b32_dpp v20, v19 row_shl:4 row_mask:0xf bank_mask:0x5 bound_ctrl:1
	v_lshl_or_b32 v2, v3, 5, v9
	v_lshl_add_u32 v3, v2, 2, 0
	v_mov_b32_dpp v20, v19 row_shr:4 row_mask:0xf bank_mask:0xa bound_ctrl:1
	v_med3_f32 v19, v19, v20, v22
	v_cmp_eq_u32_e32 vcc, v12, v25
	ds_read_b32 v3, v3
	v_mov_b32_dpp v20, v19 quad_perm:[2,3,0,1] row_mask:0xf bank_mask:0xf bound_ctrl:1
	v_med3_f32 v19, v19, v20, v23
	v_cndmask_b32_e32 v27, v1, v11, vcc
	v_cmp_eq_u32_e32 vcc, v15, v25
	v_mov_b32_dpp v20, v19 quad_perm:[1,0,3,2] row_mask:0xf bank_mask:0xf bound_ctrl:1
	v_med3_f32 v19, v19, v20, v24
	v_cndmask_b32_e32 v15, v1, v11, vcc
	v_cmp_eq_u32_e32 vcc, v14, v25
	v_mov_b32_dpp v20, v19 row_shl:8 row_mask:0xf bank_mask:0x3 bound_ctrl:1
	v_cndmask_b32_e32 v14, v1, v11, vcc
	v_cmp_gt_u32_e32 vcc, 32, v0
	v_mov_b32_dpp v20, v19 row_shr:8 row_mask:0xf bank_mask:0xc bound_ctrl:1
	v_med3_f32 v19, v19, v20, v26
	v_cmp_lt_u32_e64 s[2:3], 15, v10
	s_lshl_b32 s8, s17, 2
	v_mov_b32_dpp v20, v19 row_shl:4 row_mask:0xf bank_mask:0x5 bound_ctrl:1
	s_add_i32 s12, s7, s8
	s_add_i32 s13, s7, 64
	v_mov_b32_dpp v20, v19 row_shr:4 row_mask:0xf bank_mask:0xa bound_ctrl:1
	v_med3_f32 v19, v19, v20, v27
	s_add_i32 s16, s12, 64
	s_nop 0
	v_mov_b32_dpp v20, v19 quad_perm:[2,3,0,1] row_mask:0xf bank_mask:0xf bound_ctrl:1
	v_med3_f32 v19, v19, v20, v15
	s_nop 1
	v_mov_b32_dpp v20, v19 quad_perm:[1,0,3,2] row_mask:0xf bank_mask:0xf bound_ctrl:1
	v_med3_f32 v19, v19, v20, v14
	s_waitcnt lgkmcnt(0)
	v_mov_b32_dpp v20, v3 quad_perm:[1,0,3,2] row_mask:0xf bank_mask:0xf bound_ctrl:1
	v_med3_f32 v16, v3, v20, v16
	s_nop 1
	v_mov_b32_dpp v20, v16 quad_perm:[2,3,0,1] row_mask:0xf bank_mask:0xf bound_ctrl:1
	v_med3_f32 v16, v16, v20, v17
	s_nop 1
	;; [unrolled: 3-line block ×3, first 2 shown]
	v_mov_b32_dpp v17, v16 row_shl:4 row_mask:0xf bank_mask:0x5 bound_ctrl:1
	s_nop 1
	v_mov_b32_dpp v17, v16 row_shr:4 row_mask:0xf bank_mask:0xa bound_ctrl:1
	v_med3_f32 v16, v16, v17, v22
	s_nop 1
	v_mov_b32_dpp v17, v16 quad_perm:[2,3,0,1] row_mask:0xf bank_mask:0xf bound_ctrl:1
	v_med3_f32 v16, v16, v17, v23
	s_nop 1
	v_mov_b32_dpp v17, v16 quad_perm:[1,0,3,2] row_mask:0xf bank_mask:0xf bound_ctrl:1
	v_med3_f32 v16, v16, v17, v24
	s_nop 1
	v_mov_b32_dpp v17, v16 row_shl:8 row_mask:0xf bank_mask:0x3 bound_ctrl:1
	s_nop 1
	v_mov_b32_dpp v17, v16 row_shr:8 row_mask:0xf bank_mask:0xc bound_ctrl:1
	v_med3_f32 v16, v16, v17, v26
	s_nop 1
	v_mov_b32_dpp v17, v16 row_shl:4 row_mask:0xf bank_mask:0x5 bound_ctrl:1
	s_nop 1
	v_mov_b32_dpp v17, v16 row_shr:4 row_mask:0xf bank_mask:0xa bound_ctrl:1
	v_med3_f32 v16, v16, v17, v27
	s_nop 1
	v_mov_b32_dpp v17, v16 quad_perm:[2,3,0,1] row_mask:0xf bank_mask:0xf bound_ctrl:1
	v_med3_f32 v16, v16, v17, v15
	s_nop 1
	v_mov_b32_dpp v17, v16 quad_perm:[1,0,3,2] row_mask:0xf bank_mask:0xf bound_ctrl:1
	v_med3_f32 v16, v16, v17, v14
	v_lshlrev_b32_e32 v17, 1, v0
	v_bfi_b32 v18, 48, v17, v9
	v_or_b32_e32 v18, v13, v18
	v_lshlrev_b32_e32 v18, 2, v18
	ds_bpermute_b32 v19, v18, v19
	ds_bpermute_b32 v16, v18, v16
	v_xor_b32_e32 v9, v9, v17
	v_and_b32_e32 v9, 48, v9
	s_waitcnt lgkmcnt(0)
	v_cndmask_b32_e32 v16, v16, v19, vcc
	s_nop 1
	v_mov_b32_dpp v17, v16 row_shl:8 row_mask:0xf bank_mask:0x3 bound_ctrl:1
	v_cmp_eq_u32_e32 vcc, 0, v21
	s_nop 0
	v_mov_b32_dpp v17, v16 row_shr:8 row_mask:0xf bank_mask:0xc bound_ctrl:1
	v_med3_f32 v16, v16, v17, v26
	s_nop 1
	v_mov_b32_dpp v17, v16 row_shl:4 row_mask:0xf bank_mask:0x5 bound_ctrl:1
	s_nop 1
	v_mov_b32_dpp v17, v16 row_shr:4 row_mask:0xf bank_mask:0xa bound_ctrl:1
	v_med3_f32 v16, v16, v17, v27
	s_nop 1
	v_mov_b32_dpp v17, v16 quad_perm:[2,3,0,1] row_mask:0xf bank_mask:0xf bound_ctrl:1
	v_med3_f32 v16, v16, v17, v15
	s_nop 1
	v_mov_b32_dpp v17, v16 quad_perm:[1,0,3,2] row_mask:0xf bank_mask:0xf bound_ctrl:1
	v_med3_f32 v16, v16, v17, v14
	v_and_b32_e32 v17, 63, v0
	v_xor_b32_e32 v9, v9, v17
	v_or_b32_e32 v9, v13, v9
	v_lshlrev_b32_e32 v9, 2, v9
	ds_bpermute_b32 v13, v9, v16
	s_waitcnt lgkmcnt(0)
	s_nop 0
	v_mov_b32_dpp v16, v13 row_shl:8 row_mask:0xf bank_mask:0x3 bound_ctrl:1
	s_nop 1
	v_mov_b32_dpp v16, v13 row_shr:8 row_mask:0xf bank_mask:0xc bound_ctrl:1
	v_med3_f32 v13, v13, v16, v26
	s_nop 1
	v_mov_b32_dpp v16, v13 row_shl:4 row_mask:0xf bank_mask:0x5 bound_ctrl:1
	s_nop 1
	v_mov_b32_dpp v16, v13 row_shr:4 row_mask:0xf bank_mask:0xa bound_ctrl:1
	v_med3_f32 v13, v13, v16, v27
	s_nop 1
	v_mov_b32_dpp v16, v13 quad_perm:[2,3,0,1] row_mask:0xf bank_mask:0xf bound_ctrl:1
	v_med3_f32 v13, v13, v16, v15
	s_nop 1
	v_mov_b32_dpp v15, v13 quad_perm:[1,0,3,2] row_mask:0xf bank_mask:0xf bound_ctrl:1
	v_med3_f32 v13, v13, v15, v14
	ds_bpermute_b32 v9, v9, v13
	v_cndmask_b32_e32 v14, v1, v11, vcc
	v_cmp_eq_u32_e32 vcc, 0, v12
	v_cndmask_b32_e32 v1, v1, v11, vcc
	s_waitcnt lgkmcnt(0)
	v_mov_b32_dpp v13, v9 row_shl:8 row_mask:0xf bank_mask:0x3 bound_ctrl:1
	s_nop 1
	v_mov_b32_dpp v13, v9 row_shr:8 row_mask:0xf bank_mask:0xc bound_ctrl:1
	v_med3_f32 v9, v9, v13, v14
	s_nop 1
	v_mov_b32_dpp v13, v9 row_shl:4 row_mask:0xf bank_mask:0x5 bound_ctrl:1
	s_nop 1
	v_mov_b32_dpp v13, v9 row_shr:4 row_mask:0xf bank_mask:0xa bound_ctrl:1
	v_med3_f32 v1, v9, v13, v1
	s_nop 1
	v_mov_b32_dpp v9, v1 quad_perm:[2,3,0,1] row_mask:0xf bank_mask:0xf bound_ctrl:1
	v_med3_f32 v1, v1, v9, v6
	s_nop 1
	v_mov_b32_dpp v6, v1 quad_perm:[1,0,3,2] row_mask:0xf bank_mask:0xf bound_ctrl:1
	v_med3_f32 v1, v1, v6, v7
	ds_bpermute_b32 v1, v8, v1 offset:28
	v_lshlrev_b32_e32 v6, 2, v10
	v_and_b32_e32 v6, 0xc0, v6
	v_add_u32_e32 v7, -4, v6
	v_add_u32_e32 v11, 0xffffffbc, v6
	s_waitcnt lgkmcnt(0)
	v_cmp_gt_f32_e32 vcc, v5, v1
	v_cndmask_b32_e64 v8, 0, 1, vcc
	v_cmp_eq_f32_e64 s[8:9], v5, v1
	s_nop 0
	v_mov_b32_dpp v8, v8 row_shr:1 row_mask:0xf bank_mask:0xf bound_ctrl:1
	v_addc_co_u32_e64 v9, s[0:1], 0, v8, vcc
	s_nop 1
	v_mov_b32_dpp v9, v9 row_shr:2 row_mask:0xf bank_mask:0xf bound_ctrl:1
	v_addc_co_u32_e32 v8, vcc, v9, v8, vcc
	v_cmp_gt_f32_e32 vcc, v3, v1
	s_nop 0
	v_add_u32_dpp v8, v8, v8 row_shr:4 row_mask:0xf bank_mask:0xf bound_ctrl:1
	s_nop 1
	v_add_u32_dpp v8, v8, v8 row_shr:8 row_mask:0xf bank_mask:0xf bound_ctrl:1
	ds_bpermute_b32 v9, v7, v8
	s_waitcnt lgkmcnt(0)
	v_cndmask_b32_e64 v6, 0, v9, s[2:3]
	v_cndmask_b32_e64 v9, 0, 1, vcc
	v_add_u32_e32 v6, v6, v8
	ds_bpermute_b32 v8, v11, v6
	v_mov_b32_dpp v9, v9 row_shr:1 row_mask:0xf bank_mask:0xf bound_ctrl:1
	v_addc_co_u32_e64 v12, s[0:1], 0, v9, vcc
	s_nop 1
	v_mov_b32_dpp v12, v12 row_shr:2 row_mask:0xf bank_mask:0xf bound_ctrl:1
	v_addc_co_u32_e32 v9, vcc, v12, v9, vcc
	v_cmp_lt_u32_e32 vcc, 31, v10
	s_nop 0
	v_add_u32_dpp v9, v9, v9 row_shr:4 row_mask:0xf bank_mask:0xf bound_ctrl:1
	s_waitcnt lgkmcnt(0)
	v_cndmask_b32_e32 v8, 0, v8, vcc
	v_add_u32_e32 v14, v6, v8
	v_add_u32_dpp v9, v9, v9 row_shr:8 row_mask:0xf bank_mask:0xf bound_ctrl:1
	ds_bpermute_b32 v12, v7, v9
	s_waitcnt lgkmcnt(0)
	v_cndmask_b32_e64 v10, 0, v12, s[2:3]
	v_cndmask_b32_e64 v12, 0, 1, s[8:9]
	v_add_u32_e32 v9, v10, v9
	ds_bpermute_b32 v10, v11, v9
	v_mov_b32_dpp v12, v12 row_shr:1 row_mask:0xf bank_mask:0xf bound_ctrl:1
	v_addc_co_u32_e64 v13, s[0:1], 0, v12, s[8:9]
	s_waitcnt lgkmcnt(0)
	v_cndmask_b32_e32 v6, 0, v10, vcc
	v_mov_b32_dpp v13, v13 row_shr:2 row_mask:0xf bank_mask:0xf bound_ctrl:1
	v_addc_co_u32_e64 v12, s[0:1], v13, v12, s[8:9]
	v_readlane_b32 s0, v14, 63
	s_nop 0
	v_add_u32_dpp v12, v12, v12 row_shr:4 row_mask:0xf bank_mask:0xf bound_ctrl:1
	v_add3_u32 v6, v9, s0, v6
	v_cmp_eq_f32_e64 s[0:1], v3, v1
	v_add_u32_dpp v12, v12, v12 row_shr:8 row_mask:0xf bank_mask:0xf bound_ctrl:1
	ds_bpermute_b32 v13, v7, v12
	v_cndmask_b32_e64 v10, 0, 1, s[0:1]
	s_waitcnt lgkmcnt(0)
	v_cndmask_b32_e64 v8, 0, v13, s[2:3]
	v_mov_b32_dpp v10, v10 row_shr:1 row_mask:0xf bank_mask:0xf bound_ctrl:1
	v_add_u32_e32 v8, v8, v12
	v_addc_co_u32_e64 v12, s[10:11], 0, v10, s[0:1]
	ds_bpermute_b32 v9, v11, v8
	s_nop 0
	v_mov_b32_dpp v12, v12 row_shr:2 row_mask:0xf bank_mask:0xf bound_ctrl:1
	v_addc_co_u32_e64 v10, s[10:11], v12, v10, s[0:1]
	v_readlane_b32 s10, v6, 63
	s_nop 0
	v_add_u32_dpp v10, v10, v10 row_shr:4 row_mask:0xf bank_mask:0xf bound_ctrl:1
	s_waitcnt lgkmcnt(0)
	v_cndmask_b32_e32 v9, 0, v9, vcc
	v_add3_u32 v9, v8, s10, v9
	v_add_u32_dpp v10, v10, v10 row_shr:8 row_mask:0xf bank_mask:0xf bound_ctrl:1
	ds_bpermute_b32 v7, v7, v10
	v_readlane_b32 s10, v9, 63
	v_cndmask_b32_e64 v9, v14, v9, s[8:9]
	v_cmp_ge_i32_e64 s[8:9], s17, v9
	s_waitcnt lgkmcnt(0)
	v_cndmask_b32_e64 v7, 0, v7, s[2:3]
	v_add_u32_e32 v7, v7, v10
	ds_bpermute_b32 v8, v11, v7
	v_cmp_ge_f32_e64 s[2:3], v5, v1
	s_and_b64 s[8:9], s[2:3], s[8:9]
	s_and_saveexec_b64 s[2:3], s[8:9]
	s_cbranch_execz .LBB13_4
; %bb.3:
	v_lshl_add_u32 v9, v9, 2, -4
	v_add_u32_e32 v10, s16, v9
	v_add_u32_e32 v9, s13, v9
	ds_write_b32 v9, v4
	ds_write_b32 v10, v5
.LBB13_4:
	s_or_b64 exec, exec, s[2:3]
	s_waitcnt lgkmcnt(0)
	v_cndmask_b32_e32 v4, 0, v8, vcc
	v_add3_u32 v4, v7, s10, v4
	v_cndmask_b32_e64 v4, v6, v4, s[0:1]
	v_cmp_ge_f32_e32 vcc, v3, v1
	v_cmp_ge_i32_e64 s[0:1], s17, v4
	s_and_b64 s[2:3], vcc, s[0:1]
	s_and_saveexec_b64 s[0:1], s[2:3]
	s_cbranch_execz .LBB13_6
; %bb.5:
	v_lshl_add_u32 v1, v4, 2, -4
	v_add_u32_e32 v4, s16, v1
	v_add_u32_e32 v1, s13, v1
	ds_write_b32 v1, v2
	ds_write_b32 v4, v3
.LBB13_6:
	s_or_b64 exec, exec, s[0:1]
	v_cmp_gt_u32_e32 vcc, s17, v0
	s_waitcnt lgkmcnt(0)
	s_barrier
	s_and_saveexec_b64 s[0:1], vcc
	s_cbranch_execz .LBB13_8
; %bb.7:
	v_lshlrev_b32_e32 v4, 2, v0
	v_add_u32_e32 v0, s7, v4
	ds_read_b32 v0, v0 offset:64
	v_mov_b32_e32 v5, s15
	s_load_dwordx2 s[8:9], s[4:5], 0x20
	s_load_dwordx4 s[0:3], s[4:5], 0x10
	s_ashr_i32 s4, s6, 31
	s_waitcnt lgkmcnt(0)
	v_ashrrev_i32_e32 v1, 31, v0
	v_lshlrev_b64 v[2:3], 2, v[0:1]
	v_add_co_u32_e32 v2, vcc, s14, v2
	v_addc_co_u32_e32 v3, vcc, v5, v3, vcc
	global_load_dword v1, v[2:3], off
	v_add_u32_e32 v2, s12, v4
	s_mul_i32 s5, s6, s9
	s_mul_hi_u32 s7, s6, s8
	ds_read_b32 v2, v2 offset:64
	s_mul_i32 s9, s4, s8
	s_add_i32 s5, s7, s5
	s_mul_i32 s4, s6, s8
	s_add_i32 s5, s5, s9
	s_lshl_b64 s[4:5], s[4:5], 2
	s_add_u32 s0, s0, s4
	s_addc_u32 s1, s1, s5
	s_add_u32 s2, s2, s4
	s_addc_u32 s3, s3, s5
	s_waitcnt vmcnt(0) lgkmcnt(0)
	v_sub_f32_e32 v1, v2, v1
	global_store_dword v4, v1, s[0:1]
	global_store_dword v4, v0, s[2:3]
.LBB13_8:
	s_endpgm
	.section	.rodata,"a",@progbits
	.p2align	6, 0x0
	.amdhsa_kernel _ZN5aiter28grouped_topk_opt_sort_kernelIfDv4_fLi8ELb0ELb1ELb0EEEvPT_PKS2_PfPimiiiif
		.amdhsa_group_segment_fixed_size 0
		.amdhsa_private_segment_fixed_size 0
		.amdhsa_kernarg_size 60
		.amdhsa_user_sgpr_count 6
		.amdhsa_user_sgpr_private_segment_buffer 1
		.amdhsa_user_sgpr_dispatch_ptr 0
		.amdhsa_user_sgpr_queue_ptr 0
		.amdhsa_user_sgpr_kernarg_segment_ptr 1
		.amdhsa_user_sgpr_dispatch_id 0
		.amdhsa_user_sgpr_flat_scratch_init 0
		.amdhsa_user_sgpr_kernarg_preload_length 0
		.amdhsa_user_sgpr_kernarg_preload_offset 0
		.amdhsa_user_sgpr_private_segment_size 0
		.amdhsa_uses_dynamic_stack 0
		.amdhsa_system_sgpr_private_segment_wavefront_offset 0
		.amdhsa_system_sgpr_workgroup_id_x 1
		.amdhsa_system_sgpr_workgroup_id_y 0
		.amdhsa_system_sgpr_workgroup_id_z 0
		.amdhsa_system_sgpr_workgroup_info 0
		.amdhsa_system_vgpr_workitem_id 0
		.amdhsa_next_free_vgpr 28
		.amdhsa_next_free_sgpr 20
		.amdhsa_accum_offset 28
		.amdhsa_reserve_vcc 1
		.amdhsa_reserve_flat_scratch 0
		.amdhsa_float_round_mode_32 0
		.amdhsa_float_round_mode_16_64 0
		.amdhsa_float_denorm_mode_32 3
		.amdhsa_float_denorm_mode_16_64 3
		.amdhsa_dx10_clamp 1
		.amdhsa_ieee_mode 1
		.amdhsa_fp16_overflow 0
		.amdhsa_tg_split 0
		.amdhsa_exception_fp_ieee_invalid_op 0
		.amdhsa_exception_fp_denorm_src 0
		.amdhsa_exception_fp_ieee_div_zero 0
		.amdhsa_exception_fp_ieee_overflow 0
		.amdhsa_exception_fp_ieee_underflow 0
		.amdhsa_exception_fp_ieee_inexact 0
		.amdhsa_exception_int_div_zero 0
	.end_amdhsa_kernel
	.section	.text._ZN5aiter28grouped_topk_opt_sort_kernelIfDv4_fLi8ELb0ELb1ELb0EEEvPT_PKS2_PfPimiiiif,"axG",@progbits,_ZN5aiter28grouped_topk_opt_sort_kernelIfDv4_fLi8ELb0ELb1ELb0EEEvPT_PKS2_PfPimiiiif,comdat
.Lfunc_end13:
	.size	_ZN5aiter28grouped_topk_opt_sort_kernelIfDv4_fLi8ELb0ELb1ELb0EEEvPT_PKS2_PfPimiiiif, .Lfunc_end13-_ZN5aiter28grouped_topk_opt_sort_kernelIfDv4_fLi8ELb0ELb1ELb0EEEvPT_PKS2_PfPimiiiif
                                        ; -- End function
	.section	.AMDGPU.csdata,"",@progbits
; Kernel info:
; codeLenInByte = 3012
; NumSgprs: 24
; NumVgprs: 28
; NumAgprs: 0
; TotalNumVgprs: 28
; ScratchSize: 0
; MemoryBound: 0
; FloatMode: 240
; IeeeMode: 1
; LDSByteSize: 0 bytes/workgroup (compile time only)
; SGPRBlocks: 2
; VGPRBlocks: 3
; NumSGPRsForWavesPerEU: 24
; NumVGPRsForWavesPerEU: 28
; AccumOffset: 28
; Occupancy: 8
; WaveLimiterHint : 0
; COMPUTE_PGM_RSRC2:SCRATCH_EN: 0
; COMPUTE_PGM_RSRC2:USER_SGPR: 6
; COMPUTE_PGM_RSRC2:TRAP_HANDLER: 0
; COMPUTE_PGM_RSRC2:TGID_X_EN: 1
; COMPUTE_PGM_RSRC2:TGID_Y_EN: 0
; COMPUTE_PGM_RSRC2:TGID_Z_EN: 0
; COMPUTE_PGM_RSRC2:TIDIG_COMP_CNT: 0
; COMPUTE_PGM_RSRC3_GFX90A:ACCUM_OFFSET: 6
; COMPUTE_PGM_RSRC3_GFX90A:TG_SPLIT: 0
	.section	.text._ZN5aiter28grouped_topk_opt_sort_kernelIN3c104HalfEDv4_fLi8ELb0ELb1ELb0EEEvPT_PKS4_PfPimiiiif,"axG",@progbits,_ZN5aiter28grouped_topk_opt_sort_kernelIN3c104HalfEDv4_fLi8ELb0ELb1ELb0EEEvPT_PKS4_PfPimiiiif,comdat
	.protected	_ZN5aiter28grouped_topk_opt_sort_kernelIN3c104HalfEDv4_fLi8ELb0ELb1ELb0EEEvPT_PKS4_PfPimiiiif ; -- Begin function _ZN5aiter28grouped_topk_opt_sort_kernelIN3c104HalfEDv4_fLi8ELb0ELb1ELb0EEEvPT_PKS4_PfPimiiiif
	.globl	_ZN5aiter28grouped_topk_opt_sort_kernelIN3c104HalfEDv4_fLi8ELb0ELb1ELb0EEEvPT_PKS4_PfPimiiiif
	.p2align	8
	.type	_ZN5aiter28grouped_topk_opt_sort_kernelIN3c104HalfEDv4_fLi8ELb0ELb1ELb0EEEvPT_PKS4_PfPimiiiif,@function
_ZN5aiter28grouped_topk_opt_sort_kernelIN3c104HalfEDv4_fLi8ELb0ELb1ELb0EEEvPT_PKS4_PfPimiiiif: ; @_ZN5aiter28grouped_topk_opt_sort_kernelIN3c104HalfEDv4_fLi8ELb0ELb1ELb0EEEvPT_PKS4_PfPimiiiif
; %bb.0:
	s_load_dwordx4 s[16:19], s[4:5], 0x28
	s_load_dwordx4 s[12:15], s[4:5], 0x0
	v_lshlrev_b32_e32 v15, 3, v0
	v_bfe_u32 v11, v0, 1, 1
	v_and_b32_e32 v10, 1, v0
	s_waitcnt lgkmcnt(0)
	s_lshl_b32 s1, s16, 2
	s_mul_i32 s0, s6, s16
	s_add_i32 s7, s1, 0
	s_ashr_i32 s1, s0, 31
	s_lshl_b64 s[0:1], s[0:1], 1
	s_add_u32 s0, s12, s0
	s_addc_u32 s1, s13, s1
	global_load_dwordx2 v[2:3], v15, s[14:15]
	global_load_dwordx2 v[4:5], v15, s[0:1]
	s_mov_b32 s0, 0x652b82fe
	v_mov_b32_e32 v1, 0xff800000
	v_mov_b32_e32 v7, 0x7f800000
	v_bfe_u32 v8, v0, 2, 1
	v_cmp_eq_u32_e32 vcc, v10, v11
	s_mov_b32 s1, 0xbff71547
	v_cndmask_b32_e32 v12, v1, v7, vcc
	v_cmp_eq_u32_e32 vcc, v11, v8
	v_and_b32_e32 v16, 4, v0
	v_cndmask_b32_e32 v13, v1, v7, vcc
	v_cmp_eq_u32_e32 vcc, v10, v8
	s_mov_b32 s8, 0xc2fc0000
	v_cndmask_b32_e32 v14, v1, v7, vcc
	v_cmp_eq_u32_e32 vcc, 0, v16
	v_mov_b32_e32 v24, 0x42800000
	v_cndmask_b32_e32 v26, v1, v7, vcc
	v_mov_b32_e32 v25, 0x1f800000
	s_mov_b32 s10, 0xff800000
	v_mbcnt_lo_u32_b32 v6, -1, 0
	v_mbcnt_hi_u32_b32 v6, -1, v6
	v_and_b32_e32 v9, 64, v6
	v_and_or_b32 v15, v15, 56, v9
	v_lshlrev_b32_e32 v15, 2, v15
	s_waitcnt vmcnt(1)
	v_cvt_f32_f16_e32 v16, v2
	s_waitcnt vmcnt(0)
	v_cvt_f32_f16_e32 v18, v4
	v_cvt_f32_f16_sdwa v19, v4 dst_sel:DWORD dst_unused:UNUSED_PAD src0_sel:WORD_1
	v_cvt_f32_f16_e32 v20, v5
	v_cvt_f32_f16_sdwa v22, v5 dst_sel:DWORD dst_unused:UNUSED_PAD src0_sel:WORD_1
	v_cvt_f64_f32_e32 v[4:5], v18
	v_cvt_f64_f32_e32 v[18:19], v19
	v_mul_f64 v[4:5], v[4:5], s[0:1]
	v_mul_f64 v[18:19], v[18:19], s[0:1]
	v_cvt_f64_f32_e32 v[20:21], v20
	v_cvt_f64_f32_e32 v[22:23], v22
	v_cvt_f32_f64_e32 v4, v[4:5]
	v_cvt_f32_f64_e32 v5, v[18:19]
	v_mul_f64 v[20:21], v[20:21], s[0:1]
	v_mul_f64 v[22:23], v[22:23], s[0:1]
	v_cmp_gt_f32_e32 vcc, s8, v4
	v_cmp_gt_f32_e64 s[0:1], s8, v5
	v_cvt_f32_f64_e32 v18, v[20:21]
	v_cvt_f32_f64_e32 v19, v[22:23]
	v_cndmask_b32_e32 v20, 0, v24, vcc
	v_cndmask_b32_e64 v21, 0, v24, s[0:1]
	v_cmp_gt_f32_e64 s[2:3], s8, v18
	v_cmp_gt_f32_e64 s[8:9], s8, v19
	v_add_f32_e32 v4, v4, v20
	v_add_f32_e32 v5, v5, v21
	v_cndmask_b32_e64 v22, 0, v24, s[2:3]
	v_cndmask_b32_e64 v23, 0, v24, s[8:9]
	v_exp_f32_e32 v4, v4
	v_exp_f32_e32 v5, v5
	v_add_f32_e32 v18, v18, v22
	v_add_f32_e32 v19, v19, v23
	v_exp_f32_e32 v18, v18
	v_exp_f32_e32 v19, v19
	v_cndmask_b32_e32 v20, 1.0, v25, vcc
	v_cndmask_b32_e64 v21, 1.0, v25, s[0:1]
	v_fma_f32 v4, v4, v20, 1.0
	v_fma_f32 v5, v5, v21, 1.0
	v_cvt_f32_f16_sdwa v17, v2 dst_sel:DWORD dst_unused:UNUSED_PAD src0_sel:WORD_1
	v_cndmask_b32_e64 v22, 1.0, v25, s[2:3]
	v_cndmask_b32_e64 v23, 1.0, v25, s[8:9]
	v_rcp_f32_e32 v4, v4
	v_rcp_f32_e32 v5, v5
	v_fma_f32 v18, v18, v22, 1.0
	v_fma_f32 v19, v19, v23, 1.0
	v_cvt_f32_f16_e32 v2, v3
	v_cvt_f32_f16_sdwa v3, v3 dst_sel:DWORD dst_unused:UNUSED_PAD src0_sel:WORD_1
	v_rcp_f32_e32 v18, v18
	v_rcp_f32_e32 v19, v19
	v_pk_add_f32 v[4:5], v[4:5], v[16:17]
	v_cmp_o_f32_e32 vcc, v5, v5
	v_pk_add_f32 v[16:17], v[18:19], v[2:3]
	v_cndmask_b32_e32 v3, v1, v5, vcc
	v_cmp_o_f32_e32 vcc, v4, v4
	v_cndmask_b32_e32 v2, v1, v4, vcc
	v_cmp_o_f32_e32 vcc, v17, v17
	;; [unrolled: 2-line block ×3, first 2 shown]
	v_cndmask_b32_e32 v4, v1, v16, vcc
	v_med3_f32 v16, v3, v2, s10
	v_max_f32_e32 v17, v3, v2
	v_med3_f32 v16, v4, v17, v16
	v_max_f32_e32 v17, v4, v17
	;; [unrolled: 2-line block ×3, first 2 shown]
	v_cmp_eq_u32_e32 vcc, 0, v11
	v_mov_b32_dpp v19, v16 quad_perm:[1,0,3,2] row_mask:0xf bank_mask:0xf bound_ctrl:1
	v_max_f32_e32 v19, v19, v19
	v_mov_b32_dpp v18, v17 quad_perm:[1,0,3,2] row_mask:0xf bank_mask:0xf bound_ctrl:1
	v_max_f32_e32 v16, v19, v16
	v_med3_f32 v16, v18, v17, v16
	v_max_f32_e32 v20, v18, v18
	v_max_f32_e32 v19, v20, v17
	v_mov_b32_dpp v18, v16 quad_perm:[2,3,0,1] row_mask:0xf bank_mask:0xf bound_ctrl:1
	v_max_f32_e32 v18, v18, v18
	v_mov_b32_dpp v17, v19 quad_perm:[2,3,0,1] row_mask:0xf bank_mask:0xf bound_ctrl:1
	v_max_f32_e32 v16, v18, v16
	v_max_f32_e32 v20, v17, v17
	v_med3_f32 v16, v17, v19, v16
	v_max_f32_e32 v20, v20, v19
	s_nop 0
	v_mov_b32_dpp v19, v16 row_half_mirror row_mask:0xf bank_mask:0xf bound_ctrl:1
	v_mov_b32_dpp v18, v20 row_half_mirror row_mask:0xf bank_mask:0xf bound_ctrl:1
	v_max_f32_e32 v19, v19, v19
	v_max_f32_e32 v17, v18, v18
	;; [unrolled: 1-line block ×4, first 2 shown]
	v_med3_f32 v16, v18, v20, v16
	v_add_f32_e32 v16, v17, v16
	ds_bpermute_b32 v18, v15, v16
	v_cndmask_b32_e32 v15, v1, v7, vcc
	v_cmp_eq_u32_e32 vcc, 0, v10
	v_cndmask_b32_e32 v16, v1, v7, vcc
	v_lshlrev_b32_e32 v17, 2, v9
	s_waitcnt lgkmcnt(0)
	v_mov_b32_dpp v19, v18 quad_perm:[1,0,3,2] row_mask:0xf bank_mask:0xf bound_ctrl:1
	v_med3_f32 v19, v18, v19, v12
	s_nop 1
	v_mov_b32_dpp v20, v19 quad_perm:[2,3,0,1] row_mask:0xf bank_mask:0xf bound_ctrl:1
	v_med3_f32 v19, v19, v20, v13
	s_nop 1
	;; [unrolled: 3-line block ×3, first 2 shown]
	v_mov_b32_dpp v20, v19 row_shl:4 row_mask:0xf bank_mask:0x5 bound_ctrl:1
	s_nop 1
	v_mov_b32_dpp v20, v19 row_shr:4 row_mask:0xf bank_mask:0xa bound_ctrl:1
	v_med3_f32 v19, v19, v20, v26
	s_nop 1
	v_mov_b32_dpp v20, v19 quad_perm:[2,3,0,1] row_mask:0xf bank_mask:0xf bound_ctrl:1
	v_med3_f32 v19, v19, v20, v15
	s_nop 1
	v_mov_b32_dpp v20, v19 quad_perm:[1,0,3,2] row_mask:0xf bank_mask:0xf bound_ctrl:1
	v_med3_f32 v19, v19, v20, v16
	ds_bpermute_b32 v19, v17, v19 offset:12
	v_lshl_add_u32 v20, v0, 4, 0
	ds_write_b128 v20, v[2:5]
	s_waitcnt lgkmcnt(1)
	v_cmp_gt_f32_e32 vcc, v18, v19
	v_cndmask_b32_e64 v2, 0, 1, vcc
	s_nop 1
	v_mov_b32_dpp v2, v2 row_shr:1 row_mask:0xf bank_mask:0xf bound_ctrl:1
	v_addc_co_u32_e64 v3, s[0:1], 0, v2, vcc
	s_nop 1
	v_mov_b32_dpp v3, v3 row_shr:2 row_mask:0xf bank_mask:0xf bound_ctrl:1
	v_addc_co_u32_e32 v2, vcc, v3, v2, vcc
	v_bfe_i32 v3, v6, 3, 1
	s_nop 0
	v_add_u32_dpp v2, v2, v2 row_shr:4 row_mask:0xf bank_mask:0xf bound_ctrl:1
	v_cmp_eq_f32_e32 vcc, v18, v19
	s_nop 0
	v_add_u32_dpp v2, v2, v2 row_shr:8 row_mask:0xf bank_mask:0xf bound_ctrl:1
	s_nop 1
	v_and_b32_dpp v4, v2, v3 row_newbcast:7 row_mask:0xf bank_mask:0xf bound_ctrl:1
	v_sub_u32_e32 v2, v2, v4
	v_cndmask_b32_e64 v4, 0, 1, vcc
	v_readlane_b32 s2, v2, 7
	s_nop 0
	v_mov_b32_dpp v4, v4 row_shr:1 row_mask:0xf bank_mask:0xf bound_ctrl:1
	v_addc_co_u32_e64 v5, s[0:1], 0, v4, vcc
	s_nop 1
	v_mov_b32_dpp v5, v5 row_shr:2 row_mask:0xf bank_mask:0xf bound_ctrl:1
	v_addc_co_u32_e64 v4, s[0:1], v5, v4, vcc
	s_nop 1
	v_add_u32_dpp v4, v4, v4 row_shr:4 row_mask:0xf bank_mask:0xf bound_ctrl:1
	s_nop 1
	v_add_u32_dpp v4, v4, v4 row_shr:8 row_mask:0xf bank_mask:0xf bound_ctrl:1
	s_nop 1
	v_and_b32_dpp v3, v4, v3 row_newbcast:7 row_mask:0xf bank_mask:0xf bound_ctrl:1
	v_add_u32_e32 v4, s2, v4
	v_sub_u32_e32 v3, v4, v3
	v_cndmask_b32_e32 v2, v2, v3, vcc
	v_cmp_ge_f32_e32 vcc, v18, v19
	v_cmp_ge_i32_e64 s[0:1], s18, v2
	s_and_b64 s[0:1], vcc, s[0:1]
	v_cmp_gt_u32_e32 vcc, 8, v0
	s_and_b64 s[2:3], vcc, s[0:1]
	s_and_saveexec_b64 s[0:1], s[2:3]
	s_cbranch_execz .LBB14_2
; %bb.1:
	v_lshl_add_u32 v2, v2, 2, s7
	ds_write_b32 v2, v0 offset:28
.LBB14_2:
	s_or_b64 exec, exec, s[0:1]
	v_lshrrev_b32_e32 v2, 3, v0
	v_and_b32_e32 v2, 0x7c, v2
	v_add_u32_e32 v2, s7, v2
	s_waitcnt lgkmcnt(0)
	s_barrier
	ds_read_b32 v2, v2 offset:32
	v_add_u32_e32 v3, 64, v0
	v_and_b32_e32 v18, 31, v0
	v_lshrrev_b32_e32 v3, 3, v3
	v_and_b32_e32 v3, 0xfc, v3
	s_waitcnt lgkmcnt(0)
	v_lshl_or_b32 v4, v2, 5, v18
	v_add_u32_e32 v3, s7, v3
	v_lshl_add_u32 v2, v4, 2, 0
	ds_read_b32 v3, v3 offset:32
	ds_read_b32 v5, v2
	v_bfe_u32 v21, v0, 3, 1
	v_cmp_eq_u32_e32 vcc, v8, v21
	v_cndmask_b32_e32 v22, v1, v7, vcc
	v_cmp_eq_u32_e32 vcc, v11, v21
	s_waitcnt lgkmcnt(0)
	v_mov_b32_dpp v19, v5 quad_perm:[1,0,3,2] row_mask:0xf bank_mask:0xf bound_ctrl:1
	v_med3_f32 v19, v5, v19, v12
	v_cndmask_b32_e32 v23, v1, v7, vcc
	v_cmp_eq_u32_e32 vcc, v10, v21
	v_mov_b32_dpp v20, v19 quad_perm:[2,3,0,1] row_mask:0xf bank_mask:0xf bound_ctrl:1
	v_med3_f32 v19, v19, v20, v13
	v_cndmask_b32_e32 v24, v1, v7, vcc
	v_bfe_u32 v25, v0, 4, 1
	v_mov_b32_dpp v20, v19 quad_perm:[1,0,3,2] row_mask:0xf bank_mask:0xf bound_ctrl:1
	v_med3_f32 v19, v19, v20, v14
	v_cmp_eq_u32_e32 vcc, v21, v25
	v_cndmask_b32_e32 v26, v1, v7, vcc
	v_mov_b32_dpp v20, v19 row_shl:4 row_mask:0xf bank_mask:0x5 bound_ctrl:1
	v_lshl_or_b32 v2, v3, 5, v18
	v_lshl_add_u32 v3, v2, 2, 0
	v_mov_b32_dpp v20, v19 row_shr:4 row_mask:0xf bank_mask:0xa bound_ctrl:1
	v_med3_f32 v19, v19, v20, v22
	v_cmp_eq_u32_e32 vcc, v8, v25
	ds_read_b32 v3, v3
	v_mov_b32_dpp v20, v19 quad_perm:[2,3,0,1] row_mask:0xf bank_mask:0xf bound_ctrl:1
	v_med3_f32 v19, v19, v20, v23
	v_cndmask_b32_e32 v27, v1, v7, vcc
	v_cmp_eq_u32_e32 vcc, v11, v25
	v_mov_b32_dpp v20, v19 quad_perm:[1,0,3,2] row_mask:0xf bank_mask:0xf bound_ctrl:1
	v_med3_f32 v19, v19, v20, v24
	v_cndmask_b32_e32 v11, v1, v7, vcc
	v_cmp_eq_u32_e32 vcc, v10, v25
	v_mov_b32_dpp v20, v19 row_shl:8 row_mask:0xf bank_mask:0x3 bound_ctrl:1
	v_cndmask_b32_e32 v10, v1, v7, vcc
	v_cmp_gt_u32_e32 vcc, 32, v0
	v_mov_b32_dpp v20, v19 row_shr:8 row_mask:0xf bank_mask:0xc bound_ctrl:1
	v_med3_f32 v19, v19, v20, v26
	v_cmp_lt_u32_e64 s[2:3], 15, v6
	s_lshl_b32 s8, s17, 2
	v_mov_b32_dpp v20, v19 row_shl:4 row_mask:0xf bank_mask:0x5 bound_ctrl:1
	s_add_i32 s12, s7, s8
	s_add_i32 s13, s7, 64
	v_mov_b32_dpp v20, v19 row_shr:4 row_mask:0xf bank_mask:0xa bound_ctrl:1
	v_med3_f32 v19, v19, v20, v27
	s_add_i32 s16, s12, 64
	s_nop 0
	v_mov_b32_dpp v20, v19 quad_perm:[2,3,0,1] row_mask:0xf bank_mask:0xf bound_ctrl:1
	v_med3_f32 v19, v19, v20, v11
	s_nop 1
	v_mov_b32_dpp v20, v19 quad_perm:[1,0,3,2] row_mask:0xf bank_mask:0xf bound_ctrl:1
	v_med3_f32 v19, v19, v20, v10
	s_waitcnt lgkmcnt(0)
	v_mov_b32_dpp v20, v3 quad_perm:[1,0,3,2] row_mask:0xf bank_mask:0xf bound_ctrl:1
	v_med3_f32 v12, v3, v20, v12
	s_nop 1
	v_mov_b32_dpp v20, v12 quad_perm:[2,3,0,1] row_mask:0xf bank_mask:0xf bound_ctrl:1
	v_med3_f32 v12, v12, v20, v13
	s_nop 1
	;; [unrolled: 3-line block ×3, first 2 shown]
	v_mov_b32_dpp v13, v12 row_shl:4 row_mask:0xf bank_mask:0x5 bound_ctrl:1
	s_nop 1
	v_mov_b32_dpp v13, v12 row_shr:4 row_mask:0xf bank_mask:0xa bound_ctrl:1
	v_med3_f32 v12, v12, v13, v22
	s_nop 1
	v_mov_b32_dpp v13, v12 quad_perm:[2,3,0,1] row_mask:0xf bank_mask:0xf bound_ctrl:1
	v_med3_f32 v12, v12, v13, v23
	s_nop 1
	v_mov_b32_dpp v13, v12 quad_perm:[1,0,3,2] row_mask:0xf bank_mask:0xf bound_ctrl:1
	v_med3_f32 v12, v12, v13, v24
	s_nop 1
	v_mov_b32_dpp v13, v12 row_shl:8 row_mask:0xf bank_mask:0x3 bound_ctrl:1
	s_nop 1
	v_mov_b32_dpp v13, v12 row_shr:8 row_mask:0xf bank_mask:0xc bound_ctrl:1
	v_med3_f32 v12, v12, v13, v26
	s_nop 1
	v_mov_b32_dpp v13, v12 row_shl:4 row_mask:0xf bank_mask:0x5 bound_ctrl:1
	s_nop 1
	v_mov_b32_dpp v13, v12 row_shr:4 row_mask:0xf bank_mask:0xa bound_ctrl:1
	v_med3_f32 v12, v12, v13, v27
	s_nop 1
	v_mov_b32_dpp v13, v12 quad_perm:[2,3,0,1] row_mask:0xf bank_mask:0xf bound_ctrl:1
	v_med3_f32 v12, v12, v13, v11
	s_nop 1
	v_mov_b32_dpp v13, v12 quad_perm:[1,0,3,2] row_mask:0xf bank_mask:0xf bound_ctrl:1
	v_med3_f32 v12, v12, v13, v10
	v_lshlrev_b32_e32 v13, 1, v0
	v_bfi_b32 v14, 48, v13, v18
	v_or_b32_e32 v14, v9, v14
	v_lshlrev_b32_e32 v14, 2, v14
	ds_bpermute_b32 v19, v14, v19
	ds_bpermute_b32 v12, v14, v12
	v_xor_b32_e32 v13, v18, v13
	v_and_b32_e32 v13, 48, v13
	s_waitcnt lgkmcnt(0)
	v_cndmask_b32_e32 v12, v12, v19, vcc
	s_nop 1
	v_mov_b32_dpp v14, v12 row_shl:8 row_mask:0xf bank_mask:0x3 bound_ctrl:1
	v_cmp_eq_u32_e32 vcc, 0, v21
	s_nop 0
	v_mov_b32_dpp v14, v12 row_shr:8 row_mask:0xf bank_mask:0xc bound_ctrl:1
	v_med3_f32 v12, v12, v14, v26
	s_nop 1
	v_mov_b32_dpp v14, v12 row_shl:4 row_mask:0xf bank_mask:0x5 bound_ctrl:1
	s_nop 1
	v_mov_b32_dpp v14, v12 row_shr:4 row_mask:0xf bank_mask:0xa bound_ctrl:1
	v_med3_f32 v12, v12, v14, v27
	s_nop 1
	v_mov_b32_dpp v14, v12 quad_perm:[2,3,0,1] row_mask:0xf bank_mask:0xf bound_ctrl:1
	v_med3_f32 v12, v12, v14, v11
	s_nop 1
	v_mov_b32_dpp v14, v12 quad_perm:[1,0,3,2] row_mask:0xf bank_mask:0xf bound_ctrl:1
	v_med3_f32 v12, v12, v14, v10
	v_and_b32_e32 v14, 63, v0
	v_xor_b32_e32 v13, v13, v14
	v_or_b32_e32 v9, v9, v13
	v_lshlrev_b32_e32 v9, 2, v9
	ds_bpermute_b32 v12, v9, v12
	s_waitcnt lgkmcnt(0)
	s_nop 0
	v_mov_b32_dpp v13, v12 row_shl:8 row_mask:0xf bank_mask:0x3 bound_ctrl:1
	s_nop 1
	v_mov_b32_dpp v13, v12 row_shr:8 row_mask:0xf bank_mask:0xc bound_ctrl:1
	v_med3_f32 v12, v12, v13, v26
	s_nop 1
	v_mov_b32_dpp v13, v12 row_shl:4 row_mask:0xf bank_mask:0x5 bound_ctrl:1
	s_nop 1
	v_mov_b32_dpp v13, v12 row_shr:4 row_mask:0xf bank_mask:0xa bound_ctrl:1
	v_med3_f32 v12, v12, v13, v27
	s_nop 1
	v_mov_b32_dpp v13, v12 quad_perm:[2,3,0,1] row_mask:0xf bank_mask:0xf bound_ctrl:1
	v_med3_f32 v11, v12, v13, v11
	s_nop 1
	v_mov_b32_dpp v12, v11 quad_perm:[1,0,3,2] row_mask:0xf bank_mask:0xf bound_ctrl:1
	v_med3_f32 v10, v11, v12, v10
	ds_bpermute_b32 v9, v9, v10
	v_cndmask_b32_e32 v11, v1, v7, vcc
	v_cmp_eq_u32_e32 vcc, 0, v8
	v_cndmask_b32_e32 v1, v1, v7, vcc
	s_waitcnt lgkmcnt(0)
	v_mov_b32_dpp v10, v9 row_shl:8 row_mask:0xf bank_mask:0x3 bound_ctrl:1
	s_nop 1
	v_mov_b32_dpp v10, v9 row_shr:8 row_mask:0xf bank_mask:0xc bound_ctrl:1
	v_med3_f32 v9, v9, v10, v11
	s_nop 1
	v_mov_b32_dpp v10, v9 row_shl:4 row_mask:0xf bank_mask:0x5 bound_ctrl:1
	s_nop 1
	v_mov_b32_dpp v10, v9 row_shr:4 row_mask:0xf bank_mask:0xa bound_ctrl:1
	v_med3_f32 v1, v9, v10, v1
	s_nop 1
	v_mov_b32_dpp v7, v1 quad_perm:[2,3,0,1] row_mask:0xf bank_mask:0xf bound_ctrl:1
	v_med3_f32 v1, v1, v7, v15
	s_nop 1
	v_mov_b32_dpp v7, v1 quad_perm:[1,0,3,2] row_mask:0xf bank_mask:0xf bound_ctrl:1
	v_med3_f32 v1, v1, v7, v16
	ds_bpermute_b32 v1, v17, v1 offset:28
	v_lshlrev_b32_e32 v7, 2, v6
	v_and_b32_e32 v7, 0xc0, v7
	v_add_u32_e32 v8, -4, v7
	v_add_u32_e32 v11, 0xffffffbc, v7
	s_waitcnt lgkmcnt(0)
	v_cmp_gt_f32_e32 vcc, v5, v1
	v_cndmask_b32_e64 v9, 0, 1, vcc
	v_cmp_eq_f32_e64 s[8:9], v5, v1
	s_nop 0
	v_mov_b32_dpp v9, v9 row_shr:1 row_mask:0xf bank_mask:0xf bound_ctrl:1
	v_addc_co_u32_e64 v10, s[0:1], 0, v9, vcc
	s_nop 1
	v_mov_b32_dpp v10, v10 row_shr:2 row_mask:0xf bank_mask:0xf bound_ctrl:1
	v_addc_co_u32_e32 v9, vcc, v10, v9, vcc
	v_cmp_gt_f32_e32 vcc, v3, v1
	s_nop 0
	v_add_u32_dpp v9, v9, v9 row_shr:4 row_mask:0xf bank_mask:0xf bound_ctrl:1
	s_nop 1
	v_add_u32_dpp v9, v9, v9 row_shr:8 row_mask:0xf bank_mask:0xf bound_ctrl:1
	ds_bpermute_b32 v10, v8, v9
	s_waitcnt lgkmcnt(0)
	v_cndmask_b32_e64 v7, 0, v10, s[2:3]
	v_cndmask_b32_e64 v10, 0, 1, vcc
	v_add_u32_e32 v7, v7, v9
	ds_bpermute_b32 v9, v11, v7
	v_mov_b32_dpp v10, v10 row_shr:1 row_mask:0xf bank_mask:0xf bound_ctrl:1
	v_addc_co_u32_e64 v12, s[0:1], 0, v10, vcc
	s_nop 1
	v_mov_b32_dpp v12, v12 row_shr:2 row_mask:0xf bank_mask:0xf bound_ctrl:1
	v_addc_co_u32_e32 v10, vcc, v12, v10, vcc
	v_cmp_lt_u32_e32 vcc, 31, v6
	s_nop 0
	v_add_u32_dpp v10, v10, v10 row_shr:4 row_mask:0xf bank_mask:0xf bound_ctrl:1
	s_waitcnt lgkmcnt(0)
	v_cndmask_b32_e32 v6, 0, v9, vcc
	v_add_u32_e32 v14, v7, v6
	v_add_u32_dpp v10, v10, v10 row_shr:8 row_mask:0xf bank_mask:0xf bound_ctrl:1
	ds_bpermute_b32 v12, v8, v10
	s_waitcnt lgkmcnt(0)
	v_cndmask_b32_e64 v9, 0, v12, s[2:3]
	v_cndmask_b32_e64 v12, 0, 1, s[8:9]
	v_add_u32_e32 v9, v9, v10
	ds_bpermute_b32 v10, v11, v9
	v_mov_b32_dpp v12, v12 row_shr:1 row_mask:0xf bank_mask:0xf bound_ctrl:1
	v_addc_co_u32_e64 v13, s[0:1], 0, v12, s[8:9]
	s_waitcnt lgkmcnt(0)
	v_cndmask_b32_e32 v6, 0, v10, vcc
	v_mov_b32_dpp v13, v13 row_shr:2 row_mask:0xf bank_mask:0xf bound_ctrl:1
	v_addc_co_u32_e64 v12, s[0:1], v13, v12, s[8:9]
	v_readlane_b32 s0, v14, 63
	s_nop 0
	v_add_u32_dpp v12, v12, v12 row_shr:4 row_mask:0xf bank_mask:0xf bound_ctrl:1
	v_add3_u32 v6, v9, s0, v6
	v_cmp_eq_f32_e64 s[0:1], v3, v1
	v_add_u32_dpp v12, v12, v12 row_shr:8 row_mask:0xf bank_mask:0xf bound_ctrl:1
	ds_bpermute_b32 v13, v8, v12
	v_cndmask_b32_e64 v10, 0, 1, s[0:1]
	s_waitcnt lgkmcnt(0)
	v_cndmask_b32_e64 v7, 0, v13, s[2:3]
	v_mov_b32_dpp v10, v10 row_shr:1 row_mask:0xf bank_mask:0xf bound_ctrl:1
	v_add_u32_e32 v7, v7, v12
	v_addc_co_u32_e64 v12, s[10:11], 0, v10, s[0:1]
	ds_bpermute_b32 v9, v11, v7
	s_nop 0
	v_mov_b32_dpp v12, v12 row_shr:2 row_mask:0xf bank_mask:0xf bound_ctrl:1
	v_addc_co_u32_e64 v10, s[10:11], v12, v10, s[0:1]
	v_readlane_b32 s10, v6, 63
	s_nop 0
	v_add_u32_dpp v10, v10, v10 row_shr:4 row_mask:0xf bank_mask:0xf bound_ctrl:1
	s_waitcnt lgkmcnt(0)
	v_cndmask_b32_e32 v9, 0, v9, vcc
	v_add3_u32 v9, v7, s10, v9
	v_add_u32_dpp v10, v10, v10 row_shr:8 row_mask:0xf bank_mask:0xf bound_ctrl:1
	ds_bpermute_b32 v8, v8, v10
	v_readlane_b32 s10, v9, 63
	v_cndmask_b32_e64 v9, v14, v9, s[8:9]
	v_cmp_ge_i32_e64 s[8:9], s17, v9
	s_waitcnt lgkmcnt(0)
	v_cndmask_b32_e64 v7, 0, v8, s[2:3]
	v_add_u32_e32 v7, v7, v10
	ds_bpermute_b32 v8, v11, v7
	v_cmp_ge_f32_e64 s[2:3], v5, v1
	s_and_b64 s[8:9], s[2:3], s[8:9]
	s_and_saveexec_b64 s[2:3], s[8:9]
	s_cbranch_execz .LBB14_4
; %bb.3:
	v_lshl_add_u32 v9, v9, 2, -4
	v_add_u32_e32 v10, s16, v9
	v_add_u32_e32 v9, s13, v9
	ds_write_b32 v9, v4
	ds_write_b32 v10, v5
.LBB14_4:
	s_or_b64 exec, exec, s[2:3]
	s_waitcnt lgkmcnt(0)
	v_cndmask_b32_e32 v4, 0, v8, vcc
	v_add3_u32 v4, v7, s10, v4
	v_cndmask_b32_e64 v4, v6, v4, s[0:1]
	v_cmp_ge_f32_e32 vcc, v3, v1
	v_cmp_ge_i32_e64 s[0:1], s17, v4
	s_and_b64 s[2:3], vcc, s[0:1]
	s_and_saveexec_b64 s[0:1], s[2:3]
	s_cbranch_execz .LBB14_6
; %bb.5:
	v_lshl_add_u32 v1, v4, 2, -4
	v_add_u32_e32 v4, s16, v1
	v_add_u32_e32 v1, s13, v1
	ds_write_b32 v1, v2
	ds_write_b32 v4, v3
.LBB14_6:
	s_or_b64 exec, exec, s[0:1]
	v_cmp_gt_u32_e32 vcc, s17, v0
	s_waitcnt lgkmcnt(0)
	s_barrier
	s_and_saveexec_b64 s[0:1], vcc
	s_cbranch_execz .LBB14_8
; %bb.7:
	v_lshlrev_b32_e32 v4, 2, v0
	v_add_u32_e32 v0, s7, v4
	ds_read_b32 v0, v0 offset:64
	v_mov_b32_e32 v5, s15
	s_load_dwordx2 s[8:9], s[4:5], 0x20
	s_load_dwordx4 s[0:3], s[4:5], 0x10
	s_ashr_i32 s4, s6, 31
	s_waitcnt lgkmcnt(0)
	v_ashrrev_i32_e32 v1, 31, v0
	v_lshlrev_b64 v[2:3], 1, v[0:1]
	v_add_co_u32_e32 v2, vcc, s14, v2
	v_addc_co_u32_e32 v3, vcc, v5, v3, vcc
	global_load_ushort v1, v[2:3], off
	v_add_u32_e32 v2, s12, v4
	s_mul_i32 s5, s6, s9
	s_mul_hi_u32 s7, s6, s8
	ds_read_b32 v2, v2 offset:64
	s_mul_i32 s9, s4, s8
	s_add_i32 s5, s7, s5
	s_mul_i32 s4, s6, s8
	s_add_i32 s5, s5, s9
	s_lshl_b64 s[4:5], s[4:5], 2
	s_add_u32 s0, s0, s4
	s_addc_u32 s1, s1, s5
	s_add_u32 s2, s2, s4
	s_addc_u32 s3, s3, s5
	s_waitcnt vmcnt(0)
	v_cvt_f32_f16_e32 v1, v1
	s_waitcnt lgkmcnt(0)
	v_sub_f32_e32 v1, v2, v1
	global_store_dword v4, v1, s[0:1]
	global_store_dword v4, v0, s[2:3]
.LBB14_8:
	s_endpgm
	.section	.rodata,"a",@progbits
	.p2align	6, 0x0
	.amdhsa_kernel _ZN5aiter28grouped_topk_opt_sort_kernelIN3c104HalfEDv4_fLi8ELb0ELb1ELb0EEEvPT_PKS4_PfPimiiiif
		.amdhsa_group_segment_fixed_size 0
		.amdhsa_private_segment_fixed_size 0
		.amdhsa_kernarg_size 60
		.amdhsa_user_sgpr_count 6
		.amdhsa_user_sgpr_private_segment_buffer 1
		.amdhsa_user_sgpr_dispatch_ptr 0
		.amdhsa_user_sgpr_queue_ptr 0
		.amdhsa_user_sgpr_kernarg_segment_ptr 1
		.amdhsa_user_sgpr_dispatch_id 0
		.amdhsa_user_sgpr_flat_scratch_init 0
		.amdhsa_user_sgpr_kernarg_preload_length 0
		.amdhsa_user_sgpr_kernarg_preload_offset 0
		.amdhsa_user_sgpr_private_segment_size 0
		.amdhsa_uses_dynamic_stack 0
		.amdhsa_system_sgpr_private_segment_wavefront_offset 0
		.amdhsa_system_sgpr_workgroup_id_x 1
		.amdhsa_system_sgpr_workgroup_id_y 0
		.amdhsa_system_sgpr_workgroup_id_z 0
		.amdhsa_system_sgpr_workgroup_info 0
		.amdhsa_system_vgpr_workitem_id 0
		.amdhsa_next_free_vgpr 28
		.amdhsa_next_free_sgpr 20
		.amdhsa_accum_offset 28
		.amdhsa_reserve_vcc 1
		.amdhsa_reserve_flat_scratch 0
		.amdhsa_float_round_mode_32 0
		.amdhsa_float_round_mode_16_64 0
		.amdhsa_float_denorm_mode_32 3
		.amdhsa_float_denorm_mode_16_64 3
		.amdhsa_dx10_clamp 1
		.amdhsa_ieee_mode 1
		.amdhsa_fp16_overflow 0
		.amdhsa_tg_split 0
		.amdhsa_exception_fp_ieee_invalid_op 0
		.amdhsa_exception_fp_denorm_src 0
		.amdhsa_exception_fp_ieee_div_zero 0
		.amdhsa_exception_fp_ieee_overflow 0
		.amdhsa_exception_fp_ieee_underflow 0
		.amdhsa_exception_fp_ieee_inexact 0
		.amdhsa_exception_int_div_zero 0
	.end_amdhsa_kernel
	.section	.text._ZN5aiter28grouped_topk_opt_sort_kernelIN3c104HalfEDv4_fLi8ELb0ELb1ELb0EEEvPT_PKS4_PfPimiiiif,"axG",@progbits,_ZN5aiter28grouped_topk_opt_sort_kernelIN3c104HalfEDv4_fLi8ELb0ELb1ELb0EEEvPT_PKS4_PfPimiiiif,comdat
.Lfunc_end14:
	.size	_ZN5aiter28grouped_topk_opt_sort_kernelIN3c104HalfEDv4_fLi8ELb0ELb1ELb0EEEvPT_PKS4_PfPimiiiif, .Lfunc_end14-_ZN5aiter28grouped_topk_opt_sort_kernelIN3c104HalfEDv4_fLi8ELb0ELb1ELb0EEEvPT_PKS4_PfPimiiiif
                                        ; -- End function
	.section	.AMDGPU.csdata,"",@progbits
; Kernel info:
; codeLenInByte = 3076
; NumSgprs: 24
; NumVgprs: 28
; NumAgprs: 0
; TotalNumVgprs: 28
; ScratchSize: 0
; MemoryBound: 0
; FloatMode: 240
; IeeeMode: 1
; LDSByteSize: 0 bytes/workgroup (compile time only)
; SGPRBlocks: 2
; VGPRBlocks: 3
; NumSGPRsForWavesPerEU: 24
; NumVGPRsForWavesPerEU: 28
; AccumOffset: 28
; Occupancy: 8
; WaveLimiterHint : 0
; COMPUTE_PGM_RSRC2:SCRATCH_EN: 0
; COMPUTE_PGM_RSRC2:USER_SGPR: 6
; COMPUTE_PGM_RSRC2:TRAP_HANDLER: 0
; COMPUTE_PGM_RSRC2:TGID_X_EN: 1
; COMPUTE_PGM_RSRC2:TGID_Y_EN: 0
; COMPUTE_PGM_RSRC2:TGID_Z_EN: 0
; COMPUTE_PGM_RSRC2:TIDIG_COMP_CNT: 0
; COMPUTE_PGM_RSRC3_GFX90A:ACCUM_OFFSET: 6
; COMPUTE_PGM_RSRC3_GFX90A:TG_SPLIT: 0
	.section	.text._ZN5aiter28grouped_topk_opt_sort_kernelIN3c108BFloat16EDv4_fLi8ELb0ELb1ELb0EEEvPT_PKS4_PfPimiiiif,"axG",@progbits,_ZN5aiter28grouped_topk_opt_sort_kernelIN3c108BFloat16EDv4_fLi8ELb0ELb1ELb0EEEvPT_PKS4_PfPimiiiif,comdat
	.protected	_ZN5aiter28grouped_topk_opt_sort_kernelIN3c108BFloat16EDv4_fLi8ELb0ELb1ELb0EEEvPT_PKS4_PfPimiiiif ; -- Begin function _ZN5aiter28grouped_topk_opt_sort_kernelIN3c108BFloat16EDv4_fLi8ELb0ELb1ELb0EEEvPT_PKS4_PfPimiiiif
	.globl	_ZN5aiter28grouped_topk_opt_sort_kernelIN3c108BFloat16EDv4_fLi8ELb0ELb1ELb0EEEvPT_PKS4_PfPimiiiif
	.p2align	8
	.type	_ZN5aiter28grouped_topk_opt_sort_kernelIN3c108BFloat16EDv4_fLi8ELb0ELb1ELb0EEEvPT_PKS4_PfPimiiiif,@function
_ZN5aiter28grouped_topk_opt_sort_kernelIN3c108BFloat16EDv4_fLi8ELb0ELb1ELb0EEEvPT_PKS4_PfPimiiiif: ; @_ZN5aiter28grouped_topk_opt_sort_kernelIN3c108BFloat16EDv4_fLi8ELb0ELb1ELb0EEEvPT_PKS4_PfPimiiiif
; %bb.0:
	s_load_dwordx4 s[16:19], s[4:5], 0x28
	s_load_dwordx4 s[12:15], s[4:5], 0x0
	v_lshlrev_b32_e32 v15, 3, v0
	v_bfe_u32 v11, v0, 1, 1
	v_and_b32_e32 v10, 1, v0
	s_waitcnt lgkmcnt(0)
	s_lshl_b32 s1, s16, 2
	s_mul_i32 s0, s6, s16
	s_add_i32 s7, s1, 0
	s_ashr_i32 s1, s0, 31
	s_lshl_b64 s[0:1], s[0:1], 1
	s_add_u32 s0, s12, s0
	s_addc_u32 s1, s13, s1
	global_load_dwordx2 v[2:3], v15, s[14:15]
	global_load_dwordx2 v[4:5], v15, s[0:1]
	s_mov_b32 s0, 0x652b82fe
	s_mov_b32 s1, 0xbff71547
	v_mov_b32_e32 v1, 0xff800000
	v_mov_b32_e32 v7, 0x7f800000
	v_bfe_u32 v8, v0, 2, 1
	v_cmp_eq_u32_e32 vcc, v10, v11
	v_cndmask_b32_e32 v12, v1, v7, vcc
	v_cmp_eq_u32_e32 vcc, v11, v8
	s_mov_b32 s8, 0xc2fc0000
	v_cndmask_b32_e32 v13, v1, v7, vcc
	v_cmp_eq_u32_e32 vcc, v10, v8
	v_mov_b32_e32 v24, 0x42800000
	v_cndmask_b32_e32 v14, v1, v7, vcc
	v_mov_b32_e32 v25, 0x1f800000
	s_mov_b32 s10, 0xff800000
	v_mbcnt_lo_u32_b32 v6, -1, 0
	v_mbcnt_hi_u32_b32 v6, -1, v6
	v_and_b32_e32 v9, 64, v6
	v_and_or_b32 v15, v15, 56, v9
	v_lshlrev_b32_e32 v15, 2, v15
	v_and_b32_e32 v26, 4, v0
	s_waitcnt vmcnt(1)
	v_cvt_f32_u32_sdwa v17, v2 dst_sel:DWORD dst_unused:UNUSED_PAD src0_sel:WORD_1
	v_cvt_f32_u32_sdwa v16, v2 dst_sel:DWORD dst_unused:UNUSED_PAD src0_sel:WORD_0
	s_waitcnt vmcnt(0)
	v_and_b32_e32 v2, 0xffff, v4
	v_lshrrev_b32_e32 v4, 16, v4
	v_cvt_f32_u32_sdwa v19, v3 dst_sel:DWORD dst_unused:UNUSED_PAD src0_sel:WORD_1
	v_cvt_f32_u32_sdwa v18, v3 dst_sel:DWORD dst_unused:UNUSED_PAD src0_sel:WORD_0
	v_and_b32_e32 v20, 0xffff, v5
	v_lshrrev_b32_e32 v22, 16, v5
	v_cvt_f64_u32_e32 v[2:3], v2
	v_cvt_f64_u32_e32 v[4:5], v4
	v_mul_f64 v[2:3], v[2:3], s[0:1]
	v_mul_f64 v[4:5], v[4:5], s[0:1]
	v_cvt_f64_u32_e32 v[20:21], v20
	v_cvt_f64_u32_e32 v[22:23], v22
	v_cvt_f32_f64_e32 v2, v[2:3]
	v_cvt_f32_f64_e32 v3, v[4:5]
	v_mul_f64 v[20:21], v[20:21], s[0:1]
	v_mul_f64 v[22:23], v[22:23], s[0:1]
	v_cmp_gt_f32_e32 vcc, s8, v2
	v_cmp_gt_f32_e64 s[0:1], s8, v3
	v_cvt_f32_f64_e32 v4, v[20:21]
	v_cvt_f32_f64_e32 v5, v[22:23]
	v_cndmask_b32_e32 v20, 0, v24, vcc
	v_cndmask_b32_e64 v21, 0, v24, s[0:1]
	v_cmp_gt_f32_e64 s[2:3], s8, v4
	v_cmp_gt_f32_e64 s[8:9], s8, v5
	v_add_f32_e32 v2, v2, v20
	v_add_f32_e32 v3, v3, v21
	v_cndmask_b32_e64 v22, 0, v24, s[2:3]
	v_cndmask_b32_e64 v23, 0, v24, s[8:9]
	v_exp_f32_e32 v2, v2
	v_exp_f32_e32 v3, v3
	v_add_f32_e32 v4, v4, v22
	v_add_f32_e32 v5, v5, v23
	v_exp_f32_e32 v4, v4
	v_exp_f32_e32 v5, v5
	v_cndmask_b32_e32 v20, 1.0, v25, vcc
	v_cndmask_b32_e64 v21, 1.0, v25, s[0:1]
	v_fma_f32 v2, v2, v20, 1.0
	v_fma_f32 v3, v3, v21, 1.0
	v_cndmask_b32_e64 v22, 1.0, v25, s[2:3]
	v_cndmask_b32_e64 v23, 1.0, v25, s[8:9]
	v_rcp_f32_e32 v2, v2
	v_rcp_f32_e32 v3, v3
	v_fma_f32 v4, v4, v22, 1.0
	v_fma_f32 v5, v5, v23, 1.0
	v_rcp_f32_e32 v4, v4
	v_rcp_f32_e32 v5, v5
	v_pk_add_f32 v[2:3], v[2:3], v[16:17]
	v_cmp_o_f32_e32 vcc, v3, v3
	v_cndmask_b32_e32 v3, v1, v3, vcc
	v_pk_add_f32 v[4:5], v[4:5], v[18:19]
	v_cmp_o_f32_e32 vcc, v2, v2
	v_cndmask_b32_e32 v2, v1, v2, vcc
	v_cmp_o_f32_e32 vcc, v5, v5
	v_cndmask_b32_e32 v5, v1, v5, vcc
	;; [unrolled: 2-line block ×3, first 2 shown]
	v_med3_f32 v16, v3, v2, s10
	v_max_f32_e32 v17, v3, v2
	v_med3_f32 v16, v4, v17, v16
	v_max_f32_e32 v17, v4, v17
	;; [unrolled: 2-line block ×3, first 2 shown]
	v_cmp_eq_u32_e32 vcc, 0, v26
	v_mov_b32_dpp v19, v16 quad_perm:[1,0,3,2] row_mask:0xf bank_mask:0xf bound_ctrl:1
	v_max_f32_e32 v19, v19, v19
	v_mov_b32_dpp v18, v17 quad_perm:[1,0,3,2] row_mask:0xf bank_mask:0xf bound_ctrl:1
	v_max_f32_e32 v16, v19, v16
	v_med3_f32 v16, v18, v17, v16
	v_max_f32_e32 v20, v18, v18
	v_max_f32_e32 v19, v20, v17
	v_mov_b32_dpp v18, v16 quad_perm:[2,3,0,1] row_mask:0xf bank_mask:0xf bound_ctrl:1
	v_max_f32_e32 v18, v18, v18
	v_mov_b32_dpp v17, v19 quad_perm:[2,3,0,1] row_mask:0xf bank_mask:0xf bound_ctrl:1
	v_max_f32_e32 v16, v18, v16
	v_max_f32_e32 v20, v17, v17
	v_med3_f32 v16, v17, v19, v16
	v_max_f32_e32 v20, v20, v19
	s_nop 0
	v_mov_b32_dpp v19, v16 row_half_mirror row_mask:0xf bank_mask:0xf bound_ctrl:1
	v_mov_b32_dpp v18, v20 row_half_mirror row_mask:0xf bank_mask:0xf bound_ctrl:1
	v_max_f32_e32 v19, v19, v19
	v_max_f32_e32 v17, v18, v18
	;; [unrolled: 1-line block ×4, first 2 shown]
	v_med3_f32 v16, v18, v20, v16
	v_add_f32_e32 v16, v17, v16
	ds_bpermute_b32 v18, v15, v16
	v_cndmask_b32_e32 v16, v1, v7, vcc
	v_cmp_eq_u32_e32 vcc, 0, v11
	v_cndmask_b32_e32 v15, v1, v7, vcc
	v_cmp_eq_u32_e32 vcc, 0, v10
	s_waitcnt lgkmcnt(0)
	v_mov_b32_dpp v17, v18 quad_perm:[1,0,3,2] row_mask:0xf bank_mask:0xf bound_ctrl:1
	v_med3_f32 v17, v18, v17, v12
	v_lshl_add_u32 v20, v0, 4, 0
	ds_write_b128 v20, v[2:5]
	v_mov_b32_dpp v19, v17 quad_perm:[2,3,0,1] row_mask:0xf bank_mask:0xf bound_ctrl:1
	v_med3_f32 v17, v17, v19, v13
	s_nop 1
	v_mov_b32_dpp v19, v17 quad_perm:[1,0,3,2] row_mask:0xf bank_mask:0xf bound_ctrl:1
	v_med3_f32 v17, v17, v19, v14
	s_nop 1
	v_mov_b32_dpp v19, v17 row_shl:4 row_mask:0xf bank_mask:0x5 bound_ctrl:1
	s_nop 1
	v_mov_b32_dpp v19, v17 row_shr:4 row_mask:0xf bank_mask:0xa bound_ctrl:1
	v_med3_f32 v16, v17, v19, v16
	s_nop 1
	v_mov_b32_dpp v17, v16 quad_perm:[2,3,0,1] row_mask:0xf bank_mask:0xf bound_ctrl:1
	v_med3_f32 v17, v16, v17, v15
	v_cndmask_b32_e32 v16, v1, v7, vcc
	s_nop 0
	v_mov_b32_dpp v19, v17 quad_perm:[1,0,3,2] row_mask:0xf bank_mask:0xf bound_ctrl:1
	v_med3_f32 v19, v17, v19, v16
	v_lshlrev_b32_e32 v17, 2, v9
	ds_bpermute_b32 v19, v17, v19 offset:12
	s_waitcnt lgkmcnt(0)
	v_cmp_gt_f32_e32 vcc, v18, v19
	v_cndmask_b32_e64 v2, 0, 1, vcc
	s_nop 1
	v_mov_b32_dpp v2, v2 row_shr:1 row_mask:0xf bank_mask:0xf bound_ctrl:1
	v_addc_co_u32_e64 v3, s[0:1], 0, v2, vcc
	s_nop 1
	v_mov_b32_dpp v3, v3 row_shr:2 row_mask:0xf bank_mask:0xf bound_ctrl:1
	v_addc_co_u32_e32 v2, vcc, v3, v2, vcc
	v_bfe_i32 v3, v6, 3, 1
	s_nop 0
	v_add_u32_dpp v2, v2, v2 row_shr:4 row_mask:0xf bank_mask:0xf bound_ctrl:1
	v_cmp_eq_f32_e32 vcc, v18, v19
	s_nop 0
	v_add_u32_dpp v2, v2, v2 row_shr:8 row_mask:0xf bank_mask:0xf bound_ctrl:1
	s_nop 1
	v_and_b32_dpp v4, v2, v3 row_newbcast:7 row_mask:0xf bank_mask:0xf bound_ctrl:1
	v_sub_u32_e32 v2, v2, v4
	v_cndmask_b32_e64 v4, 0, 1, vcc
	v_readlane_b32 s2, v2, 7
	s_nop 0
	v_mov_b32_dpp v4, v4 row_shr:1 row_mask:0xf bank_mask:0xf bound_ctrl:1
	v_addc_co_u32_e64 v5, s[0:1], 0, v4, vcc
	s_nop 1
	v_mov_b32_dpp v5, v5 row_shr:2 row_mask:0xf bank_mask:0xf bound_ctrl:1
	v_addc_co_u32_e64 v4, s[0:1], v5, v4, vcc
	s_nop 1
	v_add_u32_dpp v4, v4, v4 row_shr:4 row_mask:0xf bank_mask:0xf bound_ctrl:1
	s_nop 1
	v_add_u32_dpp v4, v4, v4 row_shr:8 row_mask:0xf bank_mask:0xf bound_ctrl:1
	s_nop 1
	v_and_b32_dpp v3, v4, v3 row_newbcast:7 row_mask:0xf bank_mask:0xf bound_ctrl:1
	v_add_u32_e32 v4, s2, v4
	v_sub_u32_e32 v3, v4, v3
	v_cndmask_b32_e32 v2, v2, v3, vcc
	v_cmp_ge_f32_e32 vcc, v18, v19
	v_cmp_ge_i32_e64 s[0:1], s18, v2
	s_and_b64 s[0:1], vcc, s[0:1]
	v_cmp_gt_u32_e32 vcc, 8, v0
	s_and_b64 s[2:3], vcc, s[0:1]
	s_and_saveexec_b64 s[0:1], s[2:3]
	s_cbranch_execz .LBB15_2
; %bb.1:
	v_lshl_add_u32 v2, v2, 2, s7
	ds_write_b32 v2, v0 offset:28
.LBB15_2:
	s_or_b64 exec, exec, s[0:1]
	v_lshrrev_b32_e32 v2, 3, v0
	v_and_b32_e32 v2, 0x7c, v2
	v_add_u32_e32 v2, s7, v2
	s_waitcnt lgkmcnt(0)
	s_barrier
	ds_read_b32 v2, v2 offset:32
	v_add_u32_e32 v3, 64, v0
	v_and_b32_e32 v18, 31, v0
	v_lshrrev_b32_e32 v3, 3, v3
	v_and_b32_e32 v3, 0xfc, v3
	s_waitcnt lgkmcnt(0)
	v_lshl_or_b32 v4, v2, 5, v18
	v_add_u32_e32 v3, s7, v3
	v_lshl_add_u32 v2, v4, 2, 0
	ds_read_b32 v3, v3 offset:32
	ds_read_b32 v5, v2
	v_bfe_u32 v21, v0, 3, 1
	v_cmp_eq_u32_e32 vcc, v8, v21
	v_cndmask_b32_e32 v22, v1, v7, vcc
	v_cmp_eq_u32_e32 vcc, v11, v21
	s_waitcnt lgkmcnt(0)
	v_mov_b32_dpp v19, v5 quad_perm:[1,0,3,2] row_mask:0xf bank_mask:0xf bound_ctrl:1
	v_med3_f32 v19, v5, v19, v12
	v_cndmask_b32_e32 v23, v1, v7, vcc
	v_cmp_eq_u32_e32 vcc, v10, v21
	v_mov_b32_dpp v20, v19 quad_perm:[2,3,0,1] row_mask:0xf bank_mask:0xf bound_ctrl:1
	v_med3_f32 v19, v19, v20, v13
	v_cndmask_b32_e32 v24, v1, v7, vcc
	v_bfe_u32 v25, v0, 4, 1
	v_mov_b32_dpp v20, v19 quad_perm:[1,0,3,2] row_mask:0xf bank_mask:0xf bound_ctrl:1
	v_med3_f32 v19, v19, v20, v14
	v_cmp_eq_u32_e32 vcc, v21, v25
	v_cndmask_b32_e32 v26, v1, v7, vcc
	v_mov_b32_dpp v20, v19 row_shl:4 row_mask:0xf bank_mask:0x5 bound_ctrl:1
	v_lshl_or_b32 v2, v3, 5, v18
	v_lshl_add_u32 v3, v2, 2, 0
	v_mov_b32_dpp v20, v19 row_shr:4 row_mask:0xf bank_mask:0xa bound_ctrl:1
	v_med3_f32 v19, v19, v20, v22
	v_cmp_eq_u32_e32 vcc, v8, v25
	ds_read_b32 v3, v3
	v_mov_b32_dpp v20, v19 quad_perm:[2,3,0,1] row_mask:0xf bank_mask:0xf bound_ctrl:1
	v_med3_f32 v19, v19, v20, v23
	v_cndmask_b32_e32 v27, v1, v7, vcc
	v_cmp_eq_u32_e32 vcc, v11, v25
	v_mov_b32_dpp v20, v19 quad_perm:[1,0,3,2] row_mask:0xf bank_mask:0xf bound_ctrl:1
	v_med3_f32 v19, v19, v20, v24
	v_cndmask_b32_e32 v11, v1, v7, vcc
	v_cmp_eq_u32_e32 vcc, v10, v25
	v_mov_b32_dpp v20, v19 row_shl:8 row_mask:0xf bank_mask:0x3 bound_ctrl:1
	v_cndmask_b32_e32 v10, v1, v7, vcc
	v_cmp_gt_u32_e32 vcc, 32, v0
	v_mov_b32_dpp v20, v19 row_shr:8 row_mask:0xf bank_mask:0xc bound_ctrl:1
	v_med3_f32 v19, v19, v20, v26
	v_cmp_lt_u32_e64 s[2:3], 15, v6
	s_lshl_b32 s8, s17, 2
	v_mov_b32_dpp v20, v19 row_shl:4 row_mask:0xf bank_mask:0x5 bound_ctrl:1
	s_add_i32 s12, s7, s8
	s_add_i32 s13, s7, 64
	v_mov_b32_dpp v20, v19 row_shr:4 row_mask:0xf bank_mask:0xa bound_ctrl:1
	v_med3_f32 v19, v19, v20, v27
	s_add_i32 s16, s12, 64
	s_nop 0
	v_mov_b32_dpp v20, v19 quad_perm:[2,3,0,1] row_mask:0xf bank_mask:0xf bound_ctrl:1
	v_med3_f32 v19, v19, v20, v11
	s_nop 1
	v_mov_b32_dpp v20, v19 quad_perm:[1,0,3,2] row_mask:0xf bank_mask:0xf bound_ctrl:1
	v_med3_f32 v19, v19, v20, v10
	s_waitcnt lgkmcnt(0)
	v_mov_b32_dpp v20, v3 quad_perm:[1,0,3,2] row_mask:0xf bank_mask:0xf bound_ctrl:1
	v_med3_f32 v12, v3, v20, v12
	s_nop 1
	v_mov_b32_dpp v20, v12 quad_perm:[2,3,0,1] row_mask:0xf bank_mask:0xf bound_ctrl:1
	v_med3_f32 v12, v12, v20, v13
	s_nop 1
	;; [unrolled: 3-line block ×3, first 2 shown]
	v_mov_b32_dpp v13, v12 row_shl:4 row_mask:0xf bank_mask:0x5 bound_ctrl:1
	s_nop 1
	v_mov_b32_dpp v13, v12 row_shr:4 row_mask:0xf bank_mask:0xa bound_ctrl:1
	v_med3_f32 v12, v12, v13, v22
	s_nop 1
	v_mov_b32_dpp v13, v12 quad_perm:[2,3,0,1] row_mask:0xf bank_mask:0xf bound_ctrl:1
	v_med3_f32 v12, v12, v13, v23
	s_nop 1
	v_mov_b32_dpp v13, v12 quad_perm:[1,0,3,2] row_mask:0xf bank_mask:0xf bound_ctrl:1
	v_med3_f32 v12, v12, v13, v24
	s_nop 1
	v_mov_b32_dpp v13, v12 row_shl:8 row_mask:0xf bank_mask:0x3 bound_ctrl:1
	s_nop 1
	v_mov_b32_dpp v13, v12 row_shr:8 row_mask:0xf bank_mask:0xc bound_ctrl:1
	v_med3_f32 v12, v12, v13, v26
	s_nop 1
	v_mov_b32_dpp v13, v12 row_shl:4 row_mask:0xf bank_mask:0x5 bound_ctrl:1
	s_nop 1
	v_mov_b32_dpp v13, v12 row_shr:4 row_mask:0xf bank_mask:0xa bound_ctrl:1
	v_med3_f32 v12, v12, v13, v27
	s_nop 1
	v_mov_b32_dpp v13, v12 quad_perm:[2,3,0,1] row_mask:0xf bank_mask:0xf bound_ctrl:1
	v_med3_f32 v12, v12, v13, v11
	s_nop 1
	v_mov_b32_dpp v13, v12 quad_perm:[1,0,3,2] row_mask:0xf bank_mask:0xf bound_ctrl:1
	v_med3_f32 v12, v12, v13, v10
	v_lshlrev_b32_e32 v13, 1, v0
	v_bfi_b32 v14, 48, v13, v18
	v_or_b32_e32 v14, v9, v14
	v_lshlrev_b32_e32 v14, 2, v14
	ds_bpermute_b32 v19, v14, v19
	ds_bpermute_b32 v12, v14, v12
	v_xor_b32_e32 v13, v18, v13
	v_and_b32_e32 v13, 48, v13
	s_waitcnt lgkmcnt(0)
	v_cndmask_b32_e32 v12, v12, v19, vcc
	s_nop 1
	v_mov_b32_dpp v14, v12 row_shl:8 row_mask:0xf bank_mask:0x3 bound_ctrl:1
	v_cmp_eq_u32_e32 vcc, 0, v21
	s_nop 0
	v_mov_b32_dpp v14, v12 row_shr:8 row_mask:0xf bank_mask:0xc bound_ctrl:1
	v_med3_f32 v12, v12, v14, v26
	s_nop 1
	v_mov_b32_dpp v14, v12 row_shl:4 row_mask:0xf bank_mask:0x5 bound_ctrl:1
	s_nop 1
	v_mov_b32_dpp v14, v12 row_shr:4 row_mask:0xf bank_mask:0xa bound_ctrl:1
	v_med3_f32 v12, v12, v14, v27
	s_nop 1
	v_mov_b32_dpp v14, v12 quad_perm:[2,3,0,1] row_mask:0xf bank_mask:0xf bound_ctrl:1
	v_med3_f32 v12, v12, v14, v11
	s_nop 1
	v_mov_b32_dpp v14, v12 quad_perm:[1,0,3,2] row_mask:0xf bank_mask:0xf bound_ctrl:1
	v_med3_f32 v12, v12, v14, v10
	v_and_b32_e32 v14, 63, v0
	v_xor_b32_e32 v13, v13, v14
	v_or_b32_e32 v9, v9, v13
	v_lshlrev_b32_e32 v9, 2, v9
	ds_bpermute_b32 v12, v9, v12
	s_waitcnt lgkmcnt(0)
	s_nop 0
	v_mov_b32_dpp v13, v12 row_shl:8 row_mask:0xf bank_mask:0x3 bound_ctrl:1
	s_nop 1
	v_mov_b32_dpp v13, v12 row_shr:8 row_mask:0xf bank_mask:0xc bound_ctrl:1
	v_med3_f32 v12, v12, v13, v26
	s_nop 1
	v_mov_b32_dpp v13, v12 row_shl:4 row_mask:0xf bank_mask:0x5 bound_ctrl:1
	s_nop 1
	v_mov_b32_dpp v13, v12 row_shr:4 row_mask:0xf bank_mask:0xa bound_ctrl:1
	v_med3_f32 v12, v12, v13, v27
	s_nop 1
	v_mov_b32_dpp v13, v12 quad_perm:[2,3,0,1] row_mask:0xf bank_mask:0xf bound_ctrl:1
	v_med3_f32 v11, v12, v13, v11
	s_nop 1
	v_mov_b32_dpp v12, v11 quad_perm:[1,0,3,2] row_mask:0xf bank_mask:0xf bound_ctrl:1
	v_med3_f32 v10, v11, v12, v10
	ds_bpermute_b32 v9, v9, v10
	v_cndmask_b32_e32 v11, v1, v7, vcc
	v_cmp_eq_u32_e32 vcc, 0, v8
	v_cndmask_b32_e32 v1, v1, v7, vcc
	s_waitcnt lgkmcnt(0)
	v_mov_b32_dpp v10, v9 row_shl:8 row_mask:0xf bank_mask:0x3 bound_ctrl:1
	s_nop 1
	v_mov_b32_dpp v10, v9 row_shr:8 row_mask:0xf bank_mask:0xc bound_ctrl:1
	v_med3_f32 v9, v9, v10, v11
	s_nop 1
	v_mov_b32_dpp v10, v9 row_shl:4 row_mask:0xf bank_mask:0x5 bound_ctrl:1
	s_nop 1
	v_mov_b32_dpp v10, v9 row_shr:4 row_mask:0xf bank_mask:0xa bound_ctrl:1
	v_med3_f32 v1, v9, v10, v1
	s_nop 1
	v_mov_b32_dpp v7, v1 quad_perm:[2,3,0,1] row_mask:0xf bank_mask:0xf bound_ctrl:1
	v_med3_f32 v1, v1, v7, v15
	s_nop 1
	v_mov_b32_dpp v7, v1 quad_perm:[1,0,3,2] row_mask:0xf bank_mask:0xf bound_ctrl:1
	v_med3_f32 v1, v1, v7, v16
	ds_bpermute_b32 v1, v17, v1 offset:28
	v_lshlrev_b32_e32 v7, 2, v6
	v_and_b32_e32 v7, 0xc0, v7
	v_add_u32_e32 v8, -4, v7
	v_add_u32_e32 v11, 0xffffffbc, v7
	s_waitcnt lgkmcnt(0)
	v_cmp_gt_f32_e32 vcc, v5, v1
	v_cndmask_b32_e64 v9, 0, 1, vcc
	v_cmp_eq_f32_e64 s[8:9], v5, v1
	s_nop 0
	v_mov_b32_dpp v9, v9 row_shr:1 row_mask:0xf bank_mask:0xf bound_ctrl:1
	v_addc_co_u32_e64 v10, s[0:1], 0, v9, vcc
	s_nop 1
	v_mov_b32_dpp v10, v10 row_shr:2 row_mask:0xf bank_mask:0xf bound_ctrl:1
	v_addc_co_u32_e32 v9, vcc, v10, v9, vcc
	v_cmp_gt_f32_e32 vcc, v3, v1
	s_nop 0
	v_add_u32_dpp v9, v9, v9 row_shr:4 row_mask:0xf bank_mask:0xf bound_ctrl:1
	s_nop 1
	v_add_u32_dpp v9, v9, v9 row_shr:8 row_mask:0xf bank_mask:0xf bound_ctrl:1
	ds_bpermute_b32 v10, v8, v9
	s_waitcnt lgkmcnt(0)
	v_cndmask_b32_e64 v7, 0, v10, s[2:3]
	v_cndmask_b32_e64 v10, 0, 1, vcc
	v_add_u32_e32 v7, v7, v9
	ds_bpermute_b32 v9, v11, v7
	v_mov_b32_dpp v10, v10 row_shr:1 row_mask:0xf bank_mask:0xf bound_ctrl:1
	v_addc_co_u32_e64 v12, s[0:1], 0, v10, vcc
	s_nop 1
	v_mov_b32_dpp v12, v12 row_shr:2 row_mask:0xf bank_mask:0xf bound_ctrl:1
	v_addc_co_u32_e32 v10, vcc, v12, v10, vcc
	v_cmp_lt_u32_e32 vcc, 31, v6
	s_nop 0
	v_add_u32_dpp v10, v10, v10 row_shr:4 row_mask:0xf bank_mask:0xf bound_ctrl:1
	s_waitcnt lgkmcnt(0)
	v_cndmask_b32_e32 v6, 0, v9, vcc
	v_add_u32_e32 v14, v7, v6
	v_add_u32_dpp v10, v10, v10 row_shr:8 row_mask:0xf bank_mask:0xf bound_ctrl:1
	ds_bpermute_b32 v12, v8, v10
	s_waitcnt lgkmcnt(0)
	v_cndmask_b32_e64 v9, 0, v12, s[2:3]
	v_cndmask_b32_e64 v12, 0, 1, s[8:9]
	v_add_u32_e32 v9, v9, v10
	ds_bpermute_b32 v10, v11, v9
	v_mov_b32_dpp v12, v12 row_shr:1 row_mask:0xf bank_mask:0xf bound_ctrl:1
	v_addc_co_u32_e64 v13, s[0:1], 0, v12, s[8:9]
	s_waitcnt lgkmcnt(0)
	v_cndmask_b32_e32 v6, 0, v10, vcc
	v_mov_b32_dpp v13, v13 row_shr:2 row_mask:0xf bank_mask:0xf bound_ctrl:1
	v_addc_co_u32_e64 v12, s[0:1], v13, v12, s[8:9]
	v_readlane_b32 s0, v14, 63
	s_nop 0
	v_add_u32_dpp v12, v12, v12 row_shr:4 row_mask:0xf bank_mask:0xf bound_ctrl:1
	v_add3_u32 v6, v9, s0, v6
	v_cmp_eq_f32_e64 s[0:1], v3, v1
	v_add_u32_dpp v12, v12, v12 row_shr:8 row_mask:0xf bank_mask:0xf bound_ctrl:1
	ds_bpermute_b32 v13, v8, v12
	v_cndmask_b32_e64 v10, 0, 1, s[0:1]
	s_waitcnt lgkmcnt(0)
	v_cndmask_b32_e64 v7, 0, v13, s[2:3]
	v_mov_b32_dpp v10, v10 row_shr:1 row_mask:0xf bank_mask:0xf bound_ctrl:1
	v_add_u32_e32 v7, v7, v12
	v_addc_co_u32_e64 v12, s[10:11], 0, v10, s[0:1]
	ds_bpermute_b32 v9, v11, v7
	s_nop 0
	v_mov_b32_dpp v12, v12 row_shr:2 row_mask:0xf bank_mask:0xf bound_ctrl:1
	v_addc_co_u32_e64 v10, s[10:11], v12, v10, s[0:1]
	v_readlane_b32 s10, v6, 63
	s_nop 0
	v_add_u32_dpp v10, v10, v10 row_shr:4 row_mask:0xf bank_mask:0xf bound_ctrl:1
	s_waitcnt lgkmcnt(0)
	v_cndmask_b32_e32 v9, 0, v9, vcc
	v_add3_u32 v9, v7, s10, v9
	v_add_u32_dpp v10, v10, v10 row_shr:8 row_mask:0xf bank_mask:0xf bound_ctrl:1
	ds_bpermute_b32 v8, v8, v10
	v_readlane_b32 s10, v9, 63
	v_cndmask_b32_e64 v9, v14, v9, s[8:9]
	v_cmp_ge_i32_e64 s[8:9], s17, v9
	s_waitcnt lgkmcnt(0)
	v_cndmask_b32_e64 v7, 0, v8, s[2:3]
	v_add_u32_e32 v7, v7, v10
	ds_bpermute_b32 v8, v11, v7
	v_cmp_ge_f32_e64 s[2:3], v5, v1
	s_and_b64 s[8:9], s[2:3], s[8:9]
	s_and_saveexec_b64 s[2:3], s[8:9]
	s_cbranch_execz .LBB15_4
; %bb.3:
	v_lshl_add_u32 v9, v9, 2, -4
	v_add_u32_e32 v10, s16, v9
	v_add_u32_e32 v9, s13, v9
	ds_write_b32 v9, v4
	ds_write_b32 v10, v5
.LBB15_4:
	s_or_b64 exec, exec, s[2:3]
	s_waitcnt lgkmcnt(0)
	v_cndmask_b32_e32 v4, 0, v8, vcc
	v_add3_u32 v4, v7, s10, v4
	v_cndmask_b32_e64 v4, v6, v4, s[0:1]
	v_cmp_ge_f32_e32 vcc, v3, v1
	v_cmp_ge_i32_e64 s[0:1], s17, v4
	s_and_b64 s[2:3], vcc, s[0:1]
	s_and_saveexec_b64 s[0:1], s[2:3]
	s_cbranch_execz .LBB15_6
; %bb.5:
	v_lshl_add_u32 v1, v4, 2, -4
	v_add_u32_e32 v4, s16, v1
	v_add_u32_e32 v1, s13, v1
	ds_write_b32 v1, v2
	ds_write_b32 v4, v3
.LBB15_6:
	s_or_b64 exec, exec, s[0:1]
	v_cmp_gt_u32_e32 vcc, s17, v0
	s_waitcnt lgkmcnt(0)
	s_barrier
	s_and_saveexec_b64 s[0:1], vcc
	s_cbranch_execz .LBB15_8
; %bb.7:
	v_lshlrev_b32_e32 v4, 2, v0
	v_add_u32_e32 v0, s7, v4
	ds_read_b32 v0, v0 offset:64
	v_mov_b32_e32 v5, s15
	s_load_dwordx2 s[8:9], s[4:5], 0x20
	s_load_dwordx4 s[0:3], s[4:5], 0x10
	s_ashr_i32 s4, s6, 31
	s_waitcnt lgkmcnt(0)
	v_ashrrev_i32_e32 v1, 31, v0
	v_lshlrev_b64 v[2:3], 1, v[0:1]
	v_add_co_u32_e32 v2, vcc, s14, v2
	v_addc_co_u32_e32 v3, vcc, v5, v3, vcc
	global_load_ushort v1, v[2:3], off
	v_add_u32_e32 v2, s12, v4
	s_mul_i32 s5, s6, s9
	s_mul_hi_u32 s7, s6, s8
	ds_read_b32 v2, v2 offset:64
	s_mul_i32 s9, s4, s8
	s_add_i32 s5, s7, s5
	s_mul_i32 s4, s6, s8
	s_add_i32 s5, s5, s9
	s_lshl_b64 s[4:5], s[4:5], 2
	s_add_u32 s0, s0, s4
	s_addc_u32 s1, s1, s5
	s_add_u32 s2, s2, s4
	s_addc_u32 s3, s3, s5
	s_waitcnt vmcnt(0)
	v_lshrrev_b16_e32 v3, 8, v1
	v_and_b32_e32 v1, 0xff, v1
	v_lshlrev_b32_e32 v1, 16, v1
	v_lshl_or_b32 v1, v3, 24, v1
	s_waitcnt lgkmcnt(0)
	v_sub_f32_e32 v1, v2, v1
	global_store_dword v4, v1, s[0:1]
	global_store_dword v4, v0, s[2:3]
.LBB15_8:
	s_endpgm
	.section	.rodata,"a",@progbits
	.p2align	6, 0x0
	.amdhsa_kernel _ZN5aiter28grouped_topk_opt_sort_kernelIN3c108BFloat16EDv4_fLi8ELb0ELb1ELb0EEEvPT_PKS4_PfPimiiiif
		.amdhsa_group_segment_fixed_size 0
		.amdhsa_private_segment_fixed_size 0
		.amdhsa_kernarg_size 60
		.amdhsa_user_sgpr_count 6
		.amdhsa_user_sgpr_private_segment_buffer 1
		.amdhsa_user_sgpr_dispatch_ptr 0
		.amdhsa_user_sgpr_queue_ptr 0
		.amdhsa_user_sgpr_kernarg_segment_ptr 1
		.amdhsa_user_sgpr_dispatch_id 0
		.amdhsa_user_sgpr_flat_scratch_init 0
		.amdhsa_user_sgpr_kernarg_preload_length 0
		.amdhsa_user_sgpr_kernarg_preload_offset 0
		.amdhsa_user_sgpr_private_segment_size 0
		.amdhsa_uses_dynamic_stack 0
		.amdhsa_system_sgpr_private_segment_wavefront_offset 0
		.amdhsa_system_sgpr_workgroup_id_x 1
		.amdhsa_system_sgpr_workgroup_id_y 0
		.amdhsa_system_sgpr_workgroup_id_z 0
		.amdhsa_system_sgpr_workgroup_info 0
		.amdhsa_system_vgpr_workitem_id 0
		.amdhsa_next_free_vgpr 28
		.amdhsa_next_free_sgpr 20
		.amdhsa_accum_offset 28
		.amdhsa_reserve_vcc 1
		.amdhsa_reserve_flat_scratch 0
		.amdhsa_float_round_mode_32 0
		.amdhsa_float_round_mode_16_64 0
		.amdhsa_float_denorm_mode_32 3
		.amdhsa_float_denorm_mode_16_64 3
		.amdhsa_dx10_clamp 1
		.amdhsa_ieee_mode 1
		.amdhsa_fp16_overflow 0
		.amdhsa_tg_split 0
		.amdhsa_exception_fp_ieee_invalid_op 0
		.amdhsa_exception_fp_denorm_src 0
		.amdhsa_exception_fp_ieee_div_zero 0
		.amdhsa_exception_fp_ieee_overflow 0
		.amdhsa_exception_fp_ieee_underflow 0
		.amdhsa_exception_fp_ieee_inexact 0
		.amdhsa_exception_int_div_zero 0
	.end_amdhsa_kernel
	.section	.text._ZN5aiter28grouped_topk_opt_sort_kernelIN3c108BFloat16EDv4_fLi8ELb0ELb1ELb0EEEvPT_PKS4_PfPimiiiif,"axG",@progbits,_ZN5aiter28grouped_topk_opt_sort_kernelIN3c108BFloat16EDv4_fLi8ELb0ELb1ELb0EEEvPT_PKS4_PfPimiiiif,comdat
.Lfunc_end15:
	.size	_ZN5aiter28grouped_topk_opt_sort_kernelIN3c108BFloat16EDv4_fLi8ELb0ELb1ELb0EEEvPT_PKS4_PfPimiiiif, .Lfunc_end15-_ZN5aiter28grouped_topk_opt_sort_kernelIN3c108BFloat16EDv4_fLi8ELb0ELb1ELb0EEEvPT_PKS4_PfPimiiiif
                                        ; -- End function
	.section	.AMDGPU.csdata,"",@progbits
; Kernel info:
; codeLenInByte = 3100
; NumSgprs: 24
; NumVgprs: 28
; NumAgprs: 0
; TotalNumVgprs: 28
; ScratchSize: 0
; MemoryBound: 0
; FloatMode: 240
; IeeeMode: 1
; LDSByteSize: 0 bytes/workgroup (compile time only)
; SGPRBlocks: 2
; VGPRBlocks: 3
; NumSGPRsForWavesPerEU: 24
; NumVGPRsForWavesPerEU: 28
; AccumOffset: 28
; Occupancy: 8
; WaveLimiterHint : 0
; COMPUTE_PGM_RSRC2:SCRATCH_EN: 0
; COMPUTE_PGM_RSRC2:USER_SGPR: 6
; COMPUTE_PGM_RSRC2:TRAP_HANDLER: 0
; COMPUTE_PGM_RSRC2:TGID_X_EN: 1
; COMPUTE_PGM_RSRC2:TGID_Y_EN: 0
; COMPUTE_PGM_RSRC2:TGID_Z_EN: 0
; COMPUTE_PGM_RSRC2:TIDIG_COMP_CNT: 0
; COMPUTE_PGM_RSRC3_GFX90A:ACCUM_OFFSET: 6
; COMPUTE_PGM_RSRC3_GFX90A:TG_SPLIT: 0
	.section	.text._ZN5aiter19grouped_topk_kernelIfDv4_fLi8ELb0ELb1ELb0EEEvPT_PKS2_PfPimiiiif,"axG",@progbits,_ZN5aiter19grouped_topk_kernelIfDv4_fLi8ELb0ELb1ELb0EEEvPT_PKS2_PfPimiiiif,comdat
	.protected	_ZN5aiter19grouped_topk_kernelIfDv4_fLi8ELb0ELb1ELb0EEEvPT_PKS2_PfPimiiiif ; -- Begin function _ZN5aiter19grouped_topk_kernelIfDv4_fLi8ELb0ELb1ELb0EEEvPT_PKS2_PfPimiiiif
	.globl	_ZN5aiter19grouped_topk_kernelIfDv4_fLi8ELb0ELb1ELb0EEEvPT_PKS2_PfPimiiiif
	.p2align	8
	.type	_ZN5aiter19grouped_topk_kernelIfDv4_fLi8ELb0ELb1ELb0EEEvPT_PKS2_PfPimiiiif,@function
_ZN5aiter19grouped_topk_kernelIfDv4_fLi8ELb0ELb1ELb0EEEvPT_PKS2_PfPimiiiif: ; @_ZN5aiter19grouped_topk_kernelIfDv4_fLi8ELb0ELb1ELb0EEEvPT_PKS2_PfPimiiiif
; %bb.0:
	s_load_dwordx4 s[12:15], s[4:5], 0x28
	s_load_dwordx4 s[16:19], s[4:5], 0x8
	s_load_dwordx2 s[20:21], s[4:5], 0x18
	s_waitcnt lgkmcnt(0)
	s_ashr_i32 s26, s12, 31
	s_lshr_b32 s0, s26, 30
	s_add_i32 s0, s12, s0
	s_ashr_i32 s7, s0, 2
	v_cmp_gt_i32_e64 s[0:1], s7, v0
	s_and_saveexec_b64 s[22:23], s[0:1]
	s_cbranch_execz .LBB16_3
; %bb.1:
	s_load_dwordx2 s[2:3], s[4:5], 0x0
	s_load_dword s10, s[4:5], 0x4c
	s_mul_i32 s8, s6, s12
	s_ashr_i32 s9, s8, 31
	s_lshl_b64 s[8:9], s[8:9], 2
	s_waitcnt lgkmcnt(0)
	s_add_u32 s15, s2, s8
	s_addc_u32 s2, s3, s9
	s_and_b32 s27, s10, 0xffff
	s_mov_b32 s3, 0
	v_lshlrev_b32_e32 v2, 4, v0
	v_mov_b32_e32 v1, 0
	s_lshl_b32 s28, s27, 4
	v_add_u32_e32 v3, 0, v2
	s_mov_b64 s[24:25], 0
	v_mov_b32_e32 v8, s2
	v_mov_b32_e32 v9, s17
	s_mov_b32 s29, 0xbfb8aa3b
	s_mov_b32 s30, 0x42ce8ed0
	;; [unrolled: 1-line block ×3, first 2 shown]
	v_mov_b32_e32 v10, 0x7f800000
	v_mov_b32_e32 v11, s3
	;; [unrolled: 1-line block ×3, first 2 shown]
.LBB16_2:                               ; =>This Inner Loop Header: Depth=1
	v_add_co_u32_e32 v4, vcc, s15, v2
	v_addc_co_u32_e32 v5, vcc, v8, v1, vcc
	v_add_co_u32_e32 v6, vcc, s16, v2
	v_addc_co_u32_e32 v7, vcc, v9, v1, vcc
	global_load_dwordx4 v[14:17], v[4:5], off
	global_load_dwordx4 v[18:21], v[6:7], off
	v_add_co_u32_e32 v2, vcc, s28, v2
	v_add_u32_e32 v12, s27, v12
	v_addc_co_u32_e32 v1, vcc, v1, v11, vcc
	v_cmp_le_i32_e32 vcc, s7, v12
	s_or_b64 s[24:25], vcc, s[24:25]
	s_waitcnt vmcnt(1)
	v_mul_f32_e32 v4, 0xbfb8aa3b, v15
	v_mul_f32_e32 v5, 0xbfb8aa3b, v14
	v_fma_f32 v13, v15, s29, -v4
	v_rndne_f32_e32 v22, v4
	v_fma_f32 v23, v14, s29, -v5
	v_rndne_f32_e32 v24, v5
	v_mul_f32_e32 v6, 0xbfb8aa3b, v17
	v_mul_f32_e32 v7, 0xbfb8aa3b, v16
	v_fmac_f32_e32 v13, 0xb2a5705f, v15
	v_sub_f32_e32 v4, v4, v22
	v_fmac_f32_e32 v23, 0xb2a5705f, v14
	v_sub_f32_e32 v5, v5, v24
	v_fma_f32 v25, v17, s29, -v6
	v_rndne_f32_e32 v26, v6
	v_fma_f32 v27, v16, s29, -v7
	v_rndne_f32_e32 v28, v7
	v_add_f32_e32 v4, v4, v13
	v_add_f32_e32 v5, v5, v23
	v_cvt_i32_f32_e32 v22, v22
	v_cvt_i32_f32_e32 v24, v24
	v_fmac_f32_e32 v25, 0xb2a5705f, v17
	v_sub_f32_e32 v6, v6, v26
	v_fmac_f32_e32 v27, 0xb2a5705f, v16
	v_sub_f32_e32 v7, v7, v28
	v_exp_f32_e32 v4, v4
	v_exp_f32_e32 v5, v5
	v_add_f32_e32 v6, v6, v25
	v_add_f32_e32 v7, v7, v27
	v_cvt_i32_f32_e32 v26, v26
	v_cvt_i32_f32_e32 v28, v28
	v_exp_f32_e32 v6, v6
	v_exp_f32_e32 v7, v7
	v_ldexp_f32 v4, v4, v22
	v_ldexp_f32 v5, v5, v24
	v_cmp_nlt_f32_e32 vcc, s30, v14
	v_cmp_nlt_f32_e64 s[10:11], s30, v15
	v_cndmask_b32_e64 v4, 0, v4, s[10:11]
	v_cndmask_b32_e32 v13, 0, v5, vcc
	v_cmp_ngt_f32_e32 vcc, s31, v14
	v_cmp_ngt_f32_e64 s[10:11], s31, v15
	v_ldexp_f32 v6, v6, v26
	v_cmp_nlt_f32_e64 s[2:3], s30, v17
	v_ldexp_f32 v7, v7, v28
	v_cmp_nlt_f32_e64 s[8:9], s30, v16
	v_cndmask_b32_e64 v5, v10, v4, s[10:11]
	v_cndmask_b32_e32 v4, v10, v13, vcc
	v_cndmask_b32_e64 v6, 0, v6, s[2:3]
	v_cmp_ngt_f32_e64 s[2:3], s31, v17
	v_cndmask_b32_e64 v14, 0, v7, s[8:9]
	v_cmp_ngt_f32_e64 s[8:9], s31, v16
	v_pk_add_f32 v[4:5], v[4:5], 1.0 op_sel_hi:[1,0]
	v_cndmask_b32_e64 v7, v10, v6, s[2:3]
	v_cndmask_b32_e64 v6, v10, v14, s[8:9]
	v_div_scale_f32 v13, s[2:3], v5, v5, 1.0
	v_pk_add_f32 v[6:7], v[6:7], 1.0 op_sel_hi:[1,0]
	v_div_scale_f32 v15, s[2:3], v4, v4, 1.0
	v_rcp_f32_e32 v25, v13
	v_div_scale_f32 v17, s[8:9], v7, v7, 1.0
	v_rcp_f32_e32 v26, v15
	;; [unrolled: 2-line block ×3, first 2 shown]
	v_rcp_f32_e32 v28, v23
	v_fma_f32 v29, -v13, v25, 1.0
	v_div_scale_f32 v14, vcc, 1.0, v5, 1.0
	v_fma_f32 v30, -v15, v26, 1.0
	v_fmac_f32_e32 v25, v29, v25
	v_div_scale_f32 v16, s[2:3], 1.0, v4, 1.0
	v_fma_f32 v31, -v17, v27, 1.0
	v_fmac_f32_e32 v26, v30, v26
	v_mul_f32_e32 v29, v14, v25
	v_div_scale_f32 v22, s[8:9], 1.0, v7, 1.0
	v_fma_f32 v32, -v23, v28, 1.0
	v_fmac_f32_e32 v27, v31, v27
	v_mul_f32_e32 v30, v16, v26
	v_fma_f32 v33, -v13, v29, v14
	v_div_scale_f32 v24, s[10:11], 1.0, v6, 1.0
	v_fmac_f32_e32 v28, v32, v28
	v_mul_f32_e32 v31, v22, v27
	v_fma_f32 v34, -v15, v30, v16
	v_fmac_f32_e32 v29, v33, v25
	v_mul_f32_e32 v32, v24, v28
	v_fma_f32 v35, -v17, v31, v22
	v_fmac_f32_e32 v30, v34, v26
	v_fma_f32 v13, -v13, v29, v14
	v_fma_f32 v36, -v23, v32, v24
	v_fmac_f32_e32 v31, v35, v27
	v_fma_f32 v14, -v15, v30, v16
	v_div_fmas_f32 v13, v13, v25, v29
	s_mov_b64 vcc, s[2:3]
	v_fmac_f32_e32 v32, v36, v28
	v_fma_f32 v15, -v17, v31, v22
	v_div_fixup_f32 v5, v13, v5, 1.0
	v_div_fmas_f32 v13, v14, v26, v30
	s_mov_b64 vcc, s[8:9]
	v_fma_f32 v16, -v23, v32, v24
	v_div_fixup_f32 v4, v13, v4, 1.0
	v_div_fmas_f32 v13, v15, v27, v31
	s_mov_b64 vcc, s[10:11]
	v_div_fixup_f32 v7, v13, v7, 1.0
	v_div_fmas_f32 v13, v16, v28, v32
	v_div_fixup_f32 v6, v13, v6, 1.0
	s_waitcnt vmcnt(0)
	v_pk_add_f32 v[4:5], v[18:19], v[4:5]
	v_pk_add_f32 v[6:7], v[20:21], v[6:7]
	ds_write_b128 v3, v[4:7]
	v_add_u32_e32 v3, s28, v3
	s_andn2_b64 exec, exec, s[24:25]
	s_cbranch_execnz .LBB16_2
.LBB16_3:
	s_or_b64 exec, exec, s[22:23]
	s_lshr_b32 s2, s26, 29
	s_add_i32 s2, s12, s2
	s_ashr_i32 s28, s2, 3
	s_lshl_b32 s2, s12, 2
	s_add_i32 s15, s2, 0
	v_cmp_gt_u32_e32 vcc, 64, v0
	s_waitcnt lgkmcnt(0)
	s_barrier
	s_and_saveexec_b64 s[10:11], vcc
	s_cbranch_execz .LBB16_12
; %bb.4:
	s_load_dword s8, s[4:5], 0x4c
	v_lshrrev_b32_e32 v2, 3, v0
	s_lshr_b32 s2, s26, 27
	v_and_b32_e32 v1, 7, v0
	s_add_i32 s2, s12, s2
	s_waitcnt lgkmcnt(0)
	s_bfe_u32 s29, s8, 0xd0003
	v_mul_lo_u32 v3, s28, v2
	s_ashr_i32 s12, s2, 5
	v_lshlrev_b32_e32 v3, 2, v3
	v_lshlrev_b32_e32 v4, 4, v1
	s_mul_i32 s8, s28, s29
	v_cmp_gt_i32_e32 vcc, s12, v1
	v_cmp_eq_u32_e64 s[2:3], 0, v1
	v_add3_u32 v3, v3, v4, 0
	s_lshl_b32 s30, s8, 2
	s_mov_b64 s[22:23], 0
	s_branch .LBB16_6
.LBB16_5:                               ;   in Loop: Header=BB16_6 Depth=1
	s_or_b64 exec, exec, s[24:25]
	v_add_u32_e32 v2, s29, v2
	v_cmp_lt_u32_e64 s[8:9], 7, v2
	s_or_b64 s[22:23], s[8:9], s[22:23]
	v_add_u32_e32 v3, s30, v3
	s_andn2_b64 exec, exec, s[22:23]
	s_cbranch_execz .LBB16_12
.LBB16_6:                               ; =>This Loop Header: Depth=1
                                        ;     Child Loop BB16_8 Depth 2
	v_mov_b32_e32 v4, 0xff800000
	v_mov_b32_e32 v7, 0xff800000
	s_and_saveexec_b64 s[24:25], vcc
	s_cbranch_execz .LBB16_10
; %bb.7:                                ;   in Loop: Header=BB16_6 Depth=1
	s_mov_b64 s[26:27], 0
	v_mov_b32_e32 v4, 0xff800000
	v_mov_b32_e32 v5, v3
	;; [unrolled: 1-line block ×4, first 2 shown]
.LBB16_8:                               ;   Parent Loop BB16_6 Depth=1
                                        ; =>  This Inner Loop Header: Depth=2
	ds_read_b128 v[8:11], v5
	v_add_u32_e32 v6, 8, v6
	v_max_f32_e32 v7, v7, v7
	v_cmp_le_i32_e64 s[8:9], s12, v6
	s_or_b64 s[26:27], s[8:9], s[26:27]
	s_waitcnt lgkmcnt(0)
	v_max_f32_e32 v13, v8, v8
	v_max_f32_e32 v7, v13, v7
	v_cmp_gt_f32_e64 s[8:9], v8, v4
	v_max_f32_e32 v12, v4, v4
	v_cndmask_b32_e64 v4, v7, v4, s[8:9]
	v_max_f32_e32 v14, v9, v9
	v_max_f32_e32 v12, v13, v12
	;; [unrolled: 1-line block ×4, first 2 shown]
	v_cmp_gt_f32_e64 s[8:9], v9, v12
	v_max_f32_e32 v15, v10, v10
	v_max_f32_e32 v7, v14, v12
	v_cndmask_b32_e64 v9, v13, v12, s[8:9]
	v_max_f32_e32 v9, v15, v9
	v_cmp_gt_f32_e64 s[8:9], v10, v7
	v_max_f32_e32 v16, v11, v11
	v_max_f32_e32 v8, v15, v7
	v_cndmask_b32_e64 v7, v9, v7, s[8:9]
	v_max_f32_e32 v7, v16, v7
	v_cmp_gt_f32_e64 s[8:9], v11, v8
	v_add_u32_e32 v5, 0x80, v5
	v_max_f32_e32 v4, v16, v8
	v_cndmask_b32_e64 v7, v7, v8, s[8:9]
	s_andn2_b64 exec, exec, s[26:27]
	s_cbranch_execnz .LBB16_8
; %bb.9:                                ;   in Loop: Header=BB16_6 Depth=1
	s_or_b64 exec, exec, s[26:27]
.LBB16_10:                              ;   in Loop: Header=BB16_6 Depth=1
	s_or_b64 exec, exec, s[24:25]
	v_mov_b32_dpp v5, v4 quad_perm:[1,0,3,2] row_mask:0xf bank_mask:0xf bound_ctrl:1
	v_mov_b32_dpp v6, v7 quad_perm:[1,0,3,2] row_mask:0xf bank_mask:0xf bound_ctrl:1
	v_max_f32_e32 v8, v5, v5
	v_max_f32_e32 v7, v7, v7
	;; [unrolled: 1-line block ×3, first 2 shown]
	v_cmp_lt_f32_e64 s[8:9], v4, v5
	v_cndmask_b32_e64 v5, v7, v4, s[8:9]
	v_max_f32_e32 v4, v4, v4
	v_max_f32_e32 v4, v8, v4
	;; [unrolled: 1-line block ×5, first 2 shown]
	s_nop 0
	v_mov_b32_dpp v6, v4 quad_perm:[2,3,0,1] row_mask:0xf bank_mask:0xf bound_ctrl:1
	v_max_f32_e32 v8, v6, v6
	v_mov_b32_dpp v7, v5 quad_perm:[2,3,0,1] row_mask:0xf bank_mask:0xf bound_ctrl:1
	v_max_f32_e32 v5, v8, v5
	v_cmp_lt_f32_e64 s[8:9], v4, v6
	v_cndmask_b32_e64 v5, v5, v4, s[8:9]
	v_max_f32_e32 v6, v7, v7
	v_max_f32_e32 v4, v8, v4
	;; [unrolled: 1-line block ×3, first 2 shown]
	s_nop 0
	v_mov_b32_dpp v6, v4 row_half_mirror row_mask:0xf bank_mask:0xf bound_ctrl:1
	v_mov_b32_dpp v5, v7 row_half_mirror row_mask:0xf bank_mask:0xf bound_ctrl:1
	s_and_saveexec_b64 s[24:25], s[2:3]
	s_cbranch_execz .LBB16_5
; %bb.11:                               ;   in Loop: Header=BB16_6 Depth=1
	v_max_f32_e32 v7, v7, v7
	v_max_f32_e32 v9, v6, v6
	;; [unrolled: 1-line block ×3, first 2 shown]
	v_cmp_lt_f32_e64 s[8:9], v4, v6
	v_cndmask_b32_e64 v6, v7, v4, s[8:9]
	v_max_f32_e32 v6, v6, v6
	v_max_f32_e32 v5, v5, v5
	;; [unrolled: 1-line block ×5, first 2 shown]
	v_lshl_add_u32 v8, v2, 2, s15
	v_add_f32_e32 v4, v4, v5
	ds_write_b32 v8, v4
	s_branch .LBB16_5
.LBB16_12:
	s_or_b64 exec, exec, s[10:11]
	s_cmp_lt_i32 s14, 1
	s_waitcnt lgkmcnt(0)
	s_barrier
	s_cbranch_scc1 .LBB16_15
; %bb.13:
	v_mov_b32_e32 v1, s15
	s_mov_b32 s2, 0xff800000
	v_mov_b32_e32 v2, 0xff800000
.LBB16_14:                              ; =>This Inner Loop Header: Depth=1
	ds_read2_b32 v[4:5], v1 offset1:1
	ds_read2_b32 v[6:7], v1 offset0:2 offset1:3
	ds_read2_b32 v[8:9], v1 offset0:4 offset1:5
	;; [unrolled: 1-line block ×3, first 2 shown]
	s_waitcnt lgkmcnt(3)
	v_cmp_nlg_f32_e32 vcc, s2, v4
	v_cndmask_b32_e64 v3, 0, 1, vcc
	v_cmp_lg_f32_e32 vcc, s2, v4
	v_readfirstlane_b32 s3, v3
	v_cndmask_b32_e32 v3, v2, v4, vcc
	v_cmp_gt_f32_e32 vcc, v5, v3
	s_lshl_b32 s3, s3, 3
	v_cndmask_b32_e32 v3, v3, v5, vcc
	s_and_b64 s[8:9], vcc, exec
	s_waitcnt lgkmcnt(2)
	v_cmp_gt_f32_e32 vcc, v6, v3
	v_cndmask_b32_e32 v3, v3, v6, vcc
	s_cselect_b32 s3, 1, s3
	s_and_b64 s[8:9], vcc, exec
	v_cmp_gt_f32_e32 vcc, v7, v3
	v_cndmask_b32_e32 v3, v3, v7, vcc
	s_cselect_b32 s3, 2, s3
	s_and_b64 s[8:9], vcc, exec
	s_waitcnt lgkmcnt(1)
	v_cmp_gt_f32_e32 vcc, v8, v3
	v_cndmask_b32_e32 v3, v3, v8, vcc
	s_cselect_b32 s3, 3, s3
	s_and_b64 s[8:9], vcc, exec
	v_cmp_gt_f32_e32 vcc, v9, v3
	v_cndmask_b32_e32 v3, v3, v9, vcc
	s_cselect_b32 s3, 4, s3
	s_and_b64 s[8:9], vcc, exec
	s_waitcnt lgkmcnt(0)
	v_cmp_gt_f32_e32 vcc, v10, v3
	v_cndmask_b32_e32 v3, v3, v10, vcc
	s_cselect_b32 s3, 5, s3
	s_and_b64 s[8:9], vcc, exec
	v_cmp_ngt_f32_e32 vcc, v11, v3
	s_cselect_b32 s3, 6, s3
	s_and_b64 s[8:9], vcc, exec
	s_cselect_b32 s3, s3, 7
	s_lshl_b32 s3, s3, 2
	s_add_i32 s3, s15, s3
	s_add_i32 s14, s14, -1
	v_mov_b32_e32 v3, s3
	s_cmp_lg_u32 s14, 0
	ds_write_b32 v3, v2
	s_cbranch_scc1 .LBB16_14
.LBB16_15:
	v_lshlrev_b32_e32 v1, 2, v0
	v_lshl_add_u32 v6, v0, 4, 0
	s_and_saveexec_b64 s[2:3], s[0:1]
	s_cbranch_execz .LBB16_20
; %bb.16:
	s_abs_i32 s12, s28
	v_cvt_f32_u32_e32 v2, s12
	s_load_dword s10, s[4:5], 0x4c
	s_sub_i32 s11, 0, s12
	s_ashr_i32 s14, s28, 31
	v_rcp_iflag_f32_e32 v2, v2
	v_lshlrev_b32_e32 v7, 2, v0
	s_waitcnt lgkmcnt(0)
	s_and_b32 s22, s10, 0xffff
	v_lshl_add_u32 v8, v0, 4, 0
	v_mul_f32_e32 v2, 0x4f7ffffe, v2
	v_cvt_u32_f32_e32 v2, v2
	s_mov_b64 s[8:9], 0
	s_lshl_b32 s23, s22, 2
	s_lshl_b32 s24, s22, 4
	v_mul_lo_u32 v3, s11, v2
	v_mul_hi_u32 v3, v2, v3
	v_add_u32_e32 v9, v2, v3
	s_mov_b32 s25, 0xff800000
	v_mov_b32_e32 v2, 0xff800000
	v_mov_b32_e32 v10, v0
	s_branch .LBB16_18
.LBB16_17:                              ;   in Loop: Header=BB16_18 Depth=1
	s_or_b64 exec, exec, s[10:11]
	v_add_u32_e32 v10, s22, v10
	v_cmp_le_i32_e32 vcc, s7, v10
	v_add_u32_e32 v7, s23, v7
	s_or_b64 s[8:9], vcc, s[8:9]
	v_add_u32_e32 v8, s24, v8
	s_andn2_b64 exec, exec, s[8:9]
	s_cbranch_execz .LBB16_20
.LBB16_18:                              ; =>This Inner Loop Header: Depth=1
	v_mul_hi_u32 v3, v7, v9
	v_mul_lo_u32 v4, v3, s12
	v_sub_u32_e32 v4, v7, v4
	v_add_u32_e32 v5, 1, v3
	v_cmp_le_u32_e32 vcc, s12, v4
	v_cndmask_b32_e32 v3, v3, v5, vcc
	v_subrev_u32_e32 v5, s12, v4
	v_cndmask_b32_e32 v4, v4, v5, vcc
	v_add_u32_e32 v5, 1, v3
	v_cmp_le_u32_e32 vcc, s12, v4
	v_cndmask_b32_e32 v3, v3, v5, vcc
	v_xor_b32_e32 v3, s14, v3
	v_subrev_u32_e32 v3, s14, v3
	v_lshl_add_u32 v3, v3, 2, s15
	ds_read_b32 v3, v3
	s_waitcnt lgkmcnt(0)
	v_cmp_neq_f32_e32 vcc, s25, v3
	s_and_saveexec_b64 s[10:11], vcc
	s_cbranch_execz .LBB16_17
; %bb.19:                               ;   in Loop: Header=BB16_18 Depth=1
	v_mov_b32_e32 v3, v2
	v_mov_b32_e32 v4, v2
	;; [unrolled: 1-line block ×3, first 2 shown]
	ds_write_b128 v8, v[2:5]
	s_branch .LBB16_17
.LBB16_20:
	s_or_b64 exec, exec, s[2:3]
	s_cmp_lt_i32 s13, 1
	s_waitcnt lgkmcnt(0)
	s_barrier
	s_cbranch_scc1 .LBB16_27
; %bb.21:
	s_add_u32 s2, s4, 64
	s_addc_u32 s3, s5, 0
	s_mov_b32 s12, 0
	v_mov_b32_e32 v4, 0xff800000
                                        ; implicit-def: $vgpr3
                                        ; implicit-def: $vgpr2
	s_branch .LBB16_23
.LBB16_22:                              ;   in Loop: Header=BB16_23 Depth=1
	s_or_b64 exec, exec, s[8:9]
	v_mov_b32_dpp v9, v7 quad_perm:[1,0,3,2] row_mask:0xf bank_mask:0xf
	v_cmp_lt_f32_e32 vcc, v7, v9
	v_cndmask_b32_e32 v7, v7, v9, vcc
	v_mov_b32_dpp v8, v5 quad_perm:[1,0,3,2] row_mask:0xf bank_mask:0xf
	v_cndmask_b32_e32 v5, v5, v8, vcc
	v_mov_b32_dpp v9, v7 quad_perm:[2,3,0,1] row_mask:0xf bank_mask:0xf
	v_cmp_gt_f32_e32 vcc, v9, v7
	v_cndmask_b32_e32 v7, v7, v9, vcc
	v_mov_b32_dpp v8, v5 quad_perm:[2,3,0,1] row_mask:0xf bank_mask:0xf
	v_cndmask_b32_e32 v5, v5, v8, vcc
	v_mov_b32_dpp v9, v7 row_half_mirror row_mask:0xf bank_mask:0xf
	v_cmp_gt_f32_e32 vcc, v9, v7
	v_cndmask_b32_e32 v7, v7, v9, vcc
	v_mov_b32_dpp v8, v5 row_half_mirror row_mask:0xf bank_mask:0xf
	v_cndmask_b32_e32 v5, v5, v8, vcc
	v_mov_b32_dpp v9, v7 row_mirror row_mask:0xf bank_mask:0xf
	v_cmp_gt_f32_e32 vcc, v9, v7
	v_cndmask_b32_e32 v7, v7, v9, vcc
	v_mov_b32_dpp v8, v5 row_mirror row_mask:0xf bank_mask:0xf
	v_cndmask_b32_e32 v5, v5, v8, vcc
	v_mov_b32_dpp v9, v7 row_bcast:15 row_mask:0xf bank_mask:0xf
	v_cmp_gt_f32_e32 vcc, v9, v7
	v_mov_b32_dpp v8, v5 row_bcast:15 row_mask:0xf bank_mask:0xf
	v_cndmask_b32_e32 v7, v7, v9, vcc
	v_cndmask_b32_e32 v5, v5, v8, vcc
	s_nop 0
	v_mov_b32_dpp v9, v7 row_bcast:31 row_mask:0xf bank_mask:0xf
	v_mov_b32_dpp v8, v5 row_bcast:31 row_mask:0xf bank_mask:0xf
	v_cmp_gt_f32_e32 vcc, v9, v7
	v_cndmask_b32_e32 v5, v5, v8, vcc
	v_readlane_b32 s8, v5, 63
	s_ashr_i32 s9, s8, 31
	s_lshl_b64 s[10:11], s[8:9], 2
	s_add_u32 s10, s16, s10
	s_addc_u32 s11, s17, s11
	s_load_dword s9, s[10:11], 0x0
	v_cndmask_b32_e32 v5, v7, v9, vcc
	v_readlane_b32 s10, v5, 63
	v_cmp_eq_u32_e32 vcc, s12, v0
	s_add_i32 s12, s12, 1
	s_waitcnt lgkmcnt(0)
	v_mov_b32_e32 v5, s9
	s_lshl_b32 s9, s8, 2
	s_add_i32 s9, s9, 0
	v_mov_b32_e32 v7, s9
	v_sub_f32_e32 v5, s10, v5
	ds_write_b32 v7, v4
	v_mov_b32_e32 v7, s8
	v_cndmask_b32_e32 v2, v2, v7, vcc
	s_cmp_eq_u32 s12, s13
	v_cndmask_b32_e32 v3, v3, v5, vcc
	s_cbranch_scc1 .LBB16_28
.LBB16_23:                              ; =>This Loop Header: Depth=1
                                        ;     Child Loop BB16_25 Depth 2
	v_mov_b32_e32 v5, s12
	v_mov_b32_e32 v7, 0xff800000
	s_and_saveexec_b64 s[8:9], s[0:1]
	s_cbranch_execz .LBB16_22
; %bb.24:                               ;   in Loop: Header=BB16_23 Depth=1
	s_load_dword s14, s[2:3], 0xc
	s_mov_b64 s[10:11], 0
	v_mov_b32_e32 v5, s12
	v_mov_b32_e32 v7, 0xff800000
	;; [unrolled: 1-line block ×3, first 2 shown]
	s_waitcnt lgkmcnt(0)
	s_and_b32 s14, s14, 0xffff
	s_lshl_b32 s15, s14, 2
	s_lshl_b32 s22, s14, 4
	v_mov_b32_e32 v9, v1
	v_mov_b32_e32 v10, v0
.LBB16_25:                              ;   Parent Loop BB16_23 Depth=1
                                        ; =>  This Inner Loop Header: Depth=2
	ds_read_b128 v[12:15], v8
	v_add_u32_e32 v10, s14, v10
	v_cmp_le_i32_e32 vcc, s7, v10
	s_or_b64 s[10:11], vcc, s[10:11]
	v_add_u32_e32 v11, 1, v9
	s_waitcnt lgkmcnt(0)
	v_cmp_gt_f32_e32 vcc, v12, v7
	v_cndmask_b32_e32 v7, v7, v12, vcc
	v_cndmask_b32_e32 v5, v5, v9, vcc
	v_cmp_gt_f32_e32 vcc, v13, v7
	v_cndmask_b32_e32 v7, v7, v13, vcc
	v_cndmask_b32_e32 v5, v5, v11, vcc
	v_cmp_gt_f32_e32 vcc, v14, v7
	v_add_u32_e32 v16, 2, v9
	v_cndmask_b32_e32 v7, v7, v14, vcc
	v_add_u32_e32 v17, 3, v9
	v_cndmask_b32_e32 v5, v5, v16, vcc
	v_cmp_gt_f32_e32 vcc, v15, v7
	v_add_u32_e32 v8, s22, v8
	v_add_u32_e32 v9, s15, v9
	v_cndmask_b32_e32 v7, v7, v15, vcc
	v_cndmask_b32_e32 v5, v5, v17, vcc
	s_andn2_b64 exec, exec, s[10:11]
	s_cbranch_execnz .LBB16_25
; %bb.26:                               ;   in Loop: Header=BB16_23 Depth=1
	s_or_b64 exec, exec, s[10:11]
	s_branch .LBB16_22
.LBB16_27:
                                        ; implicit-def: $vgpr3
                                        ; implicit-def: $vgpr2
.LBB16_28:
	v_cmp_gt_i32_e32 vcc, s13, v0
	s_and_saveexec_b64 s[0:1], vcc
	s_cbranch_execz .LBB16_31
; %bb.29:
	s_load_dword s2, s[4:5], 0x38
	s_load_dwordx2 s[0:1], s[4:5], 0x20
	s_ashr_i32 s3, s6, 31
	s_load_dword s4, s[4:5], 0x4c
	v_mov_b32_e32 v4, s19
	s_waitcnt lgkmcnt(0)
	v_mul_f32_e32 v1, s2, v3
	s_mul_i32 s1, s6, s1
	s_mul_hi_u32 s2, s6, s0
	s_add_i32 s1, s2, s1
	s_mul_i32 s3, s3, s0
	s_add_i32 s5, s1, s3
	s_mul_i32 s2, s6, s0
	s_and_b32 s3, s4, 0xffff
	s_mov_b64 s[0:1], 0
	v_mov_b32_e32 v3, s5
	v_mov_b32_e32 v5, s21
.LBB16_30:                              ; =>This Inner Loop Header: Depth=1
	v_ashrrev_i32_e32 v7, 31, v0
	v_add_co_u32_e32 v6, vcc, s2, v0
	v_addc_co_u32_e32 v7, vcc, v3, v7, vcc
	v_add_u32_e32 v0, s3, v0
	v_cmp_le_i32_e32 vcc, s13, v0
	v_lshlrev_b64 v[6:7], 2, v[6:7]
	s_or_b64 s[0:1], vcc, s[0:1]
	v_add_co_u32_e32 v8, vcc, s18, v6
	v_addc_co_u32_e32 v9, vcc, v4, v7, vcc
	v_add_co_u32_e32 v6, vcc, s20, v6
	v_addc_co_u32_e32 v7, vcc, v5, v7, vcc
	global_store_dword v[8:9], v1, off
	global_store_dword v[6:7], v2, off
	s_andn2_b64 exec, exec, s[0:1]
	s_cbranch_execnz .LBB16_30
.LBB16_31:
	s_endpgm
	.section	.rodata,"a",@progbits
	.p2align	6, 0x0
	.amdhsa_kernel _ZN5aiter19grouped_topk_kernelIfDv4_fLi8ELb0ELb1ELb0EEEvPT_PKS2_PfPimiiiif
		.amdhsa_group_segment_fixed_size 0
		.amdhsa_private_segment_fixed_size 0
		.amdhsa_kernarg_size 320
		.amdhsa_user_sgpr_count 6
		.amdhsa_user_sgpr_private_segment_buffer 1
		.amdhsa_user_sgpr_dispatch_ptr 0
		.amdhsa_user_sgpr_queue_ptr 0
		.amdhsa_user_sgpr_kernarg_segment_ptr 1
		.amdhsa_user_sgpr_dispatch_id 0
		.amdhsa_user_sgpr_flat_scratch_init 0
		.amdhsa_user_sgpr_kernarg_preload_length 0
		.amdhsa_user_sgpr_kernarg_preload_offset 0
		.amdhsa_user_sgpr_private_segment_size 0
		.amdhsa_uses_dynamic_stack 0
		.amdhsa_system_sgpr_private_segment_wavefront_offset 0
		.amdhsa_system_sgpr_workgroup_id_x 1
		.amdhsa_system_sgpr_workgroup_id_y 0
		.amdhsa_system_sgpr_workgroup_id_z 0
		.amdhsa_system_sgpr_workgroup_info 0
		.amdhsa_system_vgpr_workitem_id 0
		.amdhsa_next_free_vgpr 37
		.amdhsa_next_free_sgpr 32
		.amdhsa_accum_offset 40
		.amdhsa_reserve_vcc 1
		.amdhsa_reserve_flat_scratch 0
		.amdhsa_float_round_mode_32 0
		.amdhsa_float_round_mode_16_64 0
		.amdhsa_float_denorm_mode_32 3
		.amdhsa_float_denorm_mode_16_64 3
		.amdhsa_dx10_clamp 1
		.amdhsa_ieee_mode 1
		.amdhsa_fp16_overflow 0
		.amdhsa_tg_split 0
		.amdhsa_exception_fp_ieee_invalid_op 0
		.amdhsa_exception_fp_denorm_src 0
		.amdhsa_exception_fp_ieee_div_zero 0
		.amdhsa_exception_fp_ieee_overflow 0
		.amdhsa_exception_fp_ieee_underflow 0
		.amdhsa_exception_fp_ieee_inexact 0
		.amdhsa_exception_int_div_zero 0
	.end_amdhsa_kernel
	.section	.text._ZN5aiter19grouped_topk_kernelIfDv4_fLi8ELb0ELb1ELb0EEEvPT_PKS2_PfPimiiiif,"axG",@progbits,_ZN5aiter19grouped_topk_kernelIfDv4_fLi8ELb0ELb1ELb0EEEvPT_PKS2_PfPimiiiif,comdat
.Lfunc_end16:
	.size	_ZN5aiter19grouped_topk_kernelIfDv4_fLi8ELb0ELb1ELb0EEEvPT_PKS2_PfPimiiiif, .Lfunc_end16-_ZN5aiter19grouped_topk_kernelIfDv4_fLi8ELb0ELb1ELb0EEEvPT_PKS2_PfPimiiiif
                                        ; -- End function
	.section	.AMDGPU.csdata,"",@progbits
; Kernel info:
; codeLenInByte = 2748
; NumSgprs: 36
; NumVgprs: 37
; NumAgprs: 0
; TotalNumVgprs: 37
; ScratchSize: 0
; MemoryBound: 0
; FloatMode: 240
; IeeeMode: 1
; LDSByteSize: 0 bytes/workgroup (compile time only)
; SGPRBlocks: 4
; VGPRBlocks: 4
; NumSGPRsForWavesPerEU: 36
; NumVGPRsForWavesPerEU: 37
; AccumOffset: 40
; Occupancy: 8
; WaveLimiterHint : 0
; COMPUTE_PGM_RSRC2:SCRATCH_EN: 0
; COMPUTE_PGM_RSRC2:USER_SGPR: 6
; COMPUTE_PGM_RSRC2:TRAP_HANDLER: 0
; COMPUTE_PGM_RSRC2:TGID_X_EN: 1
; COMPUTE_PGM_RSRC2:TGID_Y_EN: 0
; COMPUTE_PGM_RSRC2:TGID_Z_EN: 0
; COMPUTE_PGM_RSRC2:TIDIG_COMP_CNT: 0
; COMPUTE_PGM_RSRC3_GFX90A:ACCUM_OFFSET: 9
; COMPUTE_PGM_RSRC3_GFX90A:TG_SPLIT: 0
	.section	.text._ZN5aiter19grouped_topk_kernelIN3c104HalfEDv4_fLi8ELb0ELb1ELb0EEEvPT_PKS4_PfPimiiiif,"axG",@progbits,_ZN5aiter19grouped_topk_kernelIN3c104HalfEDv4_fLi8ELb0ELb1ELb0EEEvPT_PKS4_PfPimiiiif,comdat
	.protected	_ZN5aiter19grouped_topk_kernelIN3c104HalfEDv4_fLi8ELb0ELb1ELb0EEEvPT_PKS4_PfPimiiiif ; -- Begin function _ZN5aiter19grouped_topk_kernelIN3c104HalfEDv4_fLi8ELb0ELb1ELb0EEEvPT_PKS4_PfPimiiiif
	.globl	_ZN5aiter19grouped_topk_kernelIN3c104HalfEDv4_fLi8ELb0ELb1ELb0EEEvPT_PKS4_PfPimiiiif
	.p2align	8
	.type	_ZN5aiter19grouped_topk_kernelIN3c104HalfEDv4_fLi8ELb0ELb1ELb0EEEvPT_PKS4_PfPimiiiif,@function
_ZN5aiter19grouped_topk_kernelIN3c104HalfEDv4_fLi8ELb0ELb1ELb0EEEvPT_PKS4_PfPimiiiif: ; @_ZN5aiter19grouped_topk_kernelIN3c104HalfEDv4_fLi8ELb0ELb1ELb0EEEvPT_PKS4_PfPimiiiif
; %bb.0:
	s_load_dwordx4 s[12:15], s[4:5], 0x28
	s_load_dwordx4 s[16:19], s[4:5], 0x8
	s_load_dwordx2 s[20:21], s[4:5], 0x18
	v_lshl_add_u32 v8, v0, 4, 0
	s_waitcnt lgkmcnt(0)
	s_ashr_i32 s26, s12, 31
	s_lshr_b32 s0, s26, 30
	s_add_i32 s0, s12, s0
	s_ashr_i32 s7, s0, 2
	v_cmp_gt_i32_e64 s[0:1], s7, v0
	s_and_saveexec_b64 s[22:23], s[0:1]
	s_cbranch_execz .LBB17_3
; %bb.1:
	s_load_dwordx2 s[2:3], s[4:5], 0x0
	s_load_dword s10, s[4:5], 0x4c
	s_mul_i32 s8, s6, s12
	s_ashr_i32 s9, s8, 31
	s_lshl_b64 s[8:9], s[8:9], 1
	s_waitcnt lgkmcnt(0)
	s_add_u32 s15, s2, s8
	s_addc_u32 s2, s3, s9
	s_and_b32 s27, s10, 0xffff
	s_mov_b32 s3, 0
	v_lshlrev_b32_e32 v2, 3, v0
	v_mov_b32_e32 v1, 0
	s_lshl_b32 s28, s27, 3
	v_lshl_add_u32 v3, v0, 4, 0
	s_lshl_b32 s29, s27, 4
	s_mov_b64 s[24:25], 0
	v_mov_b32_e32 v9, s2
	v_mov_b32_e32 v10, s17
	s_mov_b32 s30, 0x3fb8aa3b
	s_mov_b32 s31, 0x32a5705f
	;; [unrolled: 1-line block ×4, first 2 shown]
	v_mov_b32_e32 v11, 0x7f800000
	v_mov_b32_e32 v12, s3
	;; [unrolled: 1-line block ×3, first 2 shown]
.LBB17_2:                               ; =>This Inner Loop Header: Depth=1
	v_add_co_u32_e32 v4, vcc, s15, v2
	v_addc_co_u32_e32 v5, vcc, v9, v1, vcc
	v_add_co_u32_e32 v6, vcc, s16, v2
	v_addc_co_u32_e32 v7, vcc, v10, v1, vcc
	global_load_dwordx2 v[14:15], v[6:7], off
	global_load_dwordx2 v[16:17], v[4:5], off
	v_add_co_u32_e32 v2, vcc, s28, v2
	v_add_u32_e32 v13, s27, v13
	v_addc_co_u32_e32 v1, vcc, v1, v12, vcc
	v_cmp_le_i32_e32 vcc, s7, v13
	s_or_b64 s[24:25], vcc, s[24:25]
	s_waitcnt vmcnt(1)
	v_cvt_f32_f16_e32 v4, v14
	v_cvt_f32_f16_sdwa v5, v14 dst_sel:DWORD dst_unused:UNUSED_PAD src0_sel:WORD_1
	v_cvt_f32_f16_e32 v6, v15
	v_cvt_f32_f16_sdwa v7, v15 dst_sel:DWORD dst_unused:UNUSED_PAD src0_sel:WORD_1
	s_waitcnt vmcnt(0)
	v_cvt_f32_f16_e64 v14, -v16
	v_cvt_f32_f16_sdwa v15, -v16 dst_sel:DWORD dst_unused:UNUSED_PAD src0_sel:WORD_1
	v_cvt_f32_f16_e64 v18, -v17
	v_cvt_f32_f16_sdwa v19, -v17 dst_sel:DWORD dst_unused:UNUSED_PAD src0_sel:WORD_1
	v_mul_f32_e32 v20, 0x3fb8aa3b, v14
	v_mul_f32_e32 v21, 0x3fb8aa3b, v15
	v_fma_mix_f32 v24, -v16, s30, -v20 op_sel_hi:[1,0,0]
	v_rndne_f32_e32 v25, v20
	v_fma_mix_f32 v26, -v16, s30, -v21 op_sel:[1,0,0] op_sel_hi:[1,0,0]
	v_rndne_f32_e32 v27, v21
	v_mul_f32_e32 v22, 0x3fb8aa3b, v18
	v_mul_f32_e32 v23, 0x3fb8aa3b, v19
	v_fma_mix_f32 v24, -v16, s31, v24 op_sel_hi:[1,0,0]
	v_sub_f32_e32 v20, v20, v25
	v_fma_mix_f32 v16, -v16, s31, v26 op_sel:[1,0,0] op_sel_hi:[1,0,0]
	v_sub_f32_e32 v21, v21, v27
	v_fma_mix_f32 v28, -v17, s30, -v22 op_sel_hi:[1,0,0]
	v_rndne_f32_e32 v29, v22
	v_fma_mix_f32 v30, -v17, s30, -v23 op_sel:[1,0,0] op_sel_hi:[1,0,0]
	v_rndne_f32_e32 v31, v23
	v_add_f32_e32 v20, v20, v24
	v_add_f32_e32 v16, v21, v16
	v_cvt_i32_f32_e32 v25, v25
	v_cvt_i32_f32_e32 v26, v27
	v_fma_mix_f32 v27, -v17, s31, v28 op_sel_hi:[1,0,0]
	v_sub_f32_e32 v22, v22, v29
	v_fma_mix_f32 v17, -v17, s31, v30 op_sel:[1,0,0] op_sel_hi:[1,0,0]
	v_sub_f32_e32 v23, v23, v31
	v_exp_f32_e32 v20, v20
	v_exp_f32_e32 v16, v16
	v_add_f32_e32 v21, v22, v27
	v_add_f32_e32 v17, v23, v17
	v_cvt_i32_f32_e32 v28, v29
	v_cvt_i32_f32_e32 v29, v31
	v_exp_f32_e32 v21, v21
	v_exp_f32_e32 v17, v17
	v_ldexp_f32 v20, v20, v25
	v_ldexp_f32 v16, v16, v26
	v_cmp_ngt_f32_e32 vcc, s33, v15
	v_cmp_ngt_f32_e64 s[10:11], s33, v14
	v_cndmask_b32_e64 v20, 0, v20, s[10:11]
	v_cndmask_b32_e32 v16, 0, v16, vcc
	v_cmp_nlt_f32_e32 vcc, s34, v15
	v_cmp_nlt_f32_e64 s[10:11], s34, v14
	v_ldexp_f32 v21, v21, v28
	v_cmp_ngt_f32_e64 s[2:3], s33, v18
	v_ldexp_f32 v17, v17, v29
	v_cmp_ngt_f32_e64 s[8:9], s33, v19
	v_cndmask_b32_e64 v14, v11, v20, s[10:11]
	v_cndmask_b32_e32 v15, v11, v16, vcc
	v_cndmask_b32_e64 v21, 0, v21, s[2:3]
	v_cmp_nlt_f32_e64 s[2:3], s34, v18
	v_cndmask_b32_e64 v17, 0, v17, s[8:9]
	v_cmp_nlt_f32_e64 s[8:9], s34, v19
	v_pk_add_f32 v[14:15], v[14:15], 1.0 op_sel_hi:[1,0]
	v_cndmask_b32_e64 v16, v11, v21, s[2:3]
	v_cndmask_b32_e64 v17, v11, v17, s[8:9]
	v_div_scale_f32 v18, s[2:3], v15, v15, 1.0
	v_pk_add_f32 v[16:17], v[16:17], 1.0 op_sel_hi:[1,0]
	v_div_scale_f32 v20, s[2:3], v14, v14, 1.0
	v_rcp_f32_e32 v26, v18
	v_div_scale_f32 v22, s[8:9], v17, v17, 1.0
	v_rcp_f32_e32 v27, v20
	;; [unrolled: 2-line block ×3, first 2 shown]
	v_rcp_f32_e32 v29, v24
	v_fma_f32 v30, -v18, v26, 1.0
	v_div_scale_f32 v19, vcc, 1.0, v15, 1.0
	v_fma_f32 v31, -v20, v27, 1.0
	v_fmac_f32_e32 v26, v30, v26
	v_div_scale_f32 v21, s[2:3], 1.0, v14, 1.0
	v_fma_f32 v32, -v22, v28, 1.0
	v_fmac_f32_e32 v27, v31, v27
	v_mul_f32_e32 v30, v19, v26
	v_div_scale_f32 v23, s[8:9], 1.0, v17, 1.0
	v_fma_f32 v33, -v24, v29, 1.0
	v_fmac_f32_e32 v28, v32, v28
	v_mul_f32_e32 v31, v21, v27
	v_fma_f32 v34, -v18, v30, v19
	v_div_scale_f32 v25, s[10:11], 1.0, v16, 1.0
	v_fmac_f32_e32 v29, v33, v29
	v_mul_f32_e32 v32, v23, v28
	v_fma_f32 v35, -v20, v31, v21
	v_fmac_f32_e32 v30, v34, v26
	v_mul_f32_e32 v33, v25, v29
	v_fma_f32 v36, -v22, v32, v23
	v_fmac_f32_e32 v31, v35, v27
	v_fma_f32 v18, -v18, v30, v19
	v_fma_f32 v37, -v24, v33, v25
	v_fmac_f32_e32 v32, v36, v28
	v_fma_f32 v19, -v20, v31, v21
	v_div_fmas_f32 v18, v18, v26, v30
	s_mov_b64 vcc, s[2:3]
	v_fmac_f32_e32 v33, v37, v29
	v_fma_f32 v20, -v22, v32, v23
	v_div_fixup_f32 v15, v18, v15, 1.0
	v_div_fmas_f32 v18, v19, v27, v31
	s_mov_b64 vcc, s[8:9]
	v_fma_f32 v21, -v24, v33, v25
	v_div_fixup_f32 v14, v18, v14, 1.0
	v_div_fmas_f32 v18, v20, v28, v32
	s_mov_b64 vcc, s[10:11]
	v_div_fixup_f32 v17, v18, v17, 1.0
	v_div_fmas_f32 v18, v21, v29, v33
	v_div_fixup_f32 v16, v18, v16, 1.0
	v_pk_add_f32 v[4:5], v[14:15], v[4:5]
	v_pk_add_f32 v[6:7], v[16:17], v[6:7]
	ds_write_b128 v3, v[4:7]
	v_add_u32_e32 v3, s29, v3
	s_andn2_b64 exec, exec, s[24:25]
	s_cbranch_execnz .LBB17_2
.LBB17_3:
	s_or_b64 exec, exec, s[22:23]
	s_lshr_b32 s2, s26, 29
	s_add_i32 s2, s12, s2
	s_ashr_i32 s28, s2, 3
	s_lshl_b32 s2, s12, 2
	s_add_i32 s15, s2, 0
	v_cmp_gt_u32_e32 vcc, 64, v0
	s_waitcnt lgkmcnt(0)
	s_barrier
	s_and_saveexec_b64 s[10:11], vcc
	s_cbranch_execz .LBB17_12
; %bb.4:
	s_load_dword s8, s[4:5], 0x4c
	v_lshrrev_b32_e32 v2, 3, v0
	s_lshr_b32 s2, s26, 27
	v_and_b32_e32 v1, 7, v0
	s_add_i32 s2, s12, s2
	s_waitcnt lgkmcnt(0)
	s_bfe_u32 s29, s8, 0xd0003
	v_mul_lo_u32 v3, s28, v2
	s_ashr_i32 s12, s2, 5
	v_lshlrev_b32_e32 v3, 2, v3
	v_lshlrev_b32_e32 v4, 4, v1
	s_mul_i32 s8, s28, s29
	v_cmp_gt_i32_e32 vcc, s12, v1
	v_cmp_eq_u32_e64 s[2:3], 0, v1
	v_add3_u32 v3, v3, v4, 0
	s_lshl_b32 s30, s8, 2
	s_mov_b64 s[22:23], 0
	s_branch .LBB17_6
.LBB17_5:                               ;   in Loop: Header=BB17_6 Depth=1
	s_or_b64 exec, exec, s[24:25]
	v_add_u32_e32 v2, s29, v2
	v_cmp_lt_u32_e64 s[8:9], 7, v2
	s_or_b64 s[22:23], s[8:9], s[22:23]
	v_add_u32_e32 v3, s30, v3
	s_andn2_b64 exec, exec, s[22:23]
	s_cbranch_execz .LBB17_12
.LBB17_6:                               ; =>This Loop Header: Depth=1
                                        ;     Child Loop BB17_8 Depth 2
	v_mov_b32_e32 v4, 0xff800000
	v_mov_b32_e32 v7, 0xff800000
	s_and_saveexec_b64 s[24:25], vcc
	s_cbranch_execz .LBB17_10
; %bb.7:                                ;   in Loop: Header=BB17_6 Depth=1
	s_mov_b64 s[26:27], 0
	v_mov_b32_e32 v4, 0xff800000
	v_mov_b32_e32 v5, v3
	;; [unrolled: 1-line block ×4, first 2 shown]
.LBB17_8:                               ;   Parent Loop BB17_6 Depth=1
                                        ; =>  This Inner Loop Header: Depth=2
	ds_read_b128 v[10:13], v5
	v_add_u32_e32 v6, 8, v6
	v_max_f32_e32 v7, v7, v7
	v_cmp_le_i32_e64 s[8:9], s12, v6
	s_or_b64 s[26:27], s[8:9], s[26:27]
	s_waitcnt lgkmcnt(0)
	v_max_f32_e32 v14, v10, v10
	v_max_f32_e32 v7, v14, v7
	v_cmp_gt_f32_e64 s[8:9], v10, v4
	v_max_f32_e32 v9, v4, v4
	v_cndmask_b32_e64 v4, v7, v4, s[8:9]
	v_max_f32_e32 v15, v11, v11
	v_max_f32_e32 v9, v14, v9
	;; [unrolled: 1-line block ×4, first 2 shown]
	v_cmp_gt_f32_e64 s[8:9], v11, v9
	v_max_f32_e32 v16, v12, v12
	v_max_f32_e32 v7, v15, v9
	v_cndmask_b32_e64 v9, v14, v9, s[8:9]
	v_max_f32_e32 v9, v16, v9
	v_cmp_gt_f32_e64 s[8:9], v12, v7
	v_max_f32_e32 v17, v13, v13
	v_max_f32_e32 v10, v16, v7
	v_cndmask_b32_e64 v7, v9, v7, s[8:9]
	v_max_f32_e32 v7, v17, v7
	v_cmp_gt_f32_e64 s[8:9], v13, v10
	v_add_u32_e32 v5, 0x80, v5
	v_max_f32_e32 v4, v17, v10
	v_cndmask_b32_e64 v7, v7, v10, s[8:9]
	s_andn2_b64 exec, exec, s[26:27]
	s_cbranch_execnz .LBB17_8
; %bb.9:                                ;   in Loop: Header=BB17_6 Depth=1
	s_or_b64 exec, exec, s[26:27]
.LBB17_10:                              ;   in Loop: Header=BB17_6 Depth=1
	s_or_b64 exec, exec, s[24:25]
	v_mov_b32_dpp v5, v4 quad_perm:[1,0,3,2] row_mask:0xf bank_mask:0xf bound_ctrl:1
	v_mov_b32_dpp v6, v7 quad_perm:[1,0,3,2] row_mask:0xf bank_mask:0xf bound_ctrl:1
	v_max_f32_e32 v9, v5, v5
	v_max_f32_e32 v7, v7, v7
	;; [unrolled: 1-line block ×3, first 2 shown]
	v_cmp_lt_f32_e64 s[8:9], v4, v5
	v_cndmask_b32_e64 v5, v7, v4, s[8:9]
	v_max_f32_e32 v4, v4, v4
	v_max_f32_e32 v4, v9, v4
	;; [unrolled: 1-line block ×5, first 2 shown]
	s_nop 0
	v_mov_b32_dpp v6, v4 quad_perm:[2,3,0,1] row_mask:0xf bank_mask:0xf bound_ctrl:1
	v_max_f32_e32 v9, v6, v6
	v_mov_b32_dpp v7, v5 quad_perm:[2,3,0,1] row_mask:0xf bank_mask:0xf bound_ctrl:1
	v_max_f32_e32 v5, v9, v5
	v_cmp_lt_f32_e64 s[8:9], v4, v6
	v_cndmask_b32_e64 v5, v5, v4, s[8:9]
	v_max_f32_e32 v6, v7, v7
	v_max_f32_e32 v4, v9, v4
	;; [unrolled: 1-line block ×3, first 2 shown]
	s_nop 0
	v_mov_b32_dpp v6, v4 row_half_mirror row_mask:0xf bank_mask:0xf bound_ctrl:1
	v_mov_b32_dpp v5, v7 row_half_mirror row_mask:0xf bank_mask:0xf bound_ctrl:1
	s_and_saveexec_b64 s[24:25], s[2:3]
	s_cbranch_execz .LBB17_5
; %bb.11:                               ;   in Loop: Header=BB17_6 Depth=1
	v_max_f32_e32 v7, v7, v7
	v_max_f32_e32 v10, v6, v6
	;; [unrolled: 1-line block ×3, first 2 shown]
	v_cmp_lt_f32_e64 s[8:9], v4, v6
	v_cndmask_b32_e64 v6, v7, v4, s[8:9]
	v_max_f32_e32 v6, v6, v6
	v_max_f32_e32 v5, v5, v5
	;; [unrolled: 1-line block ×5, first 2 shown]
	v_lshl_add_u32 v9, v2, 2, s15
	v_add_f32_e32 v4, v4, v5
	ds_write_b32 v9, v4
	s_branch .LBB17_5
.LBB17_12:
	s_or_b64 exec, exec, s[10:11]
	s_cmp_lt_i32 s14, 1
	s_waitcnt lgkmcnt(0)
	s_barrier
	s_cbranch_scc1 .LBB17_15
; %bb.13:
	v_mov_b32_e32 v1, s15
	s_mov_b32 s2, 0xff800000
	v_mov_b32_e32 v2, 0xff800000
.LBB17_14:                              ; =>This Inner Loop Header: Depth=1
	ds_read2_b32 v[4:5], v1 offset1:1
	ds_read2_b32 v[6:7], v1 offset0:2 offset1:3
	ds_read2_b32 v[10:11], v1 offset0:4 offset1:5
	;; [unrolled: 1-line block ×3, first 2 shown]
	s_waitcnt lgkmcnt(3)
	v_cmp_nlg_f32_e32 vcc, s2, v4
	v_cndmask_b32_e64 v3, 0, 1, vcc
	v_cmp_lg_f32_e32 vcc, s2, v4
	v_readfirstlane_b32 s3, v3
	v_cndmask_b32_e32 v3, v2, v4, vcc
	v_cmp_gt_f32_e32 vcc, v5, v3
	s_lshl_b32 s3, s3, 3
	v_cndmask_b32_e32 v3, v3, v5, vcc
	s_and_b64 s[8:9], vcc, exec
	s_waitcnt lgkmcnt(2)
	v_cmp_gt_f32_e32 vcc, v6, v3
	v_cndmask_b32_e32 v3, v3, v6, vcc
	s_cselect_b32 s3, 1, s3
	s_and_b64 s[8:9], vcc, exec
	v_cmp_gt_f32_e32 vcc, v7, v3
	v_cndmask_b32_e32 v3, v3, v7, vcc
	s_cselect_b32 s3, 2, s3
	s_and_b64 s[8:9], vcc, exec
	s_waitcnt lgkmcnt(1)
	v_cmp_gt_f32_e32 vcc, v10, v3
	v_cndmask_b32_e32 v3, v3, v10, vcc
	s_cselect_b32 s3, 3, s3
	s_and_b64 s[8:9], vcc, exec
	v_cmp_gt_f32_e32 vcc, v11, v3
	v_cndmask_b32_e32 v3, v3, v11, vcc
	s_cselect_b32 s3, 4, s3
	s_and_b64 s[8:9], vcc, exec
	s_waitcnt lgkmcnt(0)
	v_cmp_gt_f32_e32 vcc, v12, v3
	v_cndmask_b32_e32 v3, v3, v12, vcc
	s_cselect_b32 s3, 5, s3
	s_and_b64 s[8:9], vcc, exec
	v_cmp_ngt_f32_e32 vcc, v13, v3
	s_cselect_b32 s3, 6, s3
	s_and_b64 s[8:9], vcc, exec
	s_cselect_b32 s3, s3, 7
	s_lshl_b32 s3, s3, 2
	s_add_i32 s3, s15, s3
	s_add_i32 s14, s14, -1
	v_mov_b32_e32 v3, s3
	s_cmp_lg_u32 s14, 0
	ds_write_b32 v3, v2
	s_cbranch_scc1 .LBB17_14
.LBB17_15:
	v_lshlrev_b32_e32 v1, 2, v0
	s_and_saveexec_b64 s[2:3], s[0:1]
	s_cbranch_execz .LBB17_20
; %bb.16:
	s_abs_i32 s12, s28
	v_cvt_f32_u32_e32 v2, s12
	s_load_dword s10, s[4:5], 0x4c
	s_sub_i32 s11, 0, s12
	s_ashr_i32 s14, s28, 31
	v_rcp_iflag_f32_e32 v2, v2
	v_lshlrev_b32_e32 v6, 2, v0
	s_waitcnt lgkmcnt(0)
	s_and_b32 s22, s10, 0xffff
	v_lshl_add_u32 v7, v0, 4, 0
	v_mul_f32_e32 v2, 0x4f7ffffe, v2
	v_cvt_u32_f32_e32 v2, v2
	s_mov_b64 s[8:9], 0
	s_lshl_b32 s23, s22, 2
	s_lshl_b32 s24, s22, 4
	v_mul_lo_u32 v3, s11, v2
	v_mul_hi_u32 v3, v2, v3
	v_add_u32_e32 v9, v2, v3
	s_mov_b32 s25, 0xff800000
	v_mov_b32_e32 v2, 0xff800000
	v_mov_b32_e32 v10, v0
	s_branch .LBB17_18
.LBB17_17:                              ;   in Loop: Header=BB17_18 Depth=1
	s_or_b64 exec, exec, s[10:11]
	v_add_u32_e32 v10, s22, v10
	v_cmp_le_i32_e32 vcc, s7, v10
	v_add_u32_e32 v6, s23, v6
	s_or_b64 s[8:9], vcc, s[8:9]
	v_add_u32_e32 v7, s24, v7
	s_andn2_b64 exec, exec, s[8:9]
	s_cbranch_execz .LBB17_20
.LBB17_18:                              ; =>This Inner Loop Header: Depth=1
	v_mul_hi_u32 v3, v6, v9
	v_mul_lo_u32 v4, v3, s12
	v_sub_u32_e32 v4, v6, v4
	v_add_u32_e32 v5, 1, v3
	v_cmp_le_u32_e32 vcc, s12, v4
	v_cndmask_b32_e32 v3, v3, v5, vcc
	v_subrev_u32_e32 v5, s12, v4
	v_cndmask_b32_e32 v4, v4, v5, vcc
	v_add_u32_e32 v5, 1, v3
	v_cmp_le_u32_e32 vcc, s12, v4
	v_cndmask_b32_e32 v3, v3, v5, vcc
	v_xor_b32_e32 v3, s14, v3
	v_subrev_u32_e32 v3, s14, v3
	v_lshl_add_u32 v3, v3, 2, s15
	ds_read_b32 v3, v3
	s_waitcnt lgkmcnt(0)
	v_cmp_neq_f32_e32 vcc, s25, v3
	s_and_saveexec_b64 s[10:11], vcc
	s_cbranch_execz .LBB17_17
; %bb.19:                               ;   in Loop: Header=BB17_18 Depth=1
	v_mov_b32_e32 v3, v2
	v_mov_b32_e32 v4, v2
	;; [unrolled: 1-line block ×3, first 2 shown]
	ds_write_b128 v7, v[2:5]
	s_branch .LBB17_17
.LBB17_20:
	s_or_b64 exec, exec, s[2:3]
	s_cmp_lt_i32 s13, 1
	s_waitcnt lgkmcnt(0)
	s_barrier
	s_cbranch_scc1 .LBB17_27
; %bb.21:
	s_add_u32 s2, s4, 64
	s_addc_u32 s3, s5, 0
	s_mov_b32 s12, 0
	v_mov_b32_e32 v4, 0
	v_mov_b32_e32 v5, 0xff800000
                                        ; implicit-def: $vgpr3
                                        ; implicit-def: $vgpr2
	s_branch .LBB17_23
.LBB17_22:                              ;   in Loop: Header=BB17_23 Depth=1
	s_or_b64 exec, exec, s[8:9]
	v_mov_b32_dpp v10, v7 quad_perm:[1,0,3,2] row_mask:0xf bank_mask:0xf
	v_cmp_lt_f32_e32 vcc, v7, v10
	v_cndmask_b32_e32 v7, v7, v10, vcc
	v_mov_b32_dpp v9, v6 quad_perm:[1,0,3,2] row_mask:0xf bank_mask:0xf
	v_cndmask_b32_e32 v6, v6, v9, vcc
	v_mov_b32_dpp v10, v7 quad_perm:[2,3,0,1] row_mask:0xf bank_mask:0xf
	v_cmp_gt_f32_e32 vcc, v10, v7
	v_cndmask_b32_e32 v7, v7, v10, vcc
	v_mov_b32_dpp v9, v6 quad_perm:[2,3,0,1] row_mask:0xf bank_mask:0xf
	v_cndmask_b32_e32 v6, v6, v9, vcc
	v_mov_b32_dpp v10, v7 row_half_mirror row_mask:0xf bank_mask:0xf
	v_cmp_gt_f32_e32 vcc, v10, v7
	v_cndmask_b32_e32 v7, v7, v10, vcc
	v_mov_b32_dpp v9, v6 row_half_mirror row_mask:0xf bank_mask:0xf
	v_cndmask_b32_e32 v6, v6, v9, vcc
	v_mov_b32_dpp v10, v7 row_mirror row_mask:0xf bank_mask:0xf
	v_cmp_gt_f32_e32 vcc, v10, v7
	v_cndmask_b32_e32 v7, v7, v10, vcc
	v_mov_b32_dpp v9, v6 row_mirror row_mask:0xf bank_mask:0xf
	v_cndmask_b32_e32 v6, v6, v9, vcc
	v_mov_b32_dpp v10, v7 row_bcast:15 row_mask:0xf bank_mask:0xf
	v_cmp_gt_f32_e32 vcc, v10, v7
	v_mov_b32_dpp v9, v6 row_bcast:15 row_mask:0xf bank_mask:0xf
	v_cndmask_b32_e32 v7, v7, v10, vcc
	v_cndmask_b32_e32 v6, v6, v9, vcc
	s_nop 0
	v_mov_b32_dpp v10, v7 row_bcast:31 row_mask:0xf bank_mask:0xf
	v_mov_b32_dpp v9, v6 row_bcast:31 row_mask:0xf bank_mask:0xf
	v_cmp_gt_f32_e32 vcc, v10, v7
	v_cndmask_b32_e32 v6, v6, v9, vcc
	v_readlane_b32 s8, v6, 63
	s_ashr_i32 s9, s8, 31
	s_lshl_b64 s[10:11], s[8:9], 1
	s_add_u32 s10, s16, s10
	s_addc_u32 s11, s17, s11
	global_load_ushort v6, v4, s[10:11]
	v_cndmask_b32_e32 v7, v7, v10, vcc
	v_readlane_b32 s9, v7, 63
	v_mov_b32_e32 v7, s8
	s_lshl_b32 s8, s8, 2
	v_cmp_eq_u32_e32 vcc, s12, v0
	s_add_i32 s12, s12, 1
	s_add_i32 s8, s8, 0
	v_cndmask_b32_e32 v2, v2, v7, vcc
	v_mov_b32_e32 v7, s8
	s_cmp_eq_u32 s12, s13
	ds_write_b32 v7, v5
	s_waitcnt vmcnt(0)
	v_cvt_f32_f16_e32 v6, v6
	v_sub_f32_e32 v6, s9, v6
	v_cndmask_b32_e32 v3, v3, v6, vcc
	s_cbranch_scc1 .LBB17_28
.LBB17_23:                              ; =>This Loop Header: Depth=1
                                        ;     Child Loop BB17_25 Depth 2
	v_mov_b32_e32 v6, s12
	v_mov_b32_e32 v7, 0xff800000
	s_and_saveexec_b64 s[8:9], s[0:1]
	s_cbranch_execz .LBB17_22
; %bb.24:                               ;   in Loop: Header=BB17_23 Depth=1
	s_load_dword s14, s[2:3], 0xc
	s_mov_b64 s[10:11], 0
	v_mov_b32_e32 v6, s12
	v_mov_b32_e32 v7, 0xff800000
	;; [unrolled: 1-line block ×3, first 2 shown]
	s_waitcnt lgkmcnt(0)
	s_and_b32 s14, s14, 0xffff
	s_lshl_b32 s15, s14, 2
	s_lshl_b32 s22, s14, 4
	v_mov_b32_e32 v10, v1
	v_mov_b32_e32 v11, v0
.LBB17_25:                              ;   Parent Loop BB17_23 Depth=1
                                        ; =>  This Inner Loop Header: Depth=2
	ds_read_b128 v[12:15], v9
	v_add_u32_e32 v11, s14, v11
	v_cmp_le_i32_e32 vcc, s7, v11
	s_or_b64 s[10:11], vcc, s[10:11]
	v_add_u32_e32 v16, 1, v10
	s_waitcnt lgkmcnt(0)
	v_cmp_gt_f32_e32 vcc, v12, v7
	v_cndmask_b32_e32 v7, v7, v12, vcc
	v_cndmask_b32_e32 v6, v6, v10, vcc
	v_cmp_gt_f32_e32 vcc, v13, v7
	v_cndmask_b32_e32 v7, v7, v13, vcc
	v_cndmask_b32_e32 v6, v6, v16, vcc
	v_cmp_gt_f32_e32 vcc, v14, v7
	v_add_u32_e32 v17, 2, v10
	v_cndmask_b32_e32 v7, v7, v14, vcc
	v_add_u32_e32 v18, 3, v10
	v_cndmask_b32_e32 v6, v6, v17, vcc
	v_cmp_gt_f32_e32 vcc, v15, v7
	v_add_u32_e32 v9, s22, v9
	v_add_u32_e32 v10, s15, v10
	v_cndmask_b32_e32 v7, v7, v15, vcc
	v_cndmask_b32_e32 v6, v6, v18, vcc
	s_andn2_b64 exec, exec, s[10:11]
	s_cbranch_execnz .LBB17_25
; %bb.26:                               ;   in Loop: Header=BB17_23 Depth=1
	s_or_b64 exec, exec, s[10:11]
	s_branch .LBB17_22
.LBB17_27:
                                        ; implicit-def: $vgpr3
                                        ; implicit-def: $vgpr2
.LBB17_28:
	v_cmp_gt_i32_e32 vcc, s13, v0
	s_and_saveexec_b64 s[0:1], vcc
	s_cbranch_execz .LBB17_31
; %bb.29:
	s_load_dword s2, s[4:5], 0x38
	s_load_dwordx2 s[0:1], s[4:5], 0x20
	s_ashr_i32 s3, s6, 31
	s_load_dword s4, s[4:5], 0x4c
	v_mov_b32_e32 v4, s19
	s_waitcnt lgkmcnt(0)
	v_mul_f32_e32 v1, s2, v3
	s_mul_i32 s1, s6, s1
	s_mul_hi_u32 s2, s6, s0
	s_add_i32 s1, s2, s1
	s_mul_i32 s3, s3, s0
	s_add_i32 s5, s1, s3
	s_mul_i32 s2, s6, s0
	s_and_b32 s3, s4, 0xffff
	s_mov_b64 s[0:1], 0
	v_mov_b32_e32 v3, s5
	v_mov_b32_e32 v5, s21
.LBB17_30:                              ; =>This Inner Loop Header: Depth=1
	v_ashrrev_i32_e32 v7, 31, v0
	v_add_co_u32_e32 v6, vcc, s2, v0
	v_addc_co_u32_e32 v7, vcc, v3, v7, vcc
	v_add_u32_e32 v0, s3, v0
	v_cmp_le_i32_e32 vcc, s13, v0
	v_lshlrev_b64 v[6:7], 2, v[6:7]
	s_or_b64 s[0:1], vcc, s[0:1]
	v_add_co_u32_e32 v8, vcc, s18, v6
	v_addc_co_u32_e32 v9, vcc, v4, v7, vcc
	v_add_co_u32_e32 v6, vcc, s20, v6
	v_addc_co_u32_e32 v7, vcc, v5, v7, vcc
	global_store_dword v[8:9], v1, off
	global_store_dword v[6:7], v2, off
	s_andn2_b64 exec, exec, s[0:1]
	s_cbranch_execnz .LBB17_30
.LBB17_31:
	s_endpgm
	.section	.rodata,"a",@progbits
	.p2align	6, 0x0
	.amdhsa_kernel _ZN5aiter19grouped_topk_kernelIN3c104HalfEDv4_fLi8ELb0ELb1ELb0EEEvPT_PKS4_PfPimiiiif
		.amdhsa_group_segment_fixed_size 0
		.amdhsa_private_segment_fixed_size 0
		.amdhsa_kernarg_size 320
		.amdhsa_user_sgpr_count 6
		.amdhsa_user_sgpr_private_segment_buffer 1
		.amdhsa_user_sgpr_dispatch_ptr 0
		.amdhsa_user_sgpr_queue_ptr 0
		.amdhsa_user_sgpr_kernarg_segment_ptr 1
		.amdhsa_user_sgpr_dispatch_id 0
		.amdhsa_user_sgpr_flat_scratch_init 0
		.amdhsa_user_sgpr_kernarg_preload_length 0
		.amdhsa_user_sgpr_kernarg_preload_offset 0
		.amdhsa_user_sgpr_private_segment_size 0
		.amdhsa_uses_dynamic_stack 0
		.amdhsa_system_sgpr_private_segment_wavefront_offset 0
		.amdhsa_system_sgpr_workgroup_id_x 1
		.amdhsa_system_sgpr_workgroup_id_y 0
		.amdhsa_system_sgpr_workgroup_id_z 0
		.amdhsa_system_sgpr_workgroup_info 0
		.amdhsa_system_vgpr_workitem_id 0
		.amdhsa_next_free_vgpr 38
		.amdhsa_next_free_sgpr 35
		.amdhsa_accum_offset 40
		.amdhsa_reserve_vcc 1
		.amdhsa_reserve_flat_scratch 0
		.amdhsa_float_round_mode_32 0
		.amdhsa_float_round_mode_16_64 0
		.amdhsa_float_denorm_mode_32 3
		.amdhsa_float_denorm_mode_16_64 3
		.amdhsa_dx10_clamp 1
		.amdhsa_ieee_mode 1
		.amdhsa_fp16_overflow 0
		.amdhsa_tg_split 0
		.amdhsa_exception_fp_ieee_invalid_op 0
		.amdhsa_exception_fp_denorm_src 0
		.amdhsa_exception_fp_ieee_div_zero 0
		.amdhsa_exception_fp_ieee_overflow 0
		.amdhsa_exception_fp_ieee_underflow 0
		.amdhsa_exception_fp_ieee_inexact 0
		.amdhsa_exception_int_div_zero 0
	.end_amdhsa_kernel
	.section	.text._ZN5aiter19grouped_topk_kernelIN3c104HalfEDv4_fLi8ELb0ELb1ELb0EEEvPT_PKS4_PfPimiiiif,"axG",@progbits,_ZN5aiter19grouped_topk_kernelIN3c104HalfEDv4_fLi8ELb0ELb1ELb0EEEvPT_PKS4_PfPimiiiif,comdat
.Lfunc_end17:
	.size	_ZN5aiter19grouped_topk_kernelIN3c104HalfEDv4_fLi8ELb0ELb1ELb0EEEvPT_PKS4_PfPimiiiif, .Lfunc_end17-_ZN5aiter19grouped_topk_kernelIN3c104HalfEDv4_fLi8ELb0ELb1ELb0EEEvPT_PKS4_PfPimiiiif
                                        ; -- End function
	.section	.AMDGPU.csdata,"",@progbits
; Kernel info:
; codeLenInByte = 2824
; NumSgprs: 39
; NumVgprs: 38
; NumAgprs: 0
; TotalNumVgprs: 38
; ScratchSize: 0
; MemoryBound: 0
; FloatMode: 240
; IeeeMode: 1
; LDSByteSize: 0 bytes/workgroup (compile time only)
; SGPRBlocks: 4
; VGPRBlocks: 4
; NumSGPRsForWavesPerEU: 39
; NumVGPRsForWavesPerEU: 38
; AccumOffset: 40
; Occupancy: 8
; WaveLimiterHint : 0
; COMPUTE_PGM_RSRC2:SCRATCH_EN: 0
; COMPUTE_PGM_RSRC2:USER_SGPR: 6
; COMPUTE_PGM_RSRC2:TRAP_HANDLER: 0
; COMPUTE_PGM_RSRC2:TGID_X_EN: 1
; COMPUTE_PGM_RSRC2:TGID_Y_EN: 0
; COMPUTE_PGM_RSRC2:TGID_Z_EN: 0
; COMPUTE_PGM_RSRC2:TIDIG_COMP_CNT: 0
; COMPUTE_PGM_RSRC3_GFX90A:ACCUM_OFFSET: 9
; COMPUTE_PGM_RSRC3_GFX90A:TG_SPLIT: 0
	.section	.text._ZN5aiter19grouped_topk_kernelIN3c108BFloat16EDv4_fLi8ELb0ELb1ELb0EEEvPT_PKS4_PfPimiiiif,"axG",@progbits,_ZN5aiter19grouped_topk_kernelIN3c108BFloat16EDv4_fLi8ELb0ELb1ELb0EEEvPT_PKS4_PfPimiiiif,comdat
	.protected	_ZN5aiter19grouped_topk_kernelIN3c108BFloat16EDv4_fLi8ELb0ELb1ELb0EEEvPT_PKS4_PfPimiiiif ; -- Begin function _ZN5aiter19grouped_topk_kernelIN3c108BFloat16EDv4_fLi8ELb0ELb1ELb0EEEvPT_PKS4_PfPimiiiif
	.globl	_ZN5aiter19grouped_topk_kernelIN3c108BFloat16EDv4_fLi8ELb0ELb1ELb0EEEvPT_PKS4_PfPimiiiif
	.p2align	8
	.type	_ZN5aiter19grouped_topk_kernelIN3c108BFloat16EDv4_fLi8ELb0ELb1ELb0EEEvPT_PKS4_PfPimiiiif,@function
_ZN5aiter19grouped_topk_kernelIN3c108BFloat16EDv4_fLi8ELb0ELb1ELb0EEEvPT_PKS4_PfPimiiiif: ; @_ZN5aiter19grouped_topk_kernelIN3c108BFloat16EDv4_fLi8ELb0ELb1ELb0EEEvPT_PKS4_PfPimiiiif
; %bb.0:
	s_load_dwordx4 s[12:15], s[4:5], 0x28
	s_load_dwordx4 s[16:19], s[4:5], 0x8
	s_load_dwordx2 s[20:21], s[4:5], 0x18
	v_lshl_add_u32 v8, v0, 4, 0
	s_waitcnt lgkmcnt(0)
	s_ashr_i32 s26, s12, 31
	s_lshr_b32 s0, s26, 30
	s_add_i32 s0, s12, s0
	s_ashr_i32 s7, s0, 2
	v_cmp_gt_i32_e64 s[0:1], s7, v0
	s_and_saveexec_b64 s[22:23], s[0:1]
	s_cbranch_execz .LBB18_3
; %bb.1:
	s_load_dwordx2 s[2:3], s[4:5], 0x0
	s_load_dword s10, s[4:5], 0x4c
	s_mul_i32 s8, s6, s12
	s_ashr_i32 s9, s8, 31
	s_lshl_b64 s[8:9], s[8:9], 1
	s_waitcnt lgkmcnt(0)
	s_add_u32 s15, s2, s8
	s_addc_u32 s2, s3, s9
	s_and_b32 s27, s10, 0xffff
	s_mov_b32 s3, 0
	v_lshlrev_b32_e32 v2, 3, v0
	v_mov_b32_e32 v1, 0
	s_lshl_b32 s28, s27, 3
	v_lshl_add_u32 v3, v0, 4, 0
	s_lshl_b32 s29, s27, 4
	s_mov_b64 s[24:25], 0
	v_mov_b32_e32 v9, s2
	v_mov_b32_e32 v10, s17
	s_mov_b32 s30, 0xbfb8aa3b
	s_mov_b32 s31, 0x42ce8ed0
	;; [unrolled: 1-line block ×3, first 2 shown]
	v_mov_b32_e32 v11, 0x7f800000
	v_mov_b32_e32 v12, s3
	;; [unrolled: 1-line block ×3, first 2 shown]
.LBB18_2:                               ; =>This Inner Loop Header: Depth=1
	v_add_co_u32_e32 v4, vcc, s15, v2
	v_addc_co_u32_e32 v5, vcc, v9, v1, vcc
	v_add_co_u32_e32 v6, vcc, s16, v2
	v_addc_co_u32_e32 v7, vcc, v10, v1, vcc
	global_load_dwordx2 v[14:15], v[4:5], off
	global_load_dwordx2 v[16:17], v[6:7], off
	v_add_co_u32_e32 v2, vcc, s28, v2
	v_add_u32_e32 v13, s27, v13
	v_addc_co_u32_e32 v1, vcc, v1, v12, vcc
	v_cmp_le_i32_e32 vcc, s7, v13
	s_or_b64 s[24:25], vcc, s[24:25]
	s_waitcnt vmcnt(1)
	v_cvt_f32_u32_sdwa v18, v14 dst_sel:DWORD dst_unused:UNUSED_PAD src0_sel:WORD_0
	v_cvt_f32_u32_sdwa v14, v14 dst_sel:DWORD dst_unused:UNUSED_PAD src0_sel:WORD_1
	s_waitcnt vmcnt(0)
	v_cvt_f32_u32_sdwa v5, v16 dst_sel:DWORD dst_unused:UNUSED_PAD src0_sel:WORD_1
	v_cvt_f32_u32_sdwa v4, v16 dst_sel:DWORD dst_unused:UNUSED_PAD src0_sel:WORD_0
	v_cvt_f32_u32_sdwa v16, v15 dst_sel:DWORD dst_unused:UNUSED_PAD src0_sel:WORD_0
	v_cvt_f32_u32_sdwa v15, v15 dst_sel:DWORD dst_unused:UNUSED_PAD src0_sel:WORD_1
	v_cvt_f32_u32_sdwa v7, v17 dst_sel:DWORD dst_unused:UNUSED_PAD src0_sel:WORD_1
	v_cvt_f32_u32_sdwa v6, v17 dst_sel:DWORD dst_unused:UNUSED_PAD src0_sel:WORD_0
	v_mul_f32_e32 v17, 0xbfb8aa3b, v14
	v_mul_f32_e32 v19, 0xbfb8aa3b, v18
	;; [unrolled: 1-line block ×3, first 2 shown]
	v_fma_f32 v22, v14, s30, -v17
	v_rndne_f32_e32 v23, v17
	v_fma_f32 v24, v18, s30, -v19
	v_rndne_f32_e32 v25, v19
	v_mul_f32_e32 v21, 0xbfb8aa3b, v16
	v_fma_f32 v26, v15, s30, -v20
	v_rndne_f32_e32 v27, v20
	v_fmac_f32_e32 v22, 0xb2a5705f, v14
	v_sub_f32_e32 v17, v17, v23
	v_fmac_f32_e32 v24, 0xb2a5705f, v18
	v_sub_f32_e32 v19, v19, v25
	v_fma_f32 v28, v16, s30, -v21
	v_rndne_f32_e32 v29, v21
	v_fmac_f32_e32 v26, 0xb2a5705f, v15
	v_sub_f32_e32 v20, v20, v27
	v_add_f32_e32 v17, v17, v22
	v_add_f32_e32 v19, v19, v24
	v_cvt_i32_f32_e32 v23, v23
	v_cvt_i32_f32_e32 v25, v25
	v_fmac_f32_e32 v28, 0xb2a5705f, v16
	v_sub_f32_e32 v21, v21, v29
	v_add_f32_e32 v20, v20, v26
	v_exp_f32_e32 v17, v17
	v_exp_f32_e32 v19, v19
	v_cvt_i32_f32_e32 v27, v27
	v_add_f32_e32 v21, v21, v28
	v_exp_f32_e32 v20, v20
	v_cvt_i32_f32_e32 v29, v29
	v_exp_f32_e32 v21, v21
	v_ldexp_f32 v17, v17, v23
	v_ldexp_f32 v19, v19, v25
	v_cmp_nlt_f32_e32 vcc, s31, v18
	v_cmp_nlt_f32_e64 s[10:11], s31, v14
	v_ldexp_f32 v20, v20, v27
	v_cmp_nlt_f32_e64 s[2:3], s31, v15
	v_cndmask_b32_e64 v17, 0, v17, s[10:11]
	v_cndmask_b32_e32 v19, 0, v19, vcc
	v_cmp_ngt_f32_e32 vcc, s33, v18
	v_cmp_ngt_f32_e64 s[10:11], s33, v14
	v_ldexp_f32 v21, v21, v29
	v_cmp_nlt_f32_e64 s[8:9], s31, v16
	v_cndmask_b32_e64 v18, 0, v20, s[2:3]
	v_cmp_ngt_f32_e64 s[2:3], s33, v15
	v_cndmask_b32_e64 v15, v11, v17, s[10:11]
	v_cndmask_b32_e32 v14, v11, v19, vcc
	v_cndmask_b32_e64 v20, 0, v21, s[8:9]
	v_cmp_ngt_f32_e64 s[8:9], s33, v16
	v_pk_add_f32 v[14:15], v[14:15], 1.0 op_sel_hi:[1,0]
	v_cndmask_b32_e64 v17, v11, v18, s[2:3]
	v_cndmask_b32_e64 v16, v11, v20, s[8:9]
	v_div_scale_f32 v18, s[2:3], v15, v15, 1.0
	v_pk_add_f32 v[16:17], v[16:17], 1.0 op_sel_hi:[1,0]
	v_div_scale_f32 v20, s[2:3], v14, v14, 1.0
	v_rcp_f32_e32 v26, v18
	v_div_scale_f32 v22, s[8:9], v17, v17, 1.0
	v_rcp_f32_e32 v27, v20
	;; [unrolled: 2-line block ×3, first 2 shown]
	v_rcp_f32_e32 v29, v24
	v_fma_f32 v30, -v18, v26, 1.0
	v_div_scale_f32 v19, vcc, 1.0, v15, 1.0
	v_fma_f32 v31, -v20, v27, 1.0
	v_fmac_f32_e32 v26, v30, v26
	v_div_scale_f32 v21, s[2:3], 1.0, v14, 1.0
	v_fma_f32 v32, -v22, v28, 1.0
	v_fmac_f32_e32 v27, v31, v27
	v_mul_f32_e32 v30, v19, v26
	v_div_scale_f32 v23, s[8:9], 1.0, v17, 1.0
	v_fma_f32 v33, -v24, v29, 1.0
	v_fmac_f32_e32 v28, v32, v28
	v_mul_f32_e32 v31, v21, v27
	v_fma_f32 v34, -v18, v30, v19
	v_div_scale_f32 v25, s[10:11], 1.0, v16, 1.0
	v_fmac_f32_e32 v29, v33, v29
	v_mul_f32_e32 v32, v23, v28
	v_fma_f32 v35, -v20, v31, v21
	v_fmac_f32_e32 v30, v34, v26
	v_mul_f32_e32 v33, v25, v29
	v_fma_f32 v36, -v22, v32, v23
	v_fmac_f32_e32 v31, v35, v27
	v_fma_f32 v18, -v18, v30, v19
	v_fma_f32 v37, -v24, v33, v25
	v_fmac_f32_e32 v32, v36, v28
	v_fma_f32 v19, -v20, v31, v21
	v_div_fmas_f32 v18, v18, v26, v30
	s_mov_b64 vcc, s[2:3]
	v_fmac_f32_e32 v33, v37, v29
	v_fma_f32 v20, -v22, v32, v23
	v_div_fixup_f32 v15, v18, v15, 1.0
	v_div_fmas_f32 v18, v19, v27, v31
	s_mov_b64 vcc, s[8:9]
	v_fma_f32 v21, -v24, v33, v25
	v_div_fixup_f32 v14, v18, v14, 1.0
	v_div_fmas_f32 v18, v20, v28, v32
	s_mov_b64 vcc, s[10:11]
	v_div_fixup_f32 v17, v18, v17, 1.0
	v_div_fmas_f32 v18, v21, v29, v33
	v_div_fixup_f32 v16, v18, v16, 1.0
	v_pk_add_f32 v[4:5], v[14:15], v[4:5]
	v_pk_add_f32 v[6:7], v[16:17], v[6:7]
	ds_write_b128 v3, v[4:7]
	v_add_u32_e32 v3, s29, v3
	s_andn2_b64 exec, exec, s[24:25]
	s_cbranch_execnz .LBB18_2
.LBB18_3:
	s_or_b64 exec, exec, s[22:23]
	s_lshr_b32 s2, s26, 29
	s_add_i32 s2, s12, s2
	s_ashr_i32 s28, s2, 3
	s_lshl_b32 s2, s12, 2
	s_add_i32 s15, s2, 0
	v_cmp_gt_u32_e32 vcc, 64, v0
	s_waitcnt lgkmcnt(0)
	s_barrier
	s_and_saveexec_b64 s[10:11], vcc
	s_cbranch_execz .LBB18_12
; %bb.4:
	s_load_dword s8, s[4:5], 0x4c
	v_lshrrev_b32_e32 v2, 3, v0
	s_lshr_b32 s2, s26, 27
	v_and_b32_e32 v1, 7, v0
	s_add_i32 s2, s12, s2
	s_waitcnt lgkmcnt(0)
	s_bfe_u32 s29, s8, 0xd0003
	v_mul_lo_u32 v3, s28, v2
	s_ashr_i32 s12, s2, 5
	v_lshlrev_b32_e32 v3, 2, v3
	v_lshlrev_b32_e32 v4, 4, v1
	s_mul_i32 s8, s28, s29
	v_cmp_gt_i32_e32 vcc, s12, v1
	v_cmp_eq_u32_e64 s[2:3], 0, v1
	v_add3_u32 v3, v3, v4, 0
	s_lshl_b32 s30, s8, 2
	s_mov_b64 s[22:23], 0
	s_branch .LBB18_6
.LBB18_5:                               ;   in Loop: Header=BB18_6 Depth=1
	s_or_b64 exec, exec, s[24:25]
	v_add_u32_e32 v2, s29, v2
	v_cmp_lt_u32_e64 s[8:9], 7, v2
	s_or_b64 s[22:23], s[8:9], s[22:23]
	v_add_u32_e32 v3, s30, v3
	s_andn2_b64 exec, exec, s[22:23]
	s_cbranch_execz .LBB18_12
.LBB18_6:                               ; =>This Loop Header: Depth=1
                                        ;     Child Loop BB18_8 Depth 2
	v_mov_b32_e32 v4, 0xff800000
	v_mov_b32_e32 v7, 0xff800000
	s_and_saveexec_b64 s[24:25], vcc
	s_cbranch_execz .LBB18_10
; %bb.7:                                ;   in Loop: Header=BB18_6 Depth=1
	s_mov_b64 s[26:27], 0
	v_mov_b32_e32 v4, 0xff800000
	v_mov_b32_e32 v5, v3
	;; [unrolled: 1-line block ×4, first 2 shown]
.LBB18_8:                               ;   Parent Loop BB18_6 Depth=1
                                        ; =>  This Inner Loop Header: Depth=2
	ds_read_b128 v[10:13], v5
	v_add_u32_e32 v6, 8, v6
	v_max_f32_e32 v7, v7, v7
	v_cmp_le_i32_e64 s[8:9], s12, v6
	s_or_b64 s[26:27], s[8:9], s[26:27]
	s_waitcnt lgkmcnt(0)
	v_max_f32_e32 v14, v10, v10
	v_max_f32_e32 v7, v14, v7
	v_cmp_gt_f32_e64 s[8:9], v10, v4
	v_max_f32_e32 v9, v4, v4
	v_cndmask_b32_e64 v4, v7, v4, s[8:9]
	v_max_f32_e32 v15, v11, v11
	v_max_f32_e32 v9, v14, v9
	;; [unrolled: 1-line block ×4, first 2 shown]
	v_cmp_gt_f32_e64 s[8:9], v11, v9
	v_max_f32_e32 v16, v12, v12
	v_max_f32_e32 v7, v15, v9
	v_cndmask_b32_e64 v9, v14, v9, s[8:9]
	v_max_f32_e32 v9, v16, v9
	v_cmp_gt_f32_e64 s[8:9], v12, v7
	v_max_f32_e32 v17, v13, v13
	v_max_f32_e32 v10, v16, v7
	v_cndmask_b32_e64 v7, v9, v7, s[8:9]
	v_max_f32_e32 v7, v17, v7
	v_cmp_gt_f32_e64 s[8:9], v13, v10
	v_add_u32_e32 v5, 0x80, v5
	v_max_f32_e32 v4, v17, v10
	v_cndmask_b32_e64 v7, v7, v10, s[8:9]
	s_andn2_b64 exec, exec, s[26:27]
	s_cbranch_execnz .LBB18_8
; %bb.9:                                ;   in Loop: Header=BB18_6 Depth=1
	s_or_b64 exec, exec, s[26:27]
.LBB18_10:                              ;   in Loop: Header=BB18_6 Depth=1
	s_or_b64 exec, exec, s[24:25]
	v_mov_b32_dpp v5, v4 quad_perm:[1,0,3,2] row_mask:0xf bank_mask:0xf bound_ctrl:1
	v_mov_b32_dpp v6, v7 quad_perm:[1,0,3,2] row_mask:0xf bank_mask:0xf bound_ctrl:1
	v_max_f32_e32 v9, v5, v5
	v_max_f32_e32 v7, v7, v7
	;; [unrolled: 1-line block ×3, first 2 shown]
	v_cmp_lt_f32_e64 s[8:9], v4, v5
	v_cndmask_b32_e64 v5, v7, v4, s[8:9]
	v_max_f32_e32 v4, v4, v4
	v_max_f32_e32 v4, v9, v4
	;; [unrolled: 1-line block ×5, first 2 shown]
	s_nop 0
	v_mov_b32_dpp v6, v4 quad_perm:[2,3,0,1] row_mask:0xf bank_mask:0xf bound_ctrl:1
	v_max_f32_e32 v9, v6, v6
	v_mov_b32_dpp v7, v5 quad_perm:[2,3,0,1] row_mask:0xf bank_mask:0xf bound_ctrl:1
	v_max_f32_e32 v5, v9, v5
	v_cmp_lt_f32_e64 s[8:9], v4, v6
	v_cndmask_b32_e64 v5, v5, v4, s[8:9]
	v_max_f32_e32 v6, v7, v7
	v_max_f32_e32 v4, v9, v4
	;; [unrolled: 1-line block ×3, first 2 shown]
	s_nop 0
	v_mov_b32_dpp v6, v4 row_half_mirror row_mask:0xf bank_mask:0xf bound_ctrl:1
	v_mov_b32_dpp v5, v7 row_half_mirror row_mask:0xf bank_mask:0xf bound_ctrl:1
	s_and_saveexec_b64 s[24:25], s[2:3]
	s_cbranch_execz .LBB18_5
; %bb.11:                               ;   in Loop: Header=BB18_6 Depth=1
	v_max_f32_e32 v7, v7, v7
	v_max_f32_e32 v10, v6, v6
	;; [unrolled: 1-line block ×3, first 2 shown]
	v_cmp_lt_f32_e64 s[8:9], v4, v6
	v_cndmask_b32_e64 v6, v7, v4, s[8:9]
	v_max_f32_e32 v6, v6, v6
	v_max_f32_e32 v5, v5, v5
	;; [unrolled: 1-line block ×5, first 2 shown]
	v_lshl_add_u32 v9, v2, 2, s15
	v_add_f32_e32 v4, v4, v5
	ds_write_b32 v9, v4
	s_branch .LBB18_5
.LBB18_12:
	s_or_b64 exec, exec, s[10:11]
	s_cmp_lt_i32 s14, 1
	s_waitcnt lgkmcnt(0)
	s_barrier
	s_cbranch_scc1 .LBB18_15
; %bb.13:
	v_mov_b32_e32 v1, s15
	s_mov_b32 s2, 0xff800000
	v_mov_b32_e32 v2, 0xff800000
.LBB18_14:                              ; =>This Inner Loop Header: Depth=1
	ds_read2_b32 v[4:5], v1 offset1:1
	ds_read2_b32 v[6:7], v1 offset0:2 offset1:3
	ds_read2_b32 v[10:11], v1 offset0:4 offset1:5
	;; [unrolled: 1-line block ×3, first 2 shown]
	s_waitcnt lgkmcnt(3)
	v_cmp_nlg_f32_e32 vcc, s2, v4
	v_cndmask_b32_e64 v3, 0, 1, vcc
	v_cmp_lg_f32_e32 vcc, s2, v4
	v_readfirstlane_b32 s3, v3
	v_cndmask_b32_e32 v3, v2, v4, vcc
	v_cmp_gt_f32_e32 vcc, v5, v3
	s_lshl_b32 s3, s3, 3
	v_cndmask_b32_e32 v3, v3, v5, vcc
	s_and_b64 s[8:9], vcc, exec
	s_waitcnt lgkmcnt(2)
	v_cmp_gt_f32_e32 vcc, v6, v3
	v_cndmask_b32_e32 v3, v3, v6, vcc
	s_cselect_b32 s3, 1, s3
	s_and_b64 s[8:9], vcc, exec
	v_cmp_gt_f32_e32 vcc, v7, v3
	v_cndmask_b32_e32 v3, v3, v7, vcc
	s_cselect_b32 s3, 2, s3
	s_and_b64 s[8:9], vcc, exec
	s_waitcnt lgkmcnt(1)
	v_cmp_gt_f32_e32 vcc, v10, v3
	v_cndmask_b32_e32 v3, v3, v10, vcc
	s_cselect_b32 s3, 3, s3
	s_and_b64 s[8:9], vcc, exec
	v_cmp_gt_f32_e32 vcc, v11, v3
	v_cndmask_b32_e32 v3, v3, v11, vcc
	s_cselect_b32 s3, 4, s3
	s_and_b64 s[8:9], vcc, exec
	s_waitcnt lgkmcnt(0)
	v_cmp_gt_f32_e32 vcc, v12, v3
	v_cndmask_b32_e32 v3, v3, v12, vcc
	s_cselect_b32 s3, 5, s3
	s_and_b64 s[8:9], vcc, exec
	v_cmp_ngt_f32_e32 vcc, v13, v3
	s_cselect_b32 s3, 6, s3
	s_and_b64 s[8:9], vcc, exec
	s_cselect_b32 s3, s3, 7
	s_lshl_b32 s3, s3, 2
	s_add_i32 s3, s15, s3
	s_add_i32 s14, s14, -1
	v_mov_b32_e32 v3, s3
	s_cmp_lg_u32 s14, 0
	ds_write_b32 v3, v2
	s_cbranch_scc1 .LBB18_14
.LBB18_15:
	v_lshlrev_b32_e32 v1, 2, v0
	s_and_saveexec_b64 s[2:3], s[0:1]
	s_cbranch_execz .LBB18_20
; %bb.16:
	s_abs_i32 s12, s28
	v_cvt_f32_u32_e32 v2, s12
	s_load_dword s10, s[4:5], 0x4c
	s_sub_i32 s11, 0, s12
	s_ashr_i32 s14, s28, 31
	v_rcp_iflag_f32_e32 v2, v2
	v_lshlrev_b32_e32 v6, 2, v0
	s_waitcnt lgkmcnt(0)
	s_and_b32 s22, s10, 0xffff
	v_lshl_add_u32 v7, v0, 4, 0
	v_mul_f32_e32 v2, 0x4f7ffffe, v2
	v_cvt_u32_f32_e32 v2, v2
	s_mov_b64 s[8:9], 0
	s_lshl_b32 s23, s22, 2
	s_lshl_b32 s24, s22, 4
	v_mul_lo_u32 v3, s11, v2
	v_mul_hi_u32 v3, v2, v3
	v_add_u32_e32 v9, v2, v3
	s_mov_b32 s25, 0xff800000
	v_mov_b32_e32 v2, 0xff800000
	v_mov_b32_e32 v10, v0
	s_branch .LBB18_18
.LBB18_17:                              ;   in Loop: Header=BB18_18 Depth=1
	s_or_b64 exec, exec, s[10:11]
	v_add_u32_e32 v10, s22, v10
	v_cmp_le_i32_e32 vcc, s7, v10
	v_add_u32_e32 v6, s23, v6
	s_or_b64 s[8:9], vcc, s[8:9]
	v_add_u32_e32 v7, s24, v7
	s_andn2_b64 exec, exec, s[8:9]
	s_cbranch_execz .LBB18_20
.LBB18_18:                              ; =>This Inner Loop Header: Depth=1
	v_mul_hi_u32 v3, v6, v9
	v_mul_lo_u32 v4, v3, s12
	v_sub_u32_e32 v4, v6, v4
	v_add_u32_e32 v5, 1, v3
	v_cmp_le_u32_e32 vcc, s12, v4
	v_cndmask_b32_e32 v3, v3, v5, vcc
	v_subrev_u32_e32 v5, s12, v4
	v_cndmask_b32_e32 v4, v4, v5, vcc
	v_add_u32_e32 v5, 1, v3
	v_cmp_le_u32_e32 vcc, s12, v4
	v_cndmask_b32_e32 v3, v3, v5, vcc
	v_xor_b32_e32 v3, s14, v3
	v_subrev_u32_e32 v3, s14, v3
	v_lshl_add_u32 v3, v3, 2, s15
	ds_read_b32 v3, v3
	s_waitcnt lgkmcnt(0)
	v_cmp_neq_f32_e32 vcc, s25, v3
	s_and_saveexec_b64 s[10:11], vcc
	s_cbranch_execz .LBB18_17
; %bb.19:                               ;   in Loop: Header=BB18_18 Depth=1
	v_mov_b32_e32 v3, v2
	v_mov_b32_e32 v4, v2
	;; [unrolled: 1-line block ×3, first 2 shown]
	ds_write_b128 v7, v[2:5]
	s_branch .LBB18_17
.LBB18_20:
	s_or_b64 exec, exec, s[2:3]
	s_cmp_lt_i32 s13, 1
	s_waitcnt lgkmcnt(0)
	s_barrier
	s_cbranch_scc1 .LBB18_27
; %bb.21:
	s_add_u32 s2, s4, 64
	s_addc_u32 s3, s5, 0
	s_mov_b32 s12, 0
	v_mov_b32_e32 v4, 0
	v_mov_b32_e32 v5, 0xff800000
                                        ; implicit-def: $vgpr3
                                        ; implicit-def: $vgpr2
	s_branch .LBB18_23
.LBB18_22:                              ;   in Loop: Header=BB18_23 Depth=1
	s_or_b64 exec, exec, s[8:9]
	v_mov_b32_dpp v10, v7 quad_perm:[1,0,3,2] row_mask:0xf bank_mask:0xf
	v_cmp_lt_f32_e32 vcc, v7, v10
	v_cndmask_b32_e32 v7, v7, v10, vcc
	v_mov_b32_dpp v9, v6 quad_perm:[1,0,3,2] row_mask:0xf bank_mask:0xf
	v_cndmask_b32_e32 v6, v6, v9, vcc
	v_mov_b32_dpp v10, v7 quad_perm:[2,3,0,1] row_mask:0xf bank_mask:0xf
	v_cmp_gt_f32_e32 vcc, v10, v7
	v_cndmask_b32_e32 v7, v7, v10, vcc
	v_mov_b32_dpp v9, v6 quad_perm:[2,3,0,1] row_mask:0xf bank_mask:0xf
	v_cndmask_b32_e32 v6, v6, v9, vcc
	v_mov_b32_dpp v10, v7 row_half_mirror row_mask:0xf bank_mask:0xf
	v_cmp_gt_f32_e32 vcc, v10, v7
	v_cndmask_b32_e32 v7, v7, v10, vcc
	v_mov_b32_dpp v9, v6 row_half_mirror row_mask:0xf bank_mask:0xf
	v_cndmask_b32_e32 v6, v6, v9, vcc
	v_mov_b32_dpp v10, v7 row_mirror row_mask:0xf bank_mask:0xf
	v_cmp_gt_f32_e32 vcc, v10, v7
	v_cndmask_b32_e32 v7, v7, v10, vcc
	v_mov_b32_dpp v9, v6 row_mirror row_mask:0xf bank_mask:0xf
	v_cndmask_b32_e32 v6, v6, v9, vcc
	v_mov_b32_dpp v10, v7 row_bcast:15 row_mask:0xf bank_mask:0xf
	v_cmp_gt_f32_e32 vcc, v10, v7
	v_mov_b32_dpp v9, v6 row_bcast:15 row_mask:0xf bank_mask:0xf
	v_cndmask_b32_e32 v7, v7, v10, vcc
	v_cndmask_b32_e32 v6, v6, v9, vcc
	s_nop 0
	v_mov_b32_dpp v10, v7 row_bcast:31 row_mask:0xf bank_mask:0xf
	v_mov_b32_dpp v9, v6 row_bcast:31 row_mask:0xf bank_mask:0xf
	v_cmp_gt_f32_e32 vcc, v10, v7
	v_cndmask_b32_e32 v6, v6, v9, vcc
	v_readlane_b32 s8, v6, 63
	s_ashr_i32 s9, s8, 31
	s_lshl_b64 s[10:11], s[8:9], 1
	s_add_u32 s10, s16, s10
	s_addc_u32 s11, s17, s11
	global_load_ushort v6, v4, s[10:11]
	v_cndmask_b32_e32 v7, v7, v10, vcc
	v_readlane_b32 s9, v7, 63
	v_mov_b32_e32 v7, s8
	s_lshl_b32 s8, s8, 2
	v_cmp_eq_u32_e32 vcc, s12, v0
	s_add_i32 s8, s8, 0
	v_cndmask_b32_e32 v2, v2, v7, vcc
	v_mov_b32_e32 v7, s8
	ds_write_b32 v7, v5
	s_add_i32 s12, s12, 1
	s_cmp_eq_u32 s12, s13
	s_waitcnt vmcnt(0)
	v_and_b32_e32 v7, 0xff, v6
	v_lshlrev_b32_e32 v6, 16, v6
	v_lshlrev_b32_e32 v7, 16, v7
	v_and_b32_e32 v6, 0xff000000, v6
	v_or_b32_e32 v6, v7, v6
	v_sub_f32_e32 v6, s9, v6
	v_cndmask_b32_e32 v3, v3, v6, vcc
	s_cbranch_scc1 .LBB18_28
.LBB18_23:                              ; =>This Loop Header: Depth=1
                                        ;     Child Loop BB18_25 Depth 2
	v_mov_b32_e32 v6, s12
	v_mov_b32_e32 v7, 0xff800000
	s_and_saveexec_b64 s[8:9], s[0:1]
	s_cbranch_execz .LBB18_22
; %bb.24:                               ;   in Loop: Header=BB18_23 Depth=1
	s_load_dword s14, s[2:3], 0xc
	s_mov_b64 s[10:11], 0
	v_mov_b32_e32 v6, s12
	v_mov_b32_e32 v7, 0xff800000
	;; [unrolled: 1-line block ×3, first 2 shown]
	s_waitcnt lgkmcnt(0)
	s_and_b32 s14, s14, 0xffff
	s_lshl_b32 s15, s14, 2
	s_lshl_b32 s22, s14, 4
	v_mov_b32_e32 v10, v1
	v_mov_b32_e32 v11, v0
.LBB18_25:                              ;   Parent Loop BB18_23 Depth=1
                                        ; =>  This Inner Loop Header: Depth=2
	ds_read_b128 v[12:15], v9
	v_add_u32_e32 v11, s14, v11
	v_cmp_le_i32_e32 vcc, s7, v11
	s_or_b64 s[10:11], vcc, s[10:11]
	v_add_u32_e32 v16, 1, v10
	s_waitcnt lgkmcnt(0)
	v_cmp_gt_f32_e32 vcc, v12, v7
	v_cndmask_b32_e32 v7, v7, v12, vcc
	v_cndmask_b32_e32 v6, v6, v10, vcc
	v_cmp_gt_f32_e32 vcc, v13, v7
	v_cndmask_b32_e32 v7, v7, v13, vcc
	v_cndmask_b32_e32 v6, v6, v16, vcc
	v_cmp_gt_f32_e32 vcc, v14, v7
	v_add_u32_e32 v17, 2, v10
	v_cndmask_b32_e32 v7, v7, v14, vcc
	v_add_u32_e32 v18, 3, v10
	v_cndmask_b32_e32 v6, v6, v17, vcc
	v_cmp_gt_f32_e32 vcc, v15, v7
	v_add_u32_e32 v9, s22, v9
	v_add_u32_e32 v10, s15, v10
	v_cndmask_b32_e32 v7, v7, v15, vcc
	v_cndmask_b32_e32 v6, v6, v18, vcc
	s_andn2_b64 exec, exec, s[10:11]
	s_cbranch_execnz .LBB18_25
; %bb.26:                               ;   in Loop: Header=BB18_23 Depth=1
	s_or_b64 exec, exec, s[10:11]
	s_branch .LBB18_22
.LBB18_27:
                                        ; implicit-def: $vgpr3
                                        ; implicit-def: $vgpr2
.LBB18_28:
	v_cmp_gt_i32_e32 vcc, s13, v0
	s_and_saveexec_b64 s[0:1], vcc
	s_cbranch_execz .LBB18_31
; %bb.29:
	s_load_dword s2, s[4:5], 0x38
	s_load_dwordx2 s[0:1], s[4:5], 0x20
	s_ashr_i32 s3, s6, 31
	s_load_dword s4, s[4:5], 0x4c
	v_mov_b32_e32 v4, s19
	s_waitcnt lgkmcnt(0)
	v_mul_f32_e32 v1, s2, v3
	s_mul_i32 s1, s6, s1
	s_mul_hi_u32 s2, s6, s0
	s_add_i32 s1, s2, s1
	s_mul_i32 s3, s3, s0
	s_add_i32 s5, s1, s3
	s_mul_i32 s2, s6, s0
	s_and_b32 s3, s4, 0xffff
	s_mov_b64 s[0:1], 0
	v_mov_b32_e32 v3, s5
	v_mov_b32_e32 v5, s21
.LBB18_30:                              ; =>This Inner Loop Header: Depth=1
	v_ashrrev_i32_e32 v7, 31, v0
	v_add_co_u32_e32 v6, vcc, s2, v0
	v_addc_co_u32_e32 v7, vcc, v3, v7, vcc
	v_add_u32_e32 v0, s3, v0
	v_cmp_le_i32_e32 vcc, s13, v0
	v_lshlrev_b64 v[6:7], 2, v[6:7]
	s_or_b64 s[0:1], vcc, s[0:1]
	v_add_co_u32_e32 v8, vcc, s18, v6
	v_addc_co_u32_e32 v9, vcc, v4, v7, vcc
	v_add_co_u32_e32 v6, vcc, s20, v6
	v_addc_co_u32_e32 v7, vcc, v5, v7, vcc
	global_store_dword v[8:9], v1, off
	global_store_dword v[6:7], v2, off
	s_andn2_b64 exec, exec, s[0:1]
	s_cbranch_execnz .LBB18_30
.LBB18_31:
	s_endpgm
	.section	.rodata,"a",@progbits
	.p2align	6, 0x0
	.amdhsa_kernel _ZN5aiter19grouped_topk_kernelIN3c108BFloat16EDv4_fLi8ELb0ELb1ELb0EEEvPT_PKS4_PfPimiiiif
		.amdhsa_group_segment_fixed_size 0
		.amdhsa_private_segment_fixed_size 0
		.amdhsa_kernarg_size 320
		.amdhsa_user_sgpr_count 6
		.amdhsa_user_sgpr_private_segment_buffer 1
		.amdhsa_user_sgpr_dispatch_ptr 0
		.amdhsa_user_sgpr_queue_ptr 0
		.amdhsa_user_sgpr_kernarg_segment_ptr 1
		.amdhsa_user_sgpr_dispatch_id 0
		.amdhsa_user_sgpr_flat_scratch_init 0
		.amdhsa_user_sgpr_kernarg_preload_length 0
		.amdhsa_user_sgpr_kernarg_preload_offset 0
		.amdhsa_user_sgpr_private_segment_size 0
		.amdhsa_uses_dynamic_stack 0
		.amdhsa_system_sgpr_private_segment_wavefront_offset 0
		.amdhsa_system_sgpr_workgroup_id_x 1
		.amdhsa_system_sgpr_workgroup_id_y 0
		.amdhsa_system_sgpr_workgroup_id_z 0
		.amdhsa_system_sgpr_workgroup_info 0
		.amdhsa_system_vgpr_workitem_id 0
		.amdhsa_next_free_vgpr 38
		.amdhsa_next_free_sgpr 34
		.amdhsa_accum_offset 40
		.amdhsa_reserve_vcc 1
		.amdhsa_reserve_flat_scratch 0
		.amdhsa_float_round_mode_32 0
		.amdhsa_float_round_mode_16_64 0
		.amdhsa_float_denorm_mode_32 3
		.amdhsa_float_denorm_mode_16_64 3
		.amdhsa_dx10_clamp 1
		.amdhsa_ieee_mode 1
		.amdhsa_fp16_overflow 0
		.amdhsa_tg_split 0
		.amdhsa_exception_fp_ieee_invalid_op 0
		.amdhsa_exception_fp_denorm_src 0
		.amdhsa_exception_fp_ieee_div_zero 0
		.amdhsa_exception_fp_ieee_overflow 0
		.amdhsa_exception_fp_ieee_underflow 0
		.amdhsa_exception_fp_ieee_inexact 0
		.amdhsa_exception_int_div_zero 0
	.end_amdhsa_kernel
	.section	.text._ZN5aiter19grouped_topk_kernelIN3c108BFloat16EDv4_fLi8ELb0ELb1ELb0EEEvPT_PKS4_PfPimiiiif,"axG",@progbits,_ZN5aiter19grouped_topk_kernelIN3c108BFloat16EDv4_fLi8ELb0ELb1ELb0EEEvPT_PKS4_PfPimiiiif,comdat
.Lfunc_end18:
	.size	_ZN5aiter19grouped_topk_kernelIN3c108BFloat16EDv4_fLi8ELb0ELb1ELb0EEEvPT_PKS4_PfPimiiiif, .Lfunc_end18-_ZN5aiter19grouped_topk_kernelIN3c108BFloat16EDv4_fLi8ELb0ELb1ELb0EEEvPT_PKS4_PfPimiiiif
                                        ; -- End function
	.section	.AMDGPU.csdata,"",@progbits
; Kernel info:
; codeLenInByte = 2848
; NumSgprs: 38
; NumVgprs: 38
; NumAgprs: 0
; TotalNumVgprs: 38
; ScratchSize: 0
; MemoryBound: 0
; FloatMode: 240
; IeeeMode: 1
; LDSByteSize: 0 bytes/workgroup (compile time only)
; SGPRBlocks: 4
; VGPRBlocks: 4
; NumSGPRsForWavesPerEU: 38
; NumVGPRsForWavesPerEU: 38
; AccumOffset: 40
; Occupancy: 8
; WaveLimiterHint : 0
; COMPUTE_PGM_RSRC2:SCRATCH_EN: 0
; COMPUTE_PGM_RSRC2:USER_SGPR: 6
; COMPUTE_PGM_RSRC2:TRAP_HANDLER: 0
; COMPUTE_PGM_RSRC2:TGID_X_EN: 1
; COMPUTE_PGM_RSRC2:TGID_Y_EN: 0
; COMPUTE_PGM_RSRC2:TGID_Z_EN: 0
; COMPUTE_PGM_RSRC2:TIDIG_COMP_CNT: 0
; COMPUTE_PGM_RSRC3_GFX90A:ACCUM_OFFSET: 9
; COMPUTE_PGM_RSRC3_GFX90A:TG_SPLIT: 0
	.section	.text._ZN5aiter19grouped_topk_kernelIfDv4_fLi8ELb0ELb0ELb1EEEvPT_PKS2_PfPimiiiif,"axG",@progbits,_ZN5aiter19grouped_topk_kernelIfDv4_fLi8ELb0ELb0ELb1EEEvPT_PKS2_PfPimiiiif,comdat
	.protected	_ZN5aiter19grouped_topk_kernelIfDv4_fLi8ELb0ELb0ELb1EEEvPT_PKS2_PfPimiiiif ; -- Begin function _ZN5aiter19grouped_topk_kernelIfDv4_fLi8ELb0ELb0ELb1EEEvPT_PKS2_PfPimiiiif
	.globl	_ZN5aiter19grouped_topk_kernelIfDv4_fLi8ELb0ELb0ELb1EEEvPT_PKS2_PfPimiiiif
	.p2align	8
	.type	_ZN5aiter19grouped_topk_kernelIfDv4_fLi8ELb0ELb0ELb1EEEvPT_PKS2_PfPimiiiif,@function
_ZN5aiter19grouped_topk_kernelIfDv4_fLi8ELb0ELb0ELb1EEEvPT_PKS2_PfPimiiiif: ; @_ZN5aiter19grouped_topk_kernelIfDv4_fLi8ELb0ELb0ELb1EEEvPT_PKS2_PfPimiiiif
; %bb.0:
	s_load_dwordx4 s[8:11], s[4:5], 0x28
	s_load_dwordx4 s[12:15], s[4:5], 0x10
	v_mov_b32_e32 v1, 0xff800000
	s_waitcnt lgkmcnt(0)
	v_cmp_gt_i32_e32 vcc, s8, v0
	s_and_saveexec_b64 s[2:3], vcc
	s_cbranch_execz .LBB19_4
; %bb.1:
	s_load_dword s0, s[4:5], 0x4c
	s_load_dwordx2 s[16:17], s[4:5], 0x0
	s_mul_i32 s7, s6, s8
	v_lshl_add_u32 v2, v0, 2, 0
	s_mov_b64 s[18:19], 0
	s_waitcnt lgkmcnt(0)
	s_and_b32 s11, s0, 0xffff
	s_lshl_b32 s20, s11, 2
	v_mov_b32_e32 v1, 0xff800000
	v_mov_b32_e32 v3, s17
	;; [unrolled: 1-line block ×3, first 2 shown]
.LBB19_2:                               ; =>This Inner Loop Header: Depth=1
	v_add_u32_e32 v6, s7, v4
	v_ashrrev_i32_e32 v7, 31, v6
	v_lshlrev_b64 v[6:7], 2, v[6:7]
	v_add_co_u32_e64 v6, s[0:1], s16, v6
	v_addc_co_u32_e64 v7, s[0:1], v3, v7, s[0:1]
	global_load_dword v5, v[6:7], off
	v_add_u32_e32 v4, s11, v4
	v_cmp_le_i32_e64 s[0:1], s8, v4
	s_or_b64 s[18:19], s[0:1], s[18:19]
	s_waitcnt vmcnt(0)
	v_cmp_gt_f32_e64 s[0:1], v5, v1
	ds_write_b32 v2, v5
	v_cndmask_b32_e64 v1, v1, v5, s[0:1]
	v_add_u32_e32 v2, s20, v2
	s_andn2_b64 exec, exec, s[18:19]
	s_cbranch_execnz .LBB19_2
; %bb.3:
	s_or_b64 exec, exec, s[18:19]
.LBB19_4:
	s_or_b64 exec, exec, s[2:3]
	v_mov_b32_dpp v2, v1 quad_perm:[1,0,3,2] row_mask:0xf bank_mask:0xf
	v_cmp_lt_f32_e64 s[0:1], v1, v2
	v_cndmask_b32_e64 v1, v1, v2, s[0:1]
	v_bfrev_b32_e32 v3, 0.5
	s_waitcnt lgkmcnt(0)
	v_mov_b32_dpp v2, v1 quad_perm:[2,3,0,1] row_mask:0xf bank_mask:0xf
	v_cmp_lt_f32_e64 s[0:1], v1, v2
	v_cndmask_b32_e64 v1, v1, v2, s[0:1]
	s_barrier
	s_nop 0
	v_mov_b32_dpp v2, v1 row_half_mirror row_mask:0xf bank_mask:0xf
	v_cmp_lt_f32_e64 s[0:1], v1, v2
	v_cndmask_b32_e64 v1, v1, v2, s[0:1]
	s_nop 1
	v_mov_b32_dpp v2, v1 row_mirror row_mask:0xf bank_mask:0xf
	v_cmp_lt_f32_e64 s[0:1], v1, v2
	v_cndmask_b32_e64 v1, v1, v2, s[0:1]
	s_nop 1
	v_mov_b32_dpp v2, v1 row_bcast:15 row_mask:0xf bank_mask:0xf
	v_cmp_lt_f32_e64 s[0:1], v1, v2
	v_cndmask_b32_e64 v1, v1, v2, s[0:1]
	s_nop 1
	v_mov_b32_dpp v2, v1 row_bcast:31 row_mask:0xf bank_mask:0xf
	v_cmp_lt_f32_e64 s[0:1], v1, v2
	v_cndmask_b32_e64 v2, v1, v2, s[0:1]
	v_mbcnt_lo_u32_b32 v1, -1, 0
	v_mbcnt_hi_u32_b32 v1, -1, v1
	v_lshl_or_b32 v1, v1, 2, v3
	ds_bpermute_b32 v3, v1, v2
	v_mov_b32_e32 v2, 0
	s_and_saveexec_b64 s[2:3], vcc
	s_cbranch_execz .LBB19_8
; %bb.5:
	s_load_dword s0, s[4:5], 0x4c
	v_lshl_add_u32 v4, v0, 2, 0
	s_mov_b64 s[16:17], 0
	v_mov_b32_e32 v2, 0
	s_mov_b32 s7, 0x3fb8aa3b
	s_waitcnt lgkmcnt(0)
	s_and_b32 s11, s0, 0xffff
	s_lshl_b32 s18, s11, 2
	s_mov_b32 s19, 0xc2ce8ed0
	s_mov_b32 s20, 0x42b17218
	v_mov_b32_e32 v5, 0x7f800000
	v_mov_b32_e32 v6, v0
.LBB19_6:                               ; =>This Inner Loop Header: Depth=1
	ds_read_b32 v7, v4
	v_add_u32_e32 v6, s11, v6
	s_waitcnt lgkmcnt(0)
	v_sub_f32_e32 v7, v7, v3
	v_mul_f32_e32 v8, 0x3fb8aa3b, v7
	v_fma_f32 v9, v7, s7, -v8
	v_rndne_f32_e32 v10, v8
	v_fmac_f32_e32 v9, 0x32a5705f, v7
	v_sub_f32_e32 v8, v8, v10
	v_add_f32_e32 v8, v8, v9
	v_cvt_i32_f32_e32 v10, v10
	v_exp_f32_e32 v8, v8
	v_cmp_ngt_f32_e64 s[0:1], s19, v7
	v_ldexp_f32 v8, v8, v10
	v_cndmask_b32_e64 v8, 0, v8, s[0:1]
	v_cmp_nlt_f32_e64 s[0:1], s20, v7
	v_cndmask_b32_e64 v7, v5, v8, s[0:1]
	v_cmp_le_i32_e64 s[0:1], s8, v6
	ds_write_b32 v4, v7
	v_add_f32_e32 v2, v2, v7
	s_or_b64 s[16:17], s[0:1], s[16:17]
	v_add_u32_e32 v4, s18, v4
	s_andn2_b64 exec, exec, s[16:17]
	s_cbranch_execnz .LBB19_6
; %bb.7:
	s_or_b64 exec, exec, s[16:17]
.LBB19_8:
	s_or_b64 exec, exec, s[2:3]
	s_waitcnt lgkmcnt(0)
	v_mov_b32_dpp v3, v2 quad_perm:[1,0,3,2] row_mask:0xf bank_mask:0xf
	v_add_f32_e32 v2, v2, v3
	s_barrier
	s_nop 0
	v_mov_b32_dpp v3, v2 quad_perm:[2,3,0,1] row_mask:0xf bank_mask:0xf
	v_add_f32_e32 v2, v2, v3
	s_nop 1
	v_mov_b32_dpp v3, v2 row_half_mirror row_mask:0xf bank_mask:0xf
	v_add_f32_e32 v2, v2, v3
	s_nop 1
	v_mov_b32_dpp v3, v2 row_mirror row_mask:0xf bank_mask:0xf
	v_add_f32_e32 v2, v2, v3
	s_nop 1
	v_mov_b32_dpp v3, v2 row_bcast:15 row_mask:0xf bank_mask:0xf
	v_add_f32_e32 v2, v2, v3
	s_nop 1
	v_mov_b32_dpp v3, v2 row_bcast:31 row_mask:0xf bank_mask:0xf
	v_add_f32_e32 v2, v2, v3
	ds_bpermute_b32 v1, v1, v2
	s_and_saveexec_b64 s[0:1], vcc
	s_cbranch_execz .LBB19_11
; %bb.9:
	s_load_dword s7, s[4:5], 0x4c
	v_lshl_add_u32 v2, v0, 2, 0
	s_mov_b64 s[2:3], 0
	v_mov_b32_e32 v3, v0
	s_waitcnt lgkmcnt(0)
	s_and_b32 s7, s7, 0xffff
	s_lshl_b32 s11, s7, 2
.LBB19_10:                              ; =>This Inner Loop Header: Depth=1
	ds_read_b32 v4, v2
	v_add_u32_e32 v3, s7, v3
	v_cmp_le_i32_e32 vcc, s8, v3
	s_or_b64 s[2:3], vcc, s[2:3]
	s_waitcnt lgkmcnt(0)
	v_div_scale_f32 v5, s[16:17], v1, v1, v4
	v_rcp_f32_e32 v6, v5
	v_div_scale_f32 v7, vcc, v4, v1, v4
	v_fma_f32 v8, -v5, v6, 1.0
	v_fmac_f32_e32 v6, v8, v6
	v_mul_f32_e32 v8, v7, v6
	v_fma_f32 v9, -v5, v8, v7
	v_fmac_f32_e32 v8, v9, v6
	v_fma_f32 v5, -v5, v8, v7
	v_div_fmas_f32 v5, v5, v6, v8
	v_div_fixup_f32 v4, v5, v1, v4
	ds_write_b32 v2, v4
	v_add_u32_e32 v2, s11, v2
	s_andn2_b64 exec, exec, s[2:3]
	s_cbranch_execnz .LBB19_10
.LBB19_11:
	s_or_b64 exec, exec, s[0:1]
	s_ashr_i32 s20, s8, 31
	s_lshr_b32 s0, s20, 29
	s_add_i32 s0, s8, s0
	s_ashr_i32 s11, s0, 3
	s_lshl_b32 s0, s8, 2
	s_add_i32 s7, s0, 0
	v_cmp_gt_u32_e32 vcc, 8, v0
	s_waitcnt lgkmcnt(0)
	s_barrier
	s_and_saveexec_b64 s[2:3], vcc
	s_cbranch_execz .LBB19_18
; %bb.12:
	s_load_dword s0, s[4:5], 0x4c
	v_mul_lo_u32 v1, v0, s11
	v_lshl_add_u32 v1, v1, 2, 0
	s_waitcnt lgkmcnt(0)
	s_and_b32 s21, s0, 0xffff
	s_cmp_gt_i32 s8, 7
	s_cselect_b64 s[0:1], -1, 0
	s_mul_i32 s16, s11, s21
	v_cndmask_b32_e64 v2, 0, 1, s[0:1]
	s_lshl_b32 s22, s16, 2
	s_mov_b64 s[16:17], 0
	v_cmp_ne_u32_e64 s[0:1], 1, v2
	v_mov_b32_e32 v2, v0
	s_branch .LBB19_14
.LBB19_13:                              ;   in Loop: Header=BB19_14 Depth=1
	v_lshl_add_u32 v4, v2, 2, s7
	v_add_u32_e32 v2, s21, v2
	v_cmp_lt_u32_e32 vcc, 7, v2
	s_or_b64 s[16:17], vcc, s[16:17]
	v_add_u32_e32 v1, s22, v1
	ds_write_b32 v4, v3
	s_andn2_b64 exec, exec, s[16:17]
	s_cbranch_execz .LBB19_18
.LBB19_14:                              ; =>This Loop Header: Depth=1
                                        ;     Child Loop BB19_16 Depth 2
	s_and_b64 vcc, exec, s[0:1]
	v_mov_b32_e32 v3, 0xff800000
	s_cbranch_vccnz .LBB19_13
; %bb.15:                               ;   in Loop: Header=BB19_14 Depth=1
	v_mul_lo_u32 v4, v2, s11
	v_add_u32_e32 v5, s11, v4
	s_mov_b64 s[18:19], 0
	v_mov_b32_e32 v3, 0xff800000
	v_mov_b32_e32 v6, v1
.LBB19_16:                              ;   Parent Loop BB19_14 Depth=1
                                        ; =>  This Inner Loop Header: Depth=2
	ds_read_b32 v7, v6
	v_add_u32_e32 v4, 1, v4
	v_cmp_ge_i32_e32 vcc, v4, v5
	s_or_b64 s[18:19], vcc, s[18:19]
	v_add_u32_e32 v6, 4, v6
	s_waitcnt lgkmcnt(0)
	v_cmp_gt_f32_e32 vcc, v7, v3
	v_cndmask_b32_e32 v3, v3, v7, vcc
	s_andn2_b64 exec, exec, s[18:19]
	s_cbranch_execnz .LBB19_16
; %bb.17:                               ;   in Loop: Header=BB19_14 Depth=1
	s_or_b64 exec, exec, s[18:19]
	s_branch .LBB19_13
.LBB19_18:
	s_or_b64 exec, exec, s[2:3]
	s_cmp_lt_i32 s10, 1
	s_waitcnt lgkmcnt(0)
	s_barrier
	s_cbranch_scc1 .LBB19_21
; %bb.19:
	v_mov_b32_e32 v1, s7
	s_mov_b32 s0, 0xff800000
	v_mov_b32_e32 v2, 0xff800000
.LBB19_20:                              ; =>This Inner Loop Header: Depth=1
	ds_read2_b32 v[4:5], v1 offset1:1
	ds_read2_b32 v[6:7], v1 offset0:2 offset1:3
	ds_read2_b32 v[8:9], v1 offset0:4 offset1:5
	;; [unrolled: 1-line block ×3, first 2 shown]
	s_waitcnt lgkmcnt(3)
	v_cmp_nlg_f32_e32 vcc, s0, v4
	v_cndmask_b32_e64 v3, 0, 1, vcc
	v_cmp_lg_f32_e32 vcc, s0, v4
	v_readfirstlane_b32 s1, v3
	v_cndmask_b32_e32 v3, v2, v4, vcc
	v_cmp_gt_f32_e32 vcc, v5, v3
	s_lshl_b32 s1, s1, 3
	v_cndmask_b32_e32 v3, v3, v5, vcc
	s_and_b64 s[2:3], vcc, exec
	s_waitcnt lgkmcnt(2)
	v_cmp_gt_f32_e32 vcc, v6, v3
	v_cndmask_b32_e32 v3, v3, v6, vcc
	s_cselect_b32 s1, 1, s1
	s_and_b64 s[2:3], vcc, exec
	v_cmp_gt_f32_e32 vcc, v7, v3
	v_cndmask_b32_e32 v3, v3, v7, vcc
	s_cselect_b32 s1, 2, s1
	s_and_b64 s[2:3], vcc, exec
	s_waitcnt lgkmcnt(1)
	v_cmp_gt_f32_e32 vcc, v8, v3
	v_cndmask_b32_e32 v3, v3, v8, vcc
	s_cselect_b32 s1, 3, s1
	s_and_b64 s[2:3], vcc, exec
	v_cmp_gt_f32_e32 vcc, v9, v3
	v_cndmask_b32_e32 v3, v3, v9, vcc
	s_cselect_b32 s1, 4, s1
	s_and_b64 s[2:3], vcc, exec
	s_waitcnt lgkmcnt(0)
	v_cmp_gt_f32_e32 vcc, v10, v3
	v_cndmask_b32_e32 v3, v3, v10, vcc
	s_cselect_b32 s1, 5, s1
	s_and_b64 s[2:3], vcc, exec
	v_cmp_ngt_f32_e32 vcc, v11, v3
	s_cselect_b32 s1, 6, s1
	s_and_b64 s[2:3], vcc, exec
	s_cselect_b32 s1, s1, 7
	s_lshl_b32 s1, s1, 2
	s_add_i32 s1, s7, s1
	s_add_i32 s10, s10, -1
	v_mov_b32_e32 v3, s1
	s_cmp_lg_u32 s10, 0
	ds_write_b32 v3, v2
	s_cbranch_scc1 .LBB19_20
.LBB19_21:
	s_lshr_b32 s0, s20, 30
	s_add_i32 s0, s8, s0
	s_ashr_i32 s8, s0, 2
	v_cmp_gt_i32_e32 vcc, s8, v0
	v_lshlrev_b32_e32 v1, 2, v0
	v_lshl_add_u32 v6, v0, 4, 0
	s_and_saveexec_b64 s[2:3], vcc
	s_cbranch_execz .LBB19_26
; %bb.22:
	s_abs_i32 s18, s11
	v_cvt_f32_u32_e32 v2, s18
	s_load_dword s0, s[4:5], 0x4c
	s_sub_i32 s1, 0, s18
	s_ashr_i32 s19, s11, 31
	v_rcp_iflag_f32_e32 v2, v2
	v_lshlrev_b32_e32 v7, 2, v0
	s_waitcnt lgkmcnt(0)
	s_and_b32 s20, s0, 0xffff
	v_lshl_add_u32 v8, v0, 4, 0
	v_mul_f32_e32 v2, 0x4f7ffffe, v2
	v_cvt_u32_f32_e32 v2, v2
	s_mov_b64 s[10:11], 0
	s_lshl_b32 s21, s20, 2
	s_lshl_b32 s22, s20, 4
	v_mul_lo_u32 v3, s1, v2
	v_mul_hi_u32 v3, v2, v3
	v_add_u32_e32 v9, v2, v3
	s_mov_b32 s23, 0xff800000
	v_mov_b32_e32 v2, 0xff800000
	v_mov_b32_e32 v10, v0
	s_branch .LBB19_24
.LBB19_23:                              ;   in Loop: Header=BB19_24 Depth=1
	s_or_b64 exec, exec, s[16:17]
	v_add_u32_e32 v10, s20, v10
	v_cmp_le_i32_e64 s[0:1], s8, v10
	v_add_u32_e32 v7, s21, v7
	s_or_b64 s[10:11], s[0:1], s[10:11]
	v_add_u32_e32 v8, s22, v8
	s_andn2_b64 exec, exec, s[10:11]
	s_cbranch_execz .LBB19_26
.LBB19_24:                              ; =>This Inner Loop Header: Depth=1
	v_mul_hi_u32 v3, v7, v9
	v_mul_lo_u32 v4, v3, s18
	v_sub_u32_e32 v4, v7, v4
	v_add_u32_e32 v5, 1, v3
	v_cmp_le_u32_e64 s[0:1], s18, v4
	v_cndmask_b32_e64 v3, v3, v5, s[0:1]
	v_subrev_u32_e32 v5, s18, v4
	v_cndmask_b32_e64 v4, v4, v5, s[0:1]
	v_add_u32_e32 v5, 1, v3
	v_cmp_le_u32_e64 s[0:1], s18, v4
	v_cndmask_b32_e64 v3, v3, v5, s[0:1]
	v_xor_b32_e32 v3, s19, v3
	v_subrev_u32_e32 v3, s19, v3
	v_lshl_add_u32 v3, v3, 2, s7
	ds_read_b32 v3, v3
	s_waitcnt lgkmcnt(0)
	v_cmp_neq_f32_e64 s[0:1], s23, v3
	s_and_saveexec_b64 s[16:17], s[0:1]
	s_cbranch_execz .LBB19_23
; %bb.25:                               ;   in Loop: Header=BB19_24 Depth=1
	v_mov_b32_e32 v3, v2
	v_mov_b32_e32 v4, v2
	;; [unrolled: 1-line block ×3, first 2 shown]
	ds_write_b128 v8, v[2:5]
	s_branch .LBB19_23
.LBB19_26:
	s_or_b64 exec, exec, s[2:3]
	s_cmp_lt_i32 s9, 1
	s_waitcnt lgkmcnt(0)
	s_barrier
	s_cbranch_scc1 .LBB19_33
; %bb.27:
	s_add_u32 s2, s4, 64
	s_addc_u32 s3, s5, 0
	s_mov_b32 s7, 0
	v_mov_b32_e32 v4, 0xff800000
                                        ; implicit-def: $vgpr3
                                        ; implicit-def: $vgpr2
	s_branch .LBB19_29
.LBB19_28:                              ;   in Loop: Header=BB19_29 Depth=1
	s_or_b64 exec, exec, s[10:11]
	v_mov_b32_dpp v9, v7 quad_perm:[1,0,3,2] row_mask:0xf bank_mask:0xf
	v_cmp_lt_f32_e64 s[0:1], v7, v9
	v_cndmask_b32_e64 v7, v7, v9, s[0:1]
	v_mov_b32_dpp v8, v5 quad_perm:[1,0,3,2] row_mask:0xf bank_mask:0xf
	v_cndmask_b32_e64 v5, v5, v8, s[0:1]
	v_mov_b32_dpp v9, v7 quad_perm:[2,3,0,1] row_mask:0xf bank_mask:0xf
	v_cmp_gt_f32_e64 s[0:1], v9, v7
	v_cndmask_b32_e64 v7, v7, v9, s[0:1]
	v_mov_b32_dpp v8, v5 quad_perm:[2,3,0,1] row_mask:0xf bank_mask:0xf
	v_cndmask_b32_e64 v5, v5, v8, s[0:1]
	v_mov_b32_dpp v9, v7 row_half_mirror row_mask:0xf bank_mask:0xf
	v_cmp_gt_f32_e64 s[0:1], v9, v7
	v_cndmask_b32_e64 v7, v7, v9, s[0:1]
	v_mov_b32_dpp v8, v5 row_half_mirror row_mask:0xf bank_mask:0xf
	v_cndmask_b32_e64 v5, v5, v8, s[0:1]
	v_mov_b32_dpp v9, v7 row_mirror row_mask:0xf bank_mask:0xf
	v_cmp_gt_f32_e64 s[0:1], v9, v7
	v_cndmask_b32_e64 v7, v7, v9, s[0:1]
	v_mov_b32_dpp v8, v5 row_mirror row_mask:0xf bank_mask:0xf
	v_cndmask_b32_e64 v5, v5, v8, s[0:1]
	v_mov_b32_dpp v9, v7 row_bcast:15 row_mask:0xf bank_mask:0xf
	v_cmp_gt_f32_e64 s[0:1], v9, v7
	v_mov_b32_dpp v8, v5 row_bcast:15 row_mask:0xf bank_mask:0xf
	v_cndmask_b32_e64 v7, v7, v9, s[0:1]
	v_cndmask_b32_e64 v5, v5, v8, s[0:1]
	s_nop 0
	v_mov_b32_dpp v9, v7 row_bcast:31 row_mask:0xf bank_mask:0xf
	v_mov_b32_dpp v8, v5 row_bcast:31 row_mask:0xf bank_mask:0xf
	v_cmp_gt_f32_e64 s[0:1], v9, v7
	v_cndmask_b32_e64 v5, v5, v8, s[0:1]
	v_cndmask_b32_e64 v7, v7, v9, s[0:1]
	v_readlane_b32 s0, v5, 63
	s_lshl_b32 s1, s0, 2
	s_add_i32 s1, s1, 0
	v_mov_b32_e32 v5, s1
	v_readlane_b32 s10, v7, 63
	ds_write_b32 v5, v4
	v_mov_b32_e32 v5, s0
	v_cmp_eq_u32_e64 s[0:1], s7, v0
	v_cndmask_b32_e64 v2, v2, v5, s[0:1]
	v_mov_b32_e32 v5, s10
	s_add_i32 s7, s7, 1
	s_cmp_eq_u32 s7, s9
	v_cndmask_b32_e64 v3, v3, v5, s[0:1]
	s_cbranch_scc1 .LBB19_34
.LBB19_29:                              ; =>This Loop Header: Depth=1
                                        ;     Child Loop BB19_31 Depth 2
	v_mov_b32_e32 v5, s7
	v_mov_b32_e32 v7, 0xff800000
	s_and_saveexec_b64 s[10:11], vcc
	s_cbranch_execz .LBB19_28
; %bb.30:                               ;   in Loop: Header=BB19_29 Depth=1
	s_load_dword s0, s[2:3], 0xc
	s_mov_b64 s[16:17], 0
	v_mov_b32_e32 v5, s7
	v_mov_b32_e32 v7, 0xff800000
	;; [unrolled: 1-line block ×3, first 2 shown]
	s_waitcnt lgkmcnt(0)
	s_and_b32 s18, s0, 0xffff
	s_lshl_b32 s19, s18, 2
	s_lshl_b32 s20, s18, 4
	v_mov_b32_e32 v9, v1
	v_mov_b32_e32 v10, v0
.LBB19_31:                              ;   Parent Loop BB19_29 Depth=1
                                        ; =>  This Inner Loop Header: Depth=2
	ds_read_b128 v[12:15], v8
	v_add_u32_e32 v10, s18, v10
	v_cmp_le_i32_e64 s[0:1], s8, v10
	s_or_b64 s[16:17], s[0:1], s[16:17]
	v_add_u32_e32 v11, 1, v9
	s_waitcnt lgkmcnt(0)
	v_cmp_gt_f32_e64 s[0:1], v12, v7
	v_cndmask_b32_e64 v7, v7, v12, s[0:1]
	v_cndmask_b32_e64 v5, v5, v9, s[0:1]
	v_cmp_gt_f32_e64 s[0:1], v13, v7
	v_cndmask_b32_e64 v7, v7, v13, s[0:1]
	v_cndmask_b32_e64 v5, v5, v11, s[0:1]
	v_cmp_gt_f32_e64 s[0:1], v14, v7
	v_add_u32_e32 v16, 2, v9
	v_cndmask_b32_e64 v7, v7, v14, s[0:1]
	v_add_u32_e32 v17, 3, v9
	v_cndmask_b32_e64 v5, v5, v16, s[0:1]
	v_cmp_gt_f32_e64 s[0:1], v15, v7
	v_add_u32_e32 v8, s20, v8
	v_add_u32_e32 v9, s19, v9
	v_cndmask_b32_e64 v7, v7, v15, s[0:1]
	v_cndmask_b32_e64 v5, v5, v17, s[0:1]
	s_andn2_b64 exec, exec, s[16:17]
	s_cbranch_execnz .LBB19_31
; %bb.32:                               ;   in Loop: Header=BB19_29 Depth=1
	s_or_b64 exec, exec, s[16:17]
	s_branch .LBB19_28
.LBB19_33:
                                        ; implicit-def: $vgpr3
                                        ; implicit-def: $vgpr2
.LBB19_34:
	v_cmp_gt_i32_e32 vcc, s9, v0
	s_and_saveexec_b64 s[0:1], vcc
	s_cbranch_execz .LBB19_37
; %bb.35:
	s_load_dword s2, s[4:5], 0x38
	s_load_dwordx2 s[0:1], s[4:5], 0x20
	s_ashr_i32 s3, s6, 31
	s_load_dword s4, s[4:5], 0x4c
	v_mov_b32_e32 v4, s13
	s_waitcnt lgkmcnt(0)
	v_mul_f32_e32 v1, s2, v3
	s_mul_i32 s1, s6, s1
	s_mul_hi_u32 s2, s6, s0
	s_add_i32 s1, s2, s1
	s_mul_i32 s3, s3, s0
	s_add_i32 s5, s1, s3
	s_mul_i32 s2, s6, s0
	s_and_b32 s3, s4, 0xffff
	s_mov_b64 s[0:1], 0
	v_mov_b32_e32 v3, s5
	v_mov_b32_e32 v5, s15
.LBB19_36:                              ; =>This Inner Loop Header: Depth=1
	v_ashrrev_i32_e32 v7, 31, v0
	v_add_co_u32_e32 v6, vcc, s2, v0
	v_addc_co_u32_e32 v7, vcc, v3, v7, vcc
	v_add_u32_e32 v0, s3, v0
	v_cmp_le_i32_e32 vcc, s9, v0
	v_lshlrev_b64 v[6:7], 2, v[6:7]
	s_or_b64 s[0:1], vcc, s[0:1]
	v_add_co_u32_e32 v8, vcc, s12, v6
	v_addc_co_u32_e32 v9, vcc, v4, v7, vcc
	v_add_co_u32_e32 v6, vcc, s14, v6
	v_addc_co_u32_e32 v7, vcc, v5, v7, vcc
	global_store_dword v[8:9], v1, off
	global_store_dword v[6:7], v2, off
	s_andn2_b64 exec, exec, s[0:1]
	s_cbranch_execnz .LBB19_36
.LBB19_37:
	s_endpgm
	.section	.rodata,"a",@progbits
	.p2align	6, 0x0
	.amdhsa_kernel _ZN5aiter19grouped_topk_kernelIfDv4_fLi8ELb0ELb0ELb1EEEvPT_PKS2_PfPimiiiif
		.amdhsa_group_segment_fixed_size 0
		.amdhsa_private_segment_fixed_size 0
		.amdhsa_kernarg_size 320
		.amdhsa_user_sgpr_count 6
		.amdhsa_user_sgpr_private_segment_buffer 1
		.amdhsa_user_sgpr_dispatch_ptr 0
		.amdhsa_user_sgpr_queue_ptr 0
		.amdhsa_user_sgpr_kernarg_segment_ptr 1
		.amdhsa_user_sgpr_dispatch_id 0
		.amdhsa_user_sgpr_flat_scratch_init 0
		.amdhsa_user_sgpr_kernarg_preload_length 0
		.amdhsa_user_sgpr_kernarg_preload_offset 0
		.amdhsa_user_sgpr_private_segment_size 0
		.amdhsa_uses_dynamic_stack 0
		.amdhsa_system_sgpr_private_segment_wavefront_offset 0
		.amdhsa_system_sgpr_workgroup_id_x 1
		.amdhsa_system_sgpr_workgroup_id_y 0
		.amdhsa_system_sgpr_workgroup_id_z 0
		.amdhsa_system_sgpr_workgroup_info 0
		.amdhsa_system_vgpr_workitem_id 0
		.amdhsa_next_free_vgpr 18
		.amdhsa_next_free_sgpr 24
		.amdhsa_accum_offset 20
		.amdhsa_reserve_vcc 1
		.amdhsa_reserve_flat_scratch 0
		.amdhsa_float_round_mode_32 0
		.amdhsa_float_round_mode_16_64 0
		.amdhsa_float_denorm_mode_32 3
		.amdhsa_float_denorm_mode_16_64 3
		.amdhsa_dx10_clamp 1
		.amdhsa_ieee_mode 1
		.amdhsa_fp16_overflow 0
		.amdhsa_tg_split 0
		.amdhsa_exception_fp_ieee_invalid_op 0
		.amdhsa_exception_fp_denorm_src 0
		.amdhsa_exception_fp_ieee_div_zero 0
		.amdhsa_exception_fp_ieee_overflow 0
		.amdhsa_exception_fp_ieee_underflow 0
		.amdhsa_exception_fp_ieee_inexact 0
		.amdhsa_exception_int_div_zero 0
	.end_amdhsa_kernel
	.section	.text._ZN5aiter19grouped_topk_kernelIfDv4_fLi8ELb0ELb0ELb1EEEvPT_PKS2_PfPimiiiif,"axG",@progbits,_ZN5aiter19grouped_topk_kernelIfDv4_fLi8ELb0ELb0ELb1EEEvPT_PKS2_PfPimiiiif,comdat
.Lfunc_end19:
	.size	_ZN5aiter19grouped_topk_kernelIfDv4_fLi8ELb0ELb0ELb1EEEvPT_PKS2_PfPimiiiif, .Lfunc_end19-_ZN5aiter19grouped_topk_kernelIfDv4_fLi8ELb0ELb0ELb1EEEvPT_PKS2_PfPimiiiif
                                        ; -- End function
	.section	.AMDGPU.csdata,"",@progbits
; Kernel info:
; codeLenInByte = 2552
; NumSgprs: 28
; NumVgprs: 18
; NumAgprs: 0
; TotalNumVgprs: 18
; ScratchSize: 0
; MemoryBound: 0
; FloatMode: 240
; IeeeMode: 1
; LDSByteSize: 0 bytes/workgroup (compile time only)
; SGPRBlocks: 3
; VGPRBlocks: 2
; NumSGPRsForWavesPerEU: 28
; NumVGPRsForWavesPerEU: 18
; AccumOffset: 20
; Occupancy: 8
; WaveLimiterHint : 0
; COMPUTE_PGM_RSRC2:SCRATCH_EN: 0
; COMPUTE_PGM_RSRC2:USER_SGPR: 6
; COMPUTE_PGM_RSRC2:TRAP_HANDLER: 0
; COMPUTE_PGM_RSRC2:TGID_X_EN: 1
; COMPUTE_PGM_RSRC2:TGID_Y_EN: 0
; COMPUTE_PGM_RSRC2:TGID_Z_EN: 0
; COMPUTE_PGM_RSRC2:TIDIG_COMP_CNT: 0
; COMPUTE_PGM_RSRC3_GFX90A:ACCUM_OFFSET: 4
; COMPUTE_PGM_RSRC3_GFX90A:TG_SPLIT: 0
	.section	.text._ZN5aiter19grouped_topk_kernelIN3c104HalfEDv4_fLi8ELb0ELb0ELb1EEEvPT_PKS4_PfPimiiiif,"axG",@progbits,_ZN5aiter19grouped_topk_kernelIN3c104HalfEDv4_fLi8ELb0ELb0ELb1EEEvPT_PKS4_PfPimiiiif,comdat
	.protected	_ZN5aiter19grouped_topk_kernelIN3c104HalfEDv4_fLi8ELb0ELb0ELb1EEEvPT_PKS4_PfPimiiiif ; -- Begin function _ZN5aiter19grouped_topk_kernelIN3c104HalfEDv4_fLi8ELb0ELb0ELb1EEEvPT_PKS4_PfPimiiiif
	.globl	_ZN5aiter19grouped_topk_kernelIN3c104HalfEDv4_fLi8ELb0ELb0ELb1EEEvPT_PKS4_PfPimiiiif
	.p2align	8
	.type	_ZN5aiter19grouped_topk_kernelIN3c104HalfEDv4_fLi8ELb0ELb0ELb1EEEvPT_PKS4_PfPimiiiif,@function
_ZN5aiter19grouped_topk_kernelIN3c104HalfEDv4_fLi8ELb0ELb0ELb1EEEvPT_PKS4_PfPimiiiif: ; @_ZN5aiter19grouped_topk_kernelIN3c104HalfEDv4_fLi8ELb0ELb0ELb1EEEvPT_PKS4_PfPimiiiif
; %bb.0:
	s_load_dwordx4 s[8:11], s[4:5], 0x28
	s_load_dwordx4 s[12:15], s[4:5], 0x10
	v_mov_b32_e32 v1, 0xff800000
	s_waitcnt lgkmcnt(0)
	v_cmp_gt_i32_e32 vcc, s8, v0
	s_and_saveexec_b64 s[2:3], vcc
	s_cbranch_execz .LBB20_4
; %bb.1:
	s_load_dword s0, s[4:5], 0x4c
	s_load_dwordx2 s[16:17], s[4:5], 0x0
	s_mul_i32 s7, s6, s8
	v_lshl_add_u32 v2, v0, 2, 0
	s_mov_b64 s[18:19], 0
	s_waitcnt lgkmcnt(0)
	s_and_b32 s11, s0, 0xffff
	s_lshl_b32 s20, s11, 2
	v_mov_b32_e32 v1, 0xff800000
	v_mov_b32_e32 v3, s17
	;; [unrolled: 1-line block ×3, first 2 shown]
.LBB20_2:                               ; =>This Inner Loop Header: Depth=1
	v_add_u32_e32 v6, s7, v4
	v_ashrrev_i32_e32 v7, 31, v6
	v_lshlrev_b64 v[6:7], 1, v[6:7]
	v_add_co_u32_e64 v6, s[0:1], s16, v6
	v_addc_co_u32_e64 v7, s[0:1], v3, v7, s[0:1]
	global_load_ushort v5, v[6:7], off
	v_add_u32_e32 v4, s11, v4
	v_cmp_le_i32_e64 s[0:1], s8, v4
	s_or_b64 s[18:19], s[0:1], s[18:19]
	s_waitcnt vmcnt(0)
	v_cvt_f32_f16_e32 v5, v5
	v_cmp_lt_f32_e64 s[0:1], v1, v5
	ds_write_b32 v2, v5
	v_cndmask_b32_e64 v1, v1, v5, s[0:1]
	v_add_u32_e32 v2, s20, v2
	s_andn2_b64 exec, exec, s[18:19]
	s_cbranch_execnz .LBB20_2
; %bb.3:
	s_or_b64 exec, exec, s[18:19]
.LBB20_4:
	s_or_b64 exec, exec, s[2:3]
	v_mov_b32_dpp v2, v1 quad_perm:[1,0,3,2] row_mask:0xf bank_mask:0xf
	v_cmp_lt_f32_e64 s[0:1], v1, v2
	v_cndmask_b32_e64 v1, v1, v2, s[0:1]
	v_bfrev_b32_e32 v3, 0.5
	s_waitcnt lgkmcnt(0)
	v_mov_b32_dpp v2, v1 quad_perm:[2,3,0,1] row_mask:0xf bank_mask:0xf
	v_cmp_lt_f32_e64 s[0:1], v1, v2
	v_cndmask_b32_e64 v1, v1, v2, s[0:1]
	s_barrier
	s_nop 0
	v_mov_b32_dpp v2, v1 row_half_mirror row_mask:0xf bank_mask:0xf
	v_cmp_lt_f32_e64 s[0:1], v1, v2
	v_cndmask_b32_e64 v1, v1, v2, s[0:1]
	s_nop 1
	v_mov_b32_dpp v2, v1 row_mirror row_mask:0xf bank_mask:0xf
	v_cmp_lt_f32_e64 s[0:1], v1, v2
	v_cndmask_b32_e64 v1, v1, v2, s[0:1]
	s_nop 1
	v_mov_b32_dpp v2, v1 row_bcast:15 row_mask:0xf bank_mask:0xf
	v_cmp_lt_f32_e64 s[0:1], v1, v2
	v_cndmask_b32_e64 v1, v1, v2, s[0:1]
	s_nop 1
	v_mov_b32_dpp v2, v1 row_bcast:31 row_mask:0xf bank_mask:0xf
	v_cmp_lt_f32_e64 s[0:1], v1, v2
	v_cndmask_b32_e64 v2, v1, v2, s[0:1]
	v_mbcnt_lo_u32_b32 v1, -1, 0
	v_mbcnt_hi_u32_b32 v1, -1, v1
	v_lshl_or_b32 v1, v1, 2, v3
	ds_bpermute_b32 v3, v1, v2
	v_mov_b32_e32 v2, 0
	s_and_saveexec_b64 s[2:3], vcc
	s_cbranch_execz .LBB20_8
; %bb.5:
	s_load_dword s0, s[4:5], 0x4c
	v_lshl_add_u32 v4, v0, 2, 0
	s_mov_b64 s[16:17], 0
	v_mov_b32_e32 v2, 0
	s_mov_b32 s7, 0x3fb8aa3b
	s_waitcnt lgkmcnt(0)
	s_and_b32 s11, s0, 0xffff
	s_lshl_b32 s18, s11, 2
	s_mov_b32 s19, 0xc2ce8ed0
	s_mov_b32 s20, 0x42b17218
	v_mov_b32_e32 v5, 0x7f800000
	v_mov_b32_e32 v6, v0
.LBB20_6:                               ; =>This Inner Loop Header: Depth=1
	ds_read_b32 v7, v4
	v_add_u32_e32 v6, s11, v6
	s_waitcnt lgkmcnt(0)
	v_sub_f32_e32 v7, v7, v3
	v_mul_f32_e32 v8, 0x3fb8aa3b, v7
	v_fma_f32 v9, v7, s7, -v8
	v_rndne_f32_e32 v10, v8
	v_fmac_f32_e32 v9, 0x32a5705f, v7
	v_sub_f32_e32 v8, v8, v10
	v_add_f32_e32 v8, v8, v9
	v_cvt_i32_f32_e32 v10, v10
	v_exp_f32_e32 v8, v8
	v_cmp_ngt_f32_e64 s[0:1], s19, v7
	v_ldexp_f32 v8, v8, v10
	v_cndmask_b32_e64 v8, 0, v8, s[0:1]
	v_cmp_nlt_f32_e64 s[0:1], s20, v7
	v_cndmask_b32_e64 v7, v5, v8, s[0:1]
	v_cmp_le_i32_e64 s[0:1], s8, v6
	ds_write_b32 v4, v7
	v_add_f32_e32 v2, v2, v7
	s_or_b64 s[16:17], s[0:1], s[16:17]
	v_add_u32_e32 v4, s18, v4
	s_andn2_b64 exec, exec, s[16:17]
	s_cbranch_execnz .LBB20_6
; %bb.7:
	s_or_b64 exec, exec, s[16:17]
.LBB20_8:
	s_or_b64 exec, exec, s[2:3]
	s_waitcnt lgkmcnt(0)
	v_mov_b32_dpp v3, v2 quad_perm:[1,0,3,2] row_mask:0xf bank_mask:0xf
	v_add_f32_e32 v2, v2, v3
	s_barrier
	s_nop 0
	v_mov_b32_dpp v3, v2 quad_perm:[2,3,0,1] row_mask:0xf bank_mask:0xf
	v_add_f32_e32 v2, v2, v3
	s_nop 1
	v_mov_b32_dpp v3, v2 row_half_mirror row_mask:0xf bank_mask:0xf
	v_add_f32_e32 v2, v2, v3
	s_nop 1
	v_mov_b32_dpp v3, v2 row_mirror row_mask:0xf bank_mask:0xf
	v_add_f32_e32 v2, v2, v3
	s_nop 1
	v_mov_b32_dpp v3, v2 row_bcast:15 row_mask:0xf bank_mask:0xf
	v_add_f32_e32 v2, v2, v3
	s_nop 1
	v_mov_b32_dpp v3, v2 row_bcast:31 row_mask:0xf bank_mask:0xf
	v_add_f32_e32 v2, v2, v3
	ds_bpermute_b32 v1, v1, v2
	s_and_saveexec_b64 s[0:1], vcc
	s_cbranch_execz .LBB20_11
; %bb.9:
	s_load_dword s7, s[4:5], 0x4c
	v_lshl_add_u32 v2, v0, 2, 0
	s_mov_b64 s[2:3], 0
	v_mov_b32_e32 v3, v0
	s_waitcnt lgkmcnt(0)
	s_and_b32 s7, s7, 0xffff
	s_lshl_b32 s11, s7, 2
.LBB20_10:                              ; =>This Inner Loop Header: Depth=1
	ds_read_b32 v4, v2
	v_add_u32_e32 v3, s7, v3
	v_cmp_le_i32_e32 vcc, s8, v3
	s_or_b64 s[2:3], vcc, s[2:3]
	s_waitcnt lgkmcnt(0)
	v_div_scale_f32 v5, s[16:17], v1, v1, v4
	v_rcp_f32_e32 v6, v5
	v_div_scale_f32 v7, vcc, v4, v1, v4
	v_fma_f32 v8, -v5, v6, 1.0
	v_fmac_f32_e32 v6, v8, v6
	v_mul_f32_e32 v8, v7, v6
	v_fma_f32 v9, -v5, v8, v7
	v_fmac_f32_e32 v8, v9, v6
	v_fma_f32 v5, -v5, v8, v7
	v_div_fmas_f32 v5, v5, v6, v8
	v_div_fixup_f32 v4, v5, v1, v4
	ds_write_b32 v2, v4
	v_add_u32_e32 v2, s11, v2
	s_andn2_b64 exec, exec, s[2:3]
	s_cbranch_execnz .LBB20_10
.LBB20_11:
	s_or_b64 exec, exec, s[0:1]
	s_ashr_i32 s20, s8, 31
	s_lshr_b32 s0, s20, 29
	s_add_i32 s0, s8, s0
	s_ashr_i32 s11, s0, 3
	s_lshl_b32 s0, s8, 2
	s_add_i32 s7, s0, 0
	v_cmp_gt_u32_e32 vcc, 8, v0
	s_waitcnt lgkmcnt(0)
	s_barrier
	s_and_saveexec_b64 s[2:3], vcc
	s_cbranch_execz .LBB20_18
; %bb.12:
	s_load_dword s0, s[4:5], 0x4c
	v_mul_lo_u32 v1, v0, s11
	v_lshl_add_u32 v1, v1, 2, 0
	s_waitcnt lgkmcnt(0)
	s_and_b32 s21, s0, 0xffff
	s_cmp_gt_i32 s8, 7
	s_cselect_b64 s[0:1], -1, 0
	s_mul_i32 s16, s11, s21
	v_cndmask_b32_e64 v2, 0, 1, s[0:1]
	s_lshl_b32 s22, s16, 2
	s_mov_b64 s[16:17], 0
	v_cmp_ne_u32_e64 s[0:1], 1, v2
	v_mov_b32_e32 v2, v0
	s_branch .LBB20_14
.LBB20_13:                              ;   in Loop: Header=BB20_14 Depth=1
	v_lshl_add_u32 v4, v2, 2, s7
	v_add_u32_e32 v2, s21, v2
	v_cmp_lt_u32_e32 vcc, 7, v2
	s_or_b64 s[16:17], vcc, s[16:17]
	v_add_u32_e32 v1, s22, v1
	ds_write_b32 v4, v3
	s_andn2_b64 exec, exec, s[16:17]
	s_cbranch_execz .LBB20_18
.LBB20_14:                              ; =>This Loop Header: Depth=1
                                        ;     Child Loop BB20_16 Depth 2
	s_and_b64 vcc, exec, s[0:1]
	v_mov_b32_e32 v3, 0xff800000
	s_cbranch_vccnz .LBB20_13
; %bb.15:                               ;   in Loop: Header=BB20_14 Depth=1
	v_mul_lo_u32 v4, v2, s11
	v_add_u32_e32 v5, s11, v4
	s_mov_b64 s[18:19], 0
	v_mov_b32_e32 v3, 0xff800000
	v_mov_b32_e32 v6, v1
.LBB20_16:                              ;   Parent Loop BB20_14 Depth=1
                                        ; =>  This Inner Loop Header: Depth=2
	ds_read_b32 v7, v6
	v_add_u32_e32 v4, 1, v4
	v_cmp_ge_i32_e32 vcc, v4, v5
	s_or_b64 s[18:19], vcc, s[18:19]
	v_add_u32_e32 v6, 4, v6
	s_waitcnt lgkmcnt(0)
	v_cmp_gt_f32_e32 vcc, v7, v3
	v_cndmask_b32_e32 v3, v3, v7, vcc
	s_andn2_b64 exec, exec, s[18:19]
	s_cbranch_execnz .LBB20_16
; %bb.17:                               ;   in Loop: Header=BB20_14 Depth=1
	s_or_b64 exec, exec, s[18:19]
	s_branch .LBB20_13
.LBB20_18:
	s_or_b64 exec, exec, s[2:3]
	s_cmp_lt_i32 s10, 1
	s_waitcnt lgkmcnt(0)
	s_barrier
	s_cbranch_scc1 .LBB20_21
; %bb.19:
	v_mov_b32_e32 v1, s7
	s_mov_b32 s0, 0xff800000
	v_mov_b32_e32 v2, 0xff800000
.LBB20_20:                              ; =>This Inner Loop Header: Depth=1
	ds_read2_b32 v[4:5], v1 offset1:1
	ds_read2_b32 v[6:7], v1 offset0:2 offset1:3
	ds_read2_b32 v[8:9], v1 offset0:4 offset1:5
	;; [unrolled: 1-line block ×3, first 2 shown]
	s_waitcnt lgkmcnt(3)
	v_cmp_nlg_f32_e32 vcc, s0, v4
	v_cndmask_b32_e64 v3, 0, 1, vcc
	v_cmp_lg_f32_e32 vcc, s0, v4
	v_readfirstlane_b32 s1, v3
	v_cndmask_b32_e32 v3, v2, v4, vcc
	v_cmp_gt_f32_e32 vcc, v5, v3
	s_lshl_b32 s1, s1, 3
	v_cndmask_b32_e32 v3, v3, v5, vcc
	s_and_b64 s[2:3], vcc, exec
	s_waitcnt lgkmcnt(2)
	v_cmp_gt_f32_e32 vcc, v6, v3
	v_cndmask_b32_e32 v3, v3, v6, vcc
	s_cselect_b32 s1, 1, s1
	s_and_b64 s[2:3], vcc, exec
	v_cmp_gt_f32_e32 vcc, v7, v3
	v_cndmask_b32_e32 v3, v3, v7, vcc
	s_cselect_b32 s1, 2, s1
	s_and_b64 s[2:3], vcc, exec
	s_waitcnt lgkmcnt(1)
	v_cmp_gt_f32_e32 vcc, v8, v3
	v_cndmask_b32_e32 v3, v3, v8, vcc
	s_cselect_b32 s1, 3, s1
	s_and_b64 s[2:3], vcc, exec
	v_cmp_gt_f32_e32 vcc, v9, v3
	v_cndmask_b32_e32 v3, v3, v9, vcc
	s_cselect_b32 s1, 4, s1
	s_and_b64 s[2:3], vcc, exec
	s_waitcnt lgkmcnt(0)
	v_cmp_gt_f32_e32 vcc, v10, v3
	v_cndmask_b32_e32 v3, v3, v10, vcc
	s_cselect_b32 s1, 5, s1
	s_and_b64 s[2:3], vcc, exec
	v_cmp_ngt_f32_e32 vcc, v11, v3
	s_cselect_b32 s1, 6, s1
	s_and_b64 s[2:3], vcc, exec
	s_cselect_b32 s1, s1, 7
	s_lshl_b32 s1, s1, 2
	s_add_i32 s1, s7, s1
	s_add_i32 s10, s10, -1
	v_mov_b32_e32 v3, s1
	s_cmp_lg_u32 s10, 0
	ds_write_b32 v3, v2
	s_cbranch_scc1 .LBB20_20
.LBB20_21:
	s_lshr_b32 s0, s20, 30
	s_add_i32 s0, s8, s0
	s_ashr_i32 s8, s0, 2
	v_cmp_gt_i32_e32 vcc, s8, v0
	v_lshlrev_b32_e32 v1, 2, v0
	v_lshl_add_u32 v6, v0, 4, 0
	s_and_saveexec_b64 s[2:3], vcc
	s_cbranch_execz .LBB20_26
; %bb.22:
	s_abs_i32 s18, s11
	v_cvt_f32_u32_e32 v2, s18
	s_load_dword s0, s[4:5], 0x4c
	s_sub_i32 s1, 0, s18
	s_ashr_i32 s19, s11, 31
	v_rcp_iflag_f32_e32 v2, v2
	v_lshlrev_b32_e32 v7, 2, v0
	s_waitcnt lgkmcnt(0)
	s_and_b32 s20, s0, 0xffff
	v_lshl_add_u32 v8, v0, 4, 0
	v_mul_f32_e32 v2, 0x4f7ffffe, v2
	v_cvt_u32_f32_e32 v2, v2
	s_mov_b64 s[10:11], 0
	s_lshl_b32 s21, s20, 2
	s_lshl_b32 s22, s20, 4
	v_mul_lo_u32 v3, s1, v2
	v_mul_hi_u32 v3, v2, v3
	v_add_u32_e32 v9, v2, v3
	s_mov_b32 s23, 0xff800000
	v_mov_b32_e32 v2, 0xff800000
	v_mov_b32_e32 v10, v0
	s_branch .LBB20_24
.LBB20_23:                              ;   in Loop: Header=BB20_24 Depth=1
	s_or_b64 exec, exec, s[16:17]
	v_add_u32_e32 v10, s20, v10
	v_cmp_le_i32_e64 s[0:1], s8, v10
	v_add_u32_e32 v7, s21, v7
	s_or_b64 s[10:11], s[0:1], s[10:11]
	v_add_u32_e32 v8, s22, v8
	s_andn2_b64 exec, exec, s[10:11]
	s_cbranch_execz .LBB20_26
.LBB20_24:                              ; =>This Inner Loop Header: Depth=1
	v_mul_hi_u32 v3, v7, v9
	v_mul_lo_u32 v4, v3, s18
	v_sub_u32_e32 v4, v7, v4
	v_add_u32_e32 v5, 1, v3
	v_cmp_le_u32_e64 s[0:1], s18, v4
	v_cndmask_b32_e64 v3, v3, v5, s[0:1]
	v_subrev_u32_e32 v5, s18, v4
	v_cndmask_b32_e64 v4, v4, v5, s[0:1]
	v_add_u32_e32 v5, 1, v3
	v_cmp_le_u32_e64 s[0:1], s18, v4
	v_cndmask_b32_e64 v3, v3, v5, s[0:1]
	v_xor_b32_e32 v3, s19, v3
	v_subrev_u32_e32 v3, s19, v3
	v_lshl_add_u32 v3, v3, 2, s7
	ds_read_b32 v3, v3
	s_waitcnt lgkmcnt(0)
	v_cmp_neq_f32_e64 s[0:1], s23, v3
	s_and_saveexec_b64 s[16:17], s[0:1]
	s_cbranch_execz .LBB20_23
; %bb.25:                               ;   in Loop: Header=BB20_24 Depth=1
	v_mov_b32_e32 v3, v2
	v_mov_b32_e32 v4, v2
	;; [unrolled: 1-line block ×3, first 2 shown]
	ds_write_b128 v8, v[2:5]
	s_branch .LBB20_23
.LBB20_26:
	s_or_b64 exec, exec, s[2:3]
	s_cmp_lt_i32 s9, 1
	s_waitcnt lgkmcnt(0)
	s_barrier
	s_cbranch_scc1 .LBB20_33
; %bb.27:
	s_add_u32 s2, s4, 64
	s_addc_u32 s3, s5, 0
	s_mov_b32 s7, 0
	v_mov_b32_e32 v4, 0xff800000
                                        ; implicit-def: $vgpr3
                                        ; implicit-def: $vgpr2
	s_branch .LBB20_29
.LBB20_28:                              ;   in Loop: Header=BB20_29 Depth=1
	s_or_b64 exec, exec, s[10:11]
	v_mov_b32_dpp v9, v7 quad_perm:[1,0,3,2] row_mask:0xf bank_mask:0xf
	v_cmp_lt_f32_e64 s[0:1], v7, v9
	v_cndmask_b32_e64 v7, v7, v9, s[0:1]
	v_mov_b32_dpp v8, v5 quad_perm:[1,0,3,2] row_mask:0xf bank_mask:0xf
	v_cndmask_b32_e64 v5, v5, v8, s[0:1]
	v_mov_b32_dpp v9, v7 quad_perm:[2,3,0,1] row_mask:0xf bank_mask:0xf
	v_cmp_gt_f32_e64 s[0:1], v9, v7
	v_cndmask_b32_e64 v7, v7, v9, s[0:1]
	v_mov_b32_dpp v8, v5 quad_perm:[2,3,0,1] row_mask:0xf bank_mask:0xf
	v_cndmask_b32_e64 v5, v5, v8, s[0:1]
	v_mov_b32_dpp v9, v7 row_half_mirror row_mask:0xf bank_mask:0xf
	v_cmp_gt_f32_e64 s[0:1], v9, v7
	v_cndmask_b32_e64 v7, v7, v9, s[0:1]
	v_mov_b32_dpp v8, v5 row_half_mirror row_mask:0xf bank_mask:0xf
	v_cndmask_b32_e64 v5, v5, v8, s[0:1]
	v_mov_b32_dpp v9, v7 row_mirror row_mask:0xf bank_mask:0xf
	v_cmp_gt_f32_e64 s[0:1], v9, v7
	v_cndmask_b32_e64 v7, v7, v9, s[0:1]
	v_mov_b32_dpp v8, v5 row_mirror row_mask:0xf bank_mask:0xf
	v_cndmask_b32_e64 v5, v5, v8, s[0:1]
	v_mov_b32_dpp v9, v7 row_bcast:15 row_mask:0xf bank_mask:0xf
	v_cmp_gt_f32_e64 s[0:1], v9, v7
	v_mov_b32_dpp v8, v5 row_bcast:15 row_mask:0xf bank_mask:0xf
	v_cndmask_b32_e64 v7, v7, v9, s[0:1]
	v_cndmask_b32_e64 v5, v5, v8, s[0:1]
	s_nop 0
	v_mov_b32_dpp v9, v7 row_bcast:31 row_mask:0xf bank_mask:0xf
	v_mov_b32_dpp v8, v5 row_bcast:31 row_mask:0xf bank_mask:0xf
	v_cmp_gt_f32_e64 s[0:1], v9, v7
	v_cndmask_b32_e64 v5, v5, v8, s[0:1]
	v_cndmask_b32_e64 v7, v7, v9, s[0:1]
	v_readlane_b32 s0, v5, 63
	s_lshl_b32 s1, s0, 2
	s_add_i32 s1, s1, 0
	v_mov_b32_e32 v5, s1
	v_readlane_b32 s10, v7, 63
	ds_write_b32 v5, v4
	v_mov_b32_e32 v5, s0
	v_cmp_eq_u32_e64 s[0:1], s7, v0
	v_cndmask_b32_e64 v2, v2, v5, s[0:1]
	v_mov_b32_e32 v5, s10
	s_add_i32 s7, s7, 1
	s_cmp_eq_u32 s7, s9
	v_cndmask_b32_e64 v3, v3, v5, s[0:1]
	s_cbranch_scc1 .LBB20_34
.LBB20_29:                              ; =>This Loop Header: Depth=1
                                        ;     Child Loop BB20_31 Depth 2
	v_mov_b32_e32 v5, s7
	v_mov_b32_e32 v7, 0xff800000
	s_and_saveexec_b64 s[10:11], vcc
	s_cbranch_execz .LBB20_28
; %bb.30:                               ;   in Loop: Header=BB20_29 Depth=1
	s_load_dword s0, s[2:3], 0xc
	s_mov_b64 s[16:17], 0
	v_mov_b32_e32 v5, s7
	v_mov_b32_e32 v7, 0xff800000
	;; [unrolled: 1-line block ×3, first 2 shown]
	s_waitcnt lgkmcnt(0)
	s_and_b32 s18, s0, 0xffff
	s_lshl_b32 s19, s18, 2
	s_lshl_b32 s20, s18, 4
	v_mov_b32_e32 v9, v1
	v_mov_b32_e32 v10, v0
.LBB20_31:                              ;   Parent Loop BB20_29 Depth=1
                                        ; =>  This Inner Loop Header: Depth=2
	ds_read_b128 v[12:15], v8
	v_add_u32_e32 v10, s18, v10
	v_cmp_le_i32_e64 s[0:1], s8, v10
	s_or_b64 s[16:17], s[0:1], s[16:17]
	v_add_u32_e32 v11, 1, v9
	s_waitcnt lgkmcnt(0)
	v_cmp_gt_f32_e64 s[0:1], v12, v7
	v_cndmask_b32_e64 v7, v7, v12, s[0:1]
	v_cndmask_b32_e64 v5, v5, v9, s[0:1]
	v_cmp_gt_f32_e64 s[0:1], v13, v7
	v_cndmask_b32_e64 v7, v7, v13, s[0:1]
	v_cndmask_b32_e64 v5, v5, v11, s[0:1]
	v_cmp_gt_f32_e64 s[0:1], v14, v7
	v_add_u32_e32 v16, 2, v9
	v_cndmask_b32_e64 v7, v7, v14, s[0:1]
	v_add_u32_e32 v17, 3, v9
	v_cndmask_b32_e64 v5, v5, v16, s[0:1]
	v_cmp_gt_f32_e64 s[0:1], v15, v7
	v_add_u32_e32 v8, s20, v8
	v_add_u32_e32 v9, s19, v9
	v_cndmask_b32_e64 v7, v7, v15, s[0:1]
	v_cndmask_b32_e64 v5, v5, v17, s[0:1]
	s_andn2_b64 exec, exec, s[16:17]
	s_cbranch_execnz .LBB20_31
; %bb.32:                               ;   in Loop: Header=BB20_29 Depth=1
	s_or_b64 exec, exec, s[16:17]
	s_branch .LBB20_28
.LBB20_33:
                                        ; implicit-def: $vgpr3
                                        ; implicit-def: $vgpr2
.LBB20_34:
	v_cmp_gt_i32_e32 vcc, s9, v0
	s_and_saveexec_b64 s[0:1], vcc
	s_cbranch_execz .LBB20_37
; %bb.35:
	s_load_dword s2, s[4:5], 0x38
	s_load_dwordx2 s[0:1], s[4:5], 0x20
	s_ashr_i32 s3, s6, 31
	s_load_dword s4, s[4:5], 0x4c
	v_mov_b32_e32 v4, s13
	s_waitcnt lgkmcnt(0)
	v_mul_f32_e32 v1, s2, v3
	s_mul_i32 s1, s6, s1
	s_mul_hi_u32 s2, s6, s0
	s_add_i32 s1, s2, s1
	s_mul_i32 s3, s3, s0
	s_add_i32 s5, s1, s3
	s_mul_i32 s2, s6, s0
	s_and_b32 s3, s4, 0xffff
	s_mov_b64 s[0:1], 0
	v_mov_b32_e32 v3, s5
	v_mov_b32_e32 v5, s15
.LBB20_36:                              ; =>This Inner Loop Header: Depth=1
	v_ashrrev_i32_e32 v7, 31, v0
	v_add_co_u32_e32 v6, vcc, s2, v0
	v_addc_co_u32_e32 v7, vcc, v3, v7, vcc
	v_add_u32_e32 v0, s3, v0
	v_cmp_le_i32_e32 vcc, s9, v0
	v_lshlrev_b64 v[6:7], 2, v[6:7]
	s_or_b64 s[0:1], vcc, s[0:1]
	v_add_co_u32_e32 v8, vcc, s12, v6
	v_addc_co_u32_e32 v9, vcc, v4, v7, vcc
	v_add_co_u32_e32 v6, vcc, s14, v6
	v_addc_co_u32_e32 v7, vcc, v5, v7, vcc
	global_store_dword v[8:9], v1, off
	global_store_dword v[6:7], v2, off
	s_andn2_b64 exec, exec, s[0:1]
	s_cbranch_execnz .LBB20_36
.LBB20_37:
	s_endpgm
	.section	.rodata,"a",@progbits
	.p2align	6, 0x0
	.amdhsa_kernel _ZN5aiter19grouped_topk_kernelIN3c104HalfEDv4_fLi8ELb0ELb0ELb1EEEvPT_PKS4_PfPimiiiif
		.amdhsa_group_segment_fixed_size 0
		.amdhsa_private_segment_fixed_size 0
		.amdhsa_kernarg_size 320
		.amdhsa_user_sgpr_count 6
		.amdhsa_user_sgpr_private_segment_buffer 1
		.amdhsa_user_sgpr_dispatch_ptr 0
		.amdhsa_user_sgpr_queue_ptr 0
		.amdhsa_user_sgpr_kernarg_segment_ptr 1
		.amdhsa_user_sgpr_dispatch_id 0
		.amdhsa_user_sgpr_flat_scratch_init 0
		.amdhsa_user_sgpr_kernarg_preload_length 0
		.amdhsa_user_sgpr_kernarg_preload_offset 0
		.amdhsa_user_sgpr_private_segment_size 0
		.amdhsa_uses_dynamic_stack 0
		.amdhsa_system_sgpr_private_segment_wavefront_offset 0
		.amdhsa_system_sgpr_workgroup_id_x 1
		.amdhsa_system_sgpr_workgroup_id_y 0
		.amdhsa_system_sgpr_workgroup_id_z 0
		.amdhsa_system_sgpr_workgroup_info 0
		.amdhsa_system_vgpr_workitem_id 0
		.amdhsa_next_free_vgpr 18
		.amdhsa_next_free_sgpr 24
		.amdhsa_accum_offset 20
		.amdhsa_reserve_vcc 1
		.amdhsa_reserve_flat_scratch 0
		.amdhsa_float_round_mode_32 0
		.amdhsa_float_round_mode_16_64 0
		.amdhsa_float_denorm_mode_32 3
		.amdhsa_float_denorm_mode_16_64 3
		.amdhsa_dx10_clamp 1
		.amdhsa_ieee_mode 1
		.amdhsa_fp16_overflow 0
		.amdhsa_tg_split 0
		.amdhsa_exception_fp_ieee_invalid_op 0
		.amdhsa_exception_fp_denorm_src 0
		.amdhsa_exception_fp_ieee_div_zero 0
		.amdhsa_exception_fp_ieee_overflow 0
		.amdhsa_exception_fp_ieee_underflow 0
		.amdhsa_exception_fp_ieee_inexact 0
		.amdhsa_exception_int_div_zero 0
	.end_amdhsa_kernel
	.section	.text._ZN5aiter19grouped_topk_kernelIN3c104HalfEDv4_fLi8ELb0ELb0ELb1EEEvPT_PKS4_PfPimiiiif,"axG",@progbits,_ZN5aiter19grouped_topk_kernelIN3c104HalfEDv4_fLi8ELb0ELb0ELb1EEEvPT_PKS4_PfPimiiiif,comdat
.Lfunc_end20:
	.size	_ZN5aiter19grouped_topk_kernelIN3c104HalfEDv4_fLi8ELb0ELb0ELb1EEEvPT_PKS4_PfPimiiiif, .Lfunc_end20-_ZN5aiter19grouped_topk_kernelIN3c104HalfEDv4_fLi8ELb0ELb0ELb1EEEvPT_PKS4_PfPimiiiif
                                        ; -- End function
	.section	.AMDGPU.csdata,"",@progbits
; Kernel info:
; codeLenInByte = 2556
; NumSgprs: 28
; NumVgprs: 18
; NumAgprs: 0
; TotalNumVgprs: 18
; ScratchSize: 0
; MemoryBound: 0
; FloatMode: 240
; IeeeMode: 1
; LDSByteSize: 0 bytes/workgroup (compile time only)
; SGPRBlocks: 3
; VGPRBlocks: 2
; NumSGPRsForWavesPerEU: 28
; NumVGPRsForWavesPerEU: 18
; AccumOffset: 20
; Occupancy: 8
; WaveLimiterHint : 0
; COMPUTE_PGM_RSRC2:SCRATCH_EN: 0
; COMPUTE_PGM_RSRC2:USER_SGPR: 6
; COMPUTE_PGM_RSRC2:TRAP_HANDLER: 0
; COMPUTE_PGM_RSRC2:TGID_X_EN: 1
; COMPUTE_PGM_RSRC2:TGID_Y_EN: 0
; COMPUTE_PGM_RSRC2:TGID_Z_EN: 0
; COMPUTE_PGM_RSRC2:TIDIG_COMP_CNT: 0
; COMPUTE_PGM_RSRC3_GFX90A:ACCUM_OFFSET: 4
; COMPUTE_PGM_RSRC3_GFX90A:TG_SPLIT: 0
	.section	.text._ZN5aiter19grouped_topk_kernelIN3c108BFloat16EDv4_fLi8ELb0ELb0ELb1EEEvPT_PKS4_PfPimiiiif,"axG",@progbits,_ZN5aiter19grouped_topk_kernelIN3c108BFloat16EDv4_fLi8ELb0ELb0ELb1EEEvPT_PKS4_PfPimiiiif,comdat
	.protected	_ZN5aiter19grouped_topk_kernelIN3c108BFloat16EDv4_fLi8ELb0ELb0ELb1EEEvPT_PKS4_PfPimiiiif ; -- Begin function _ZN5aiter19grouped_topk_kernelIN3c108BFloat16EDv4_fLi8ELb0ELb0ELb1EEEvPT_PKS4_PfPimiiiif
	.globl	_ZN5aiter19grouped_topk_kernelIN3c108BFloat16EDv4_fLi8ELb0ELb0ELb1EEEvPT_PKS4_PfPimiiiif
	.p2align	8
	.type	_ZN5aiter19grouped_topk_kernelIN3c108BFloat16EDv4_fLi8ELb0ELb0ELb1EEEvPT_PKS4_PfPimiiiif,@function
_ZN5aiter19grouped_topk_kernelIN3c108BFloat16EDv4_fLi8ELb0ELb0ELb1EEEvPT_PKS4_PfPimiiiif: ; @_ZN5aiter19grouped_topk_kernelIN3c108BFloat16EDv4_fLi8ELb0ELb0ELb1EEEvPT_PKS4_PfPimiiiif
; %bb.0:
	s_load_dwordx4 s[8:11], s[4:5], 0x28
	s_load_dwordx4 s[12:15], s[4:5], 0x10
	v_mov_b32_e32 v1, 0xff800000
	s_waitcnt lgkmcnt(0)
	v_cmp_gt_i32_e32 vcc, s8, v0
	s_and_saveexec_b64 s[2:3], vcc
	s_cbranch_execz .LBB21_4
; %bb.1:
	s_load_dword s0, s[4:5], 0x4c
	s_load_dwordx2 s[16:17], s[4:5], 0x0
	s_mul_i32 s7, s6, s8
	v_lshl_add_u32 v2, v0, 2, 0
	s_mov_b64 s[18:19], 0
	s_waitcnt lgkmcnt(0)
	s_and_b32 s11, s0, 0xffff
	s_lshl_b32 s20, s11, 2
	v_mov_b32_e32 v1, 0xff800000
	v_mov_b32_e32 v3, s17
	;; [unrolled: 1-line block ×3, first 2 shown]
.LBB21_2:                               ; =>This Inner Loop Header: Depth=1
	v_add_u32_e32 v6, s7, v4
	v_ashrrev_i32_e32 v7, 31, v6
	v_lshlrev_b64 v[6:7], 1, v[6:7]
	v_add_co_u32_e64 v6, s[0:1], s16, v6
	v_addc_co_u32_e64 v7, s[0:1], v3, v7, s[0:1]
	global_load_ushort v5, v[6:7], off
	v_add_u32_e32 v4, s11, v4
	v_cmp_le_i32_e64 s[0:1], s8, v4
	s_or_b64 s[18:19], s[0:1], s[18:19]
	s_waitcnt vmcnt(0)
	v_lshrrev_b16_e32 v6, 8, v5
	v_and_b32_e32 v5, 0xff, v5
	v_lshlrev_b32_e32 v5, 16, v5
	v_lshl_or_b32 v5, v6, 24, v5
	v_cmp_lt_f32_e64 s[0:1], v1, v5
	ds_write_b32 v2, v5
	v_cndmask_b32_e64 v1, v1, v5, s[0:1]
	v_add_u32_e32 v2, s20, v2
	s_andn2_b64 exec, exec, s[18:19]
	s_cbranch_execnz .LBB21_2
; %bb.3:
	s_or_b64 exec, exec, s[18:19]
.LBB21_4:
	s_or_b64 exec, exec, s[2:3]
	v_mov_b32_dpp v2, v1 quad_perm:[1,0,3,2] row_mask:0xf bank_mask:0xf
	v_cmp_lt_f32_e64 s[0:1], v1, v2
	v_cndmask_b32_e64 v1, v1, v2, s[0:1]
	v_bfrev_b32_e32 v3, 0.5
	s_waitcnt lgkmcnt(0)
	v_mov_b32_dpp v2, v1 quad_perm:[2,3,0,1] row_mask:0xf bank_mask:0xf
	v_cmp_lt_f32_e64 s[0:1], v1, v2
	v_cndmask_b32_e64 v1, v1, v2, s[0:1]
	s_barrier
	s_nop 0
	v_mov_b32_dpp v2, v1 row_half_mirror row_mask:0xf bank_mask:0xf
	v_cmp_lt_f32_e64 s[0:1], v1, v2
	v_cndmask_b32_e64 v1, v1, v2, s[0:1]
	s_nop 1
	v_mov_b32_dpp v2, v1 row_mirror row_mask:0xf bank_mask:0xf
	v_cmp_lt_f32_e64 s[0:1], v1, v2
	v_cndmask_b32_e64 v1, v1, v2, s[0:1]
	s_nop 1
	v_mov_b32_dpp v2, v1 row_bcast:15 row_mask:0xf bank_mask:0xf
	v_cmp_lt_f32_e64 s[0:1], v1, v2
	v_cndmask_b32_e64 v1, v1, v2, s[0:1]
	s_nop 1
	v_mov_b32_dpp v2, v1 row_bcast:31 row_mask:0xf bank_mask:0xf
	v_cmp_lt_f32_e64 s[0:1], v1, v2
	v_cndmask_b32_e64 v2, v1, v2, s[0:1]
	v_mbcnt_lo_u32_b32 v1, -1, 0
	v_mbcnt_hi_u32_b32 v1, -1, v1
	v_lshl_or_b32 v1, v1, 2, v3
	ds_bpermute_b32 v3, v1, v2
	v_mov_b32_e32 v2, 0
	s_and_saveexec_b64 s[2:3], vcc
	s_cbranch_execz .LBB21_8
; %bb.5:
	s_load_dword s0, s[4:5], 0x4c
	v_lshl_add_u32 v4, v0, 2, 0
	s_mov_b64 s[16:17], 0
	v_mov_b32_e32 v2, 0
	s_mov_b32 s7, 0x3fb8aa3b
	s_waitcnt lgkmcnt(0)
	s_and_b32 s11, s0, 0xffff
	s_lshl_b32 s18, s11, 2
	s_mov_b32 s19, 0xc2ce8ed0
	s_mov_b32 s20, 0x42b17218
	v_mov_b32_e32 v5, 0x7f800000
	v_mov_b32_e32 v6, v0
.LBB21_6:                               ; =>This Inner Loop Header: Depth=1
	ds_read_b32 v7, v4
	v_add_u32_e32 v6, s11, v6
	s_waitcnt lgkmcnt(0)
	v_sub_f32_e32 v7, v7, v3
	v_mul_f32_e32 v8, 0x3fb8aa3b, v7
	v_fma_f32 v9, v7, s7, -v8
	v_rndne_f32_e32 v10, v8
	v_fmac_f32_e32 v9, 0x32a5705f, v7
	v_sub_f32_e32 v8, v8, v10
	v_add_f32_e32 v8, v8, v9
	v_cvt_i32_f32_e32 v10, v10
	v_exp_f32_e32 v8, v8
	v_cmp_ngt_f32_e64 s[0:1], s19, v7
	v_ldexp_f32 v8, v8, v10
	v_cndmask_b32_e64 v8, 0, v8, s[0:1]
	v_cmp_nlt_f32_e64 s[0:1], s20, v7
	v_cndmask_b32_e64 v7, v5, v8, s[0:1]
	v_cmp_le_i32_e64 s[0:1], s8, v6
	ds_write_b32 v4, v7
	v_add_f32_e32 v2, v2, v7
	s_or_b64 s[16:17], s[0:1], s[16:17]
	v_add_u32_e32 v4, s18, v4
	s_andn2_b64 exec, exec, s[16:17]
	s_cbranch_execnz .LBB21_6
; %bb.7:
	s_or_b64 exec, exec, s[16:17]
.LBB21_8:
	s_or_b64 exec, exec, s[2:3]
	s_waitcnt lgkmcnt(0)
	v_mov_b32_dpp v3, v2 quad_perm:[1,0,3,2] row_mask:0xf bank_mask:0xf
	v_add_f32_e32 v2, v2, v3
	s_barrier
	s_nop 0
	v_mov_b32_dpp v3, v2 quad_perm:[2,3,0,1] row_mask:0xf bank_mask:0xf
	v_add_f32_e32 v2, v2, v3
	s_nop 1
	v_mov_b32_dpp v3, v2 row_half_mirror row_mask:0xf bank_mask:0xf
	v_add_f32_e32 v2, v2, v3
	s_nop 1
	v_mov_b32_dpp v3, v2 row_mirror row_mask:0xf bank_mask:0xf
	v_add_f32_e32 v2, v2, v3
	s_nop 1
	v_mov_b32_dpp v3, v2 row_bcast:15 row_mask:0xf bank_mask:0xf
	v_add_f32_e32 v2, v2, v3
	s_nop 1
	v_mov_b32_dpp v3, v2 row_bcast:31 row_mask:0xf bank_mask:0xf
	v_add_f32_e32 v2, v2, v3
	ds_bpermute_b32 v1, v1, v2
	s_and_saveexec_b64 s[0:1], vcc
	s_cbranch_execz .LBB21_11
; %bb.9:
	s_load_dword s7, s[4:5], 0x4c
	v_lshl_add_u32 v2, v0, 2, 0
	s_mov_b64 s[2:3], 0
	v_mov_b32_e32 v3, v0
	s_waitcnt lgkmcnt(0)
	s_and_b32 s7, s7, 0xffff
	s_lshl_b32 s11, s7, 2
.LBB21_10:                              ; =>This Inner Loop Header: Depth=1
	ds_read_b32 v4, v2
	v_add_u32_e32 v3, s7, v3
	v_cmp_le_i32_e32 vcc, s8, v3
	s_or_b64 s[2:3], vcc, s[2:3]
	s_waitcnt lgkmcnt(0)
	v_div_scale_f32 v5, s[16:17], v1, v1, v4
	v_rcp_f32_e32 v6, v5
	v_div_scale_f32 v7, vcc, v4, v1, v4
	v_fma_f32 v8, -v5, v6, 1.0
	v_fmac_f32_e32 v6, v8, v6
	v_mul_f32_e32 v8, v7, v6
	v_fma_f32 v9, -v5, v8, v7
	v_fmac_f32_e32 v8, v9, v6
	v_fma_f32 v5, -v5, v8, v7
	v_div_fmas_f32 v5, v5, v6, v8
	v_div_fixup_f32 v4, v5, v1, v4
	ds_write_b32 v2, v4
	v_add_u32_e32 v2, s11, v2
	s_andn2_b64 exec, exec, s[2:3]
	s_cbranch_execnz .LBB21_10
.LBB21_11:
	s_or_b64 exec, exec, s[0:1]
	s_ashr_i32 s20, s8, 31
	s_lshr_b32 s0, s20, 29
	s_add_i32 s0, s8, s0
	s_ashr_i32 s11, s0, 3
	s_lshl_b32 s0, s8, 2
	s_add_i32 s7, s0, 0
	v_cmp_gt_u32_e32 vcc, 8, v0
	s_waitcnt lgkmcnt(0)
	s_barrier
	s_and_saveexec_b64 s[2:3], vcc
	s_cbranch_execz .LBB21_18
; %bb.12:
	s_load_dword s0, s[4:5], 0x4c
	v_mul_lo_u32 v1, v0, s11
	v_lshl_add_u32 v1, v1, 2, 0
	s_waitcnt lgkmcnt(0)
	s_and_b32 s21, s0, 0xffff
	s_cmp_gt_i32 s8, 7
	s_cselect_b64 s[0:1], -1, 0
	s_mul_i32 s16, s11, s21
	v_cndmask_b32_e64 v2, 0, 1, s[0:1]
	s_lshl_b32 s22, s16, 2
	s_mov_b64 s[16:17], 0
	v_cmp_ne_u32_e64 s[0:1], 1, v2
	v_mov_b32_e32 v2, v0
	s_branch .LBB21_14
.LBB21_13:                              ;   in Loop: Header=BB21_14 Depth=1
	v_lshl_add_u32 v4, v2, 2, s7
	v_add_u32_e32 v2, s21, v2
	v_cmp_lt_u32_e32 vcc, 7, v2
	s_or_b64 s[16:17], vcc, s[16:17]
	v_add_u32_e32 v1, s22, v1
	ds_write_b32 v4, v3
	s_andn2_b64 exec, exec, s[16:17]
	s_cbranch_execz .LBB21_18
.LBB21_14:                              ; =>This Loop Header: Depth=1
                                        ;     Child Loop BB21_16 Depth 2
	s_and_b64 vcc, exec, s[0:1]
	v_mov_b32_e32 v3, 0xff800000
	s_cbranch_vccnz .LBB21_13
; %bb.15:                               ;   in Loop: Header=BB21_14 Depth=1
	v_mul_lo_u32 v4, v2, s11
	v_add_u32_e32 v5, s11, v4
	s_mov_b64 s[18:19], 0
	v_mov_b32_e32 v3, 0xff800000
	v_mov_b32_e32 v6, v1
.LBB21_16:                              ;   Parent Loop BB21_14 Depth=1
                                        ; =>  This Inner Loop Header: Depth=2
	ds_read_b32 v7, v6
	v_add_u32_e32 v4, 1, v4
	v_cmp_ge_i32_e32 vcc, v4, v5
	s_or_b64 s[18:19], vcc, s[18:19]
	v_add_u32_e32 v6, 4, v6
	s_waitcnt lgkmcnt(0)
	v_cmp_gt_f32_e32 vcc, v7, v3
	v_cndmask_b32_e32 v3, v3, v7, vcc
	s_andn2_b64 exec, exec, s[18:19]
	s_cbranch_execnz .LBB21_16
; %bb.17:                               ;   in Loop: Header=BB21_14 Depth=1
	s_or_b64 exec, exec, s[18:19]
	s_branch .LBB21_13
.LBB21_18:
	s_or_b64 exec, exec, s[2:3]
	s_cmp_lt_i32 s10, 1
	s_waitcnt lgkmcnt(0)
	s_barrier
	s_cbranch_scc1 .LBB21_21
; %bb.19:
	v_mov_b32_e32 v1, s7
	s_mov_b32 s0, 0xff800000
	v_mov_b32_e32 v2, 0xff800000
.LBB21_20:                              ; =>This Inner Loop Header: Depth=1
	ds_read2_b32 v[4:5], v1 offset1:1
	ds_read2_b32 v[6:7], v1 offset0:2 offset1:3
	ds_read2_b32 v[8:9], v1 offset0:4 offset1:5
	;; [unrolled: 1-line block ×3, first 2 shown]
	s_waitcnt lgkmcnt(3)
	v_cmp_nlg_f32_e32 vcc, s0, v4
	v_cndmask_b32_e64 v3, 0, 1, vcc
	v_cmp_lg_f32_e32 vcc, s0, v4
	v_readfirstlane_b32 s1, v3
	v_cndmask_b32_e32 v3, v2, v4, vcc
	v_cmp_gt_f32_e32 vcc, v5, v3
	s_lshl_b32 s1, s1, 3
	v_cndmask_b32_e32 v3, v3, v5, vcc
	s_and_b64 s[2:3], vcc, exec
	s_waitcnt lgkmcnt(2)
	v_cmp_gt_f32_e32 vcc, v6, v3
	v_cndmask_b32_e32 v3, v3, v6, vcc
	s_cselect_b32 s1, 1, s1
	s_and_b64 s[2:3], vcc, exec
	v_cmp_gt_f32_e32 vcc, v7, v3
	v_cndmask_b32_e32 v3, v3, v7, vcc
	s_cselect_b32 s1, 2, s1
	s_and_b64 s[2:3], vcc, exec
	s_waitcnt lgkmcnt(1)
	v_cmp_gt_f32_e32 vcc, v8, v3
	v_cndmask_b32_e32 v3, v3, v8, vcc
	s_cselect_b32 s1, 3, s1
	s_and_b64 s[2:3], vcc, exec
	v_cmp_gt_f32_e32 vcc, v9, v3
	v_cndmask_b32_e32 v3, v3, v9, vcc
	s_cselect_b32 s1, 4, s1
	s_and_b64 s[2:3], vcc, exec
	s_waitcnt lgkmcnt(0)
	v_cmp_gt_f32_e32 vcc, v10, v3
	v_cndmask_b32_e32 v3, v3, v10, vcc
	s_cselect_b32 s1, 5, s1
	s_and_b64 s[2:3], vcc, exec
	v_cmp_ngt_f32_e32 vcc, v11, v3
	s_cselect_b32 s1, 6, s1
	s_and_b64 s[2:3], vcc, exec
	s_cselect_b32 s1, s1, 7
	s_lshl_b32 s1, s1, 2
	s_add_i32 s1, s7, s1
	s_add_i32 s10, s10, -1
	v_mov_b32_e32 v3, s1
	s_cmp_lg_u32 s10, 0
	ds_write_b32 v3, v2
	s_cbranch_scc1 .LBB21_20
.LBB21_21:
	s_lshr_b32 s0, s20, 30
	s_add_i32 s0, s8, s0
	s_ashr_i32 s8, s0, 2
	v_cmp_gt_i32_e32 vcc, s8, v0
	v_lshlrev_b32_e32 v1, 2, v0
	v_lshl_add_u32 v6, v0, 4, 0
	s_and_saveexec_b64 s[2:3], vcc
	s_cbranch_execz .LBB21_26
; %bb.22:
	s_abs_i32 s18, s11
	v_cvt_f32_u32_e32 v2, s18
	s_load_dword s0, s[4:5], 0x4c
	s_sub_i32 s1, 0, s18
	s_ashr_i32 s19, s11, 31
	v_rcp_iflag_f32_e32 v2, v2
	v_lshlrev_b32_e32 v7, 2, v0
	s_waitcnt lgkmcnt(0)
	s_and_b32 s20, s0, 0xffff
	v_lshl_add_u32 v8, v0, 4, 0
	v_mul_f32_e32 v2, 0x4f7ffffe, v2
	v_cvt_u32_f32_e32 v2, v2
	s_mov_b64 s[10:11], 0
	s_lshl_b32 s21, s20, 2
	s_lshl_b32 s22, s20, 4
	v_mul_lo_u32 v3, s1, v2
	v_mul_hi_u32 v3, v2, v3
	v_add_u32_e32 v9, v2, v3
	s_mov_b32 s23, 0xff800000
	v_mov_b32_e32 v2, 0xff800000
	v_mov_b32_e32 v10, v0
	s_branch .LBB21_24
.LBB21_23:                              ;   in Loop: Header=BB21_24 Depth=1
	s_or_b64 exec, exec, s[16:17]
	v_add_u32_e32 v10, s20, v10
	v_cmp_le_i32_e64 s[0:1], s8, v10
	v_add_u32_e32 v7, s21, v7
	s_or_b64 s[10:11], s[0:1], s[10:11]
	v_add_u32_e32 v8, s22, v8
	s_andn2_b64 exec, exec, s[10:11]
	s_cbranch_execz .LBB21_26
.LBB21_24:                              ; =>This Inner Loop Header: Depth=1
	v_mul_hi_u32 v3, v7, v9
	v_mul_lo_u32 v4, v3, s18
	v_sub_u32_e32 v4, v7, v4
	v_add_u32_e32 v5, 1, v3
	v_cmp_le_u32_e64 s[0:1], s18, v4
	v_cndmask_b32_e64 v3, v3, v5, s[0:1]
	v_subrev_u32_e32 v5, s18, v4
	v_cndmask_b32_e64 v4, v4, v5, s[0:1]
	v_add_u32_e32 v5, 1, v3
	v_cmp_le_u32_e64 s[0:1], s18, v4
	v_cndmask_b32_e64 v3, v3, v5, s[0:1]
	v_xor_b32_e32 v3, s19, v3
	v_subrev_u32_e32 v3, s19, v3
	v_lshl_add_u32 v3, v3, 2, s7
	ds_read_b32 v3, v3
	s_waitcnt lgkmcnt(0)
	v_cmp_neq_f32_e64 s[0:1], s23, v3
	s_and_saveexec_b64 s[16:17], s[0:1]
	s_cbranch_execz .LBB21_23
; %bb.25:                               ;   in Loop: Header=BB21_24 Depth=1
	v_mov_b32_e32 v3, v2
	v_mov_b32_e32 v4, v2
	;; [unrolled: 1-line block ×3, first 2 shown]
	ds_write_b128 v8, v[2:5]
	s_branch .LBB21_23
.LBB21_26:
	s_or_b64 exec, exec, s[2:3]
	s_cmp_lt_i32 s9, 1
	s_waitcnt lgkmcnt(0)
	s_barrier
	s_cbranch_scc1 .LBB21_33
; %bb.27:
	s_add_u32 s2, s4, 64
	s_addc_u32 s3, s5, 0
	s_mov_b32 s7, 0
	v_mov_b32_e32 v4, 0xff800000
                                        ; implicit-def: $vgpr3
                                        ; implicit-def: $vgpr2
	s_branch .LBB21_29
.LBB21_28:                              ;   in Loop: Header=BB21_29 Depth=1
	s_or_b64 exec, exec, s[10:11]
	v_mov_b32_dpp v9, v7 quad_perm:[1,0,3,2] row_mask:0xf bank_mask:0xf
	v_cmp_lt_f32_e64 s[0:1], v7, v9
	v_cndmask_b32_e64 v7, v7, v9, s[0:1]
	v_mov_b32_dpp v8, v5 quad_perm:[1,0,3,2] row_mask:0xf bank_mask:0xf
	v_cndmask_b32_e64 v5, v5, v8, s[0:1]
	v_mov_b32_dpp v9, v7 quad_perm:[2,3,0,1] row_mask:0xf bank_mask:0xf
	v_cmp_gt_f32_e64 s[0:1], v9, v7
	v_cndmask_b32_e64 v7, v7, v9, s[0:1]
	v_mov_b32_dpp v8, v5 quad_perm:[2,3,0,1] row_mask:0xf bank_mask:0xf
	v_cndmask_b32_e64 v5, v5, v8, s[0:1]
	v_mov_b32_dpp v9, v7 row_half_mirror row_mask:0xf bank_mask:0xf
	v_cmp_gt_f32_e64 s[0:1], v9, v7
	v_cndmask_b32_e64 v7, v7, v9, s[0:1]
	v_mov_b32_dpp v8, v5 row_half_mirror row_mask:0xf bank_mask:0xf
	v_cndmask_b32_e64 v5, v5, v8, s[0:1]
	v_mov_b32_dpp v9, v7 row_mirror row_mask:0xf bank_mask:0xf
	v_cmp_gt_f32_e64 s[0:1], v9, v7
	v_cndmask_b32_e64 v7, v7, v9, s[0:1]
	v_mov_b32_dpp v8, v5 row_mirror row_mask:0xf bank_mask:0xf
	v_cndmask_b32_e64 v5, v5, v8, s[0:1]
	v_mov_b32_dpp v9, v7 row_bcast:15 row_mask:0xf bank_mask:0xf
	v_cmp_gt_f32_e64 s[0:1], v9, v7
	v_mov_b32_dpp v8, v5 row_bcast:15 row_mask:0xf bank_mask:0xf
	v_cndmask_b32_e64 v7, v7, v9, s[0:1]
	v_cndmask_b32_e64 v5, v5, v8, s[0:1]
	s_nop 0
	v_mov_b32_dpp v9, v7 row_bcast:31 row_mask:0xf bank_mask:0xf
	v_mov_b32_dpp v8, v5 row_bcast:31 row_mask:0xf bank_mask:0xf
	v_cmp_gt_f32_e64 s[0:1], v9, v7
	v_cndmask_b32_e64 v5, v5, v8, s[0:1]
	v_cndmask_b32_e64 v7, v7, v9, s[0:1]
	v_readlane_b32 s0, v5, 63
	s_lshl_b32 s1, s0, 2
	s_add_i32 s1, s1, 0
	v_mov_b32_e32 v5, s1
	v_readlane_b32 s10, v7, 63
	ds_write_b32 v5, v4
	v_mov_b32_e32 v5, s0
	v_cmp_eq_u32_e64 s[0:1], s7, v0
	v_cndmask_b32_e64 v2, v2, v5, s[0:1]
	v_mov_b32_e32 v5, s10
	s_add_i32 s7, s7, 1
	s_cmp_eq_u32 s7, s9
	v_cndmask_b32_e64 v3, v3, v5, s[0:1]
	s_cbranch_scc1 .LBB21_34
.LBB21_29:                              ; =>This Loop Header: Depth=1
                                        ;     Child Loop BB21_31 Depth 2
	v_mov_b32_e32 v5, s7
	v_mov_b32_e32 v7, 0xff800000
	s_and_saveexec_b64 s[10:11], vcc
	s_cbranch_execz .LBB21_28
; %bb.30:                               ;   in Loop: Header=BB21_29 Depth=1
	s_load_dword s0, s[2:3], 0xc
	s_mov_b64 s[16:17], 0
	v_mov_b32_e32 v5, s7
	v_mov_b32_e32 v7, 0xff800000
	;; [unrolled: 1-line block ×3, first 2 shown]
	s_waitcnt lgkmcnt(0)
	s_and_b32 s18, s0, 0xffff
	s_lshl_b32 s19, s18, 2
	s_lshl_b32 s20, s18, 4
	v_mov_b32_e32 v9, v1
	v_mov_b32_e32 v10, v0
.LBB21_31:                              ;   Parent Loop BB21_29 Depth=1
                                        ; =>  This Inner Loop Header: Depth=2
	ds_read_b128 v[12:15], v8
	v_add_u32_e32 v10, s18, v10
	v_cmp_le_i32_e64 s[0:1], s8, v10
	s_or_b64 s[16:17], s[0:1], s[16:17]
	v_add_u32_e32 v11, 1, v9
	s_waitcnt lgkmcnt(0)
	v_cmp_gt_f32_e64 s[0:1], v12, v7
	v_cndmask_b32_e64 v7, v7, v12, s[0:1]
	v_cndmask_b32_e64 v5, v5, v9, s[0:1]
	v_cmp_gt_f32_e64 s[0:1], v13, v7
	v_cndmask_b32_e64 v7, v7, v13, s[0:1]
	v_cndmask_b32_e64 v5, v5, v11, s[0:1]
	v_cmp_gt_f32_e64 s[0:1], v14, v7
	v_add_u32_e32 v16, 2, v9
	v_cndmask_b32_e64 v7, v7, v14, s[0:1]
	v_add_u32_e32 v17, 3, v9
	v_cndmask_b32_e64 v5, v5, v16, s[0:1]
	v_cmp_gt_f32_e64 s[0:1], v15, v7
	v_add_u32_e32 v8, s20, v8
	v_add_u32_e32 v9, s19, v9
	v_cndmask_b32_e64 v7, v7, v15, s[0:1]
	v_cndmask_b32_e64 v5, v5, v17, s[0:1]
	s_andn2_b64 exec, exec, s[16:17]
	s_cbranch_execnz .LBB21_31
; %bb.32:                               ;   in Loop: Header=BB21_29 Depth=1
	s_or_b64 exec, exec, s[16:17]
	s_branch .LBB21_28
.LBB21_33:
                                        ; implicit-def: $vgpr3
                                        ; implicit-def: $vgpr2
.LBB21_34:
	v_cmp_gt_i32_e32 vcc, s9, v0
	s_and_saveexec_b64 s[0:1], vcc
	s_cbranch_execz .LBB21_37
; %bb.35:
	s_load_dword s2, s[4:5], 0x38
	s_load_dwordx2 s[0:1], s[4:5], 0x20
	s_ashr_i32 s3, s6, 31
	s_load_dword s4, s[4:5], 0x4c
	v_mov_b32_e32 v4, s13
	s_waitcnt lgkmcnt(0)
	v_mul_f32_e32 v1, s2, v3
	s_mul_i32 s1, s6, s1
	s_mul_hi_u32 s2, s6, s0
	s_add_i32 s1, s2, s1
	s_mul_i32 s3, s3, s0
	s_add_i32 s5, s1, s3
	s_mul_i32 s2, s6, s0
	s_and_b32 s3, s4, 0xffff
	s_mov_b64 s[0:1], 0
	v_mov_b32_e32 v3, s5
	v_mov_b32_e32 v5, s15
.LBB21_36:                              ; =>This Inner Loop Header: Depth=1
	v_ashrrev_i32_e32 v7, 31, v0
	v_add_co_u32_e32 v6, vcc, s2, v0
	v_addc_co_u32_e32 v7, vcc, v3, v7, vcc
	v_add_u32_e32 v0, s3, v0
	v_cmp_le_i32_e32 vcc, s9, v0
	v_lshlrev_b64 v[6:7], 2, v[6:7]
	s_or_b64 s[0:1], vcc, s[0:1]
	v_add_co_u32_e32 v8, vcc, s12, v6
	v_addc_co_u32_e32 v9, vcc, v4, v7, vcc
	v_add_co_u32_e32 v6, vcc, s14, v6
	v_addc_co_u32_e32 v7, vcc, v5, v7, vcc
	global_store_dword v[8:9], v1, off
	global_store_dword v[6:7], v2, off
	s_andn2_b64 exec, exec, s[0:1]
	s_cbranch_execnz .LBB21_36
.LBB21_37:
	s_endpgm
	.section	.rodata,"a",@progbits
	.p2align	6, 0x0
	.amdhsa_kernel _ZN5aiter19grouped_topk_kernelIN3c108BFloat16EDv4_fLi8ELb0ELb0ELb1EEEvPT_PKS4_PfPimiiiif
		.amdhsa_group_segment_fixed_size 0
		.amdhsa_private_segment_fixed_size 0
		.amdhsa_kernarg_size 320
		.amdhsa_user_sgpr_count 6
		.amdhsa_user_sgpr_private_segment_buffer 1
		.amdhsa_user_sgpr_dispatch_ptr 0
		.amdhsa_user_sgpr_queue_ptr 0
		.amdhsa_user_sgpr_kernarg_segment_ptr 1
		.amdhsa_user_sgpr_dispatch_id 0
		.amdhsa_user_sgpr_flat_scratch_init 0
		.amdhsa_user_sgpr_kernarg_preload_length 0
		.amdhsa_user_sgpr_kernarg_preload_offset 0
		.amdhsa_user_sgpr_private_segment_size 0
		.amdhsa_uses_dynamic_stack 0
		.amdhsa_system_sgpr_private_segment_wavefront_offset 0
		.amdhsa_system_sgpr_workgroup_id_x 1
		.amdhsa_system_sgpr_workgroup_id_y 0
		.amdhsa_system_sgpr_workgroup_id_z 0
		.amdhsa_system_sgpr_workgroup_info 0
		.amdhsa_system_vgpr_workitem_id 0
		.amdhsa_next_free_vgpr 18
		.amdhsa_next_free_sgpr 24
		.amdhsa_accum_offset 20
		.amdhsa_reserve_vcc 1
		.amdhsa_reserve_flat_scratch 0
		.amdhsa_float_round_mode_32 0
		.amdhsa_float_round_mode_16_64 0
		.amdhsa_float_denorm_mode_32 3
		.amdhsa_float_denorm_mode_16_64 3
		.amdhsa_dx10_clamp 1
		.amdhsa_ieee_mode 1
		.amdhsa_fp16_overflow 0
		.amdhsa_tg_split 0
		.amdhsa_exception_fp_ieee_invalid_op 0
		.amdhsa_exception_fp_denorm_src 0
		.amdhsa_exception_fp_ieee_div_zero 0
		.amdhsa_exception_fp_ieee_overflow 0
		.amdhsa_exception_fp_ieee_underflow 0
		.amdhsa_exception_fp_ieee_inexact 0
		.amdhsa_exception_int_div_zero 0
	.end_amdhsa_kernel
	.section	.text._ZN5aiter19grouped_topk_kernelIN3c108BFloat16EDv4_fLi8ELb0ELb0ELb1EEEvPT_PKS4_PfPimiiiif,"axG",@progbits,_ZN5aiter19grouped_topk_kernelIN3c108BFloat16EDv4_fLi8ELb0ELb0ELb1EEEvPT_PKS4_PfPimiiiif,comdat
.Lfunc_end21:
	.size	_ZN5aiter19grouped_topk_kernelIN3c108BFloat16EDv4_fLi8ELb0ELb0ELb1EEEvPT_PKS4_PfPimiiiif, .Lfunc_end21-_ZN5aiter19grouped_topk_kernelIN3c108BFloat16EDv4_fLi8ELb0ELb0ELb1EEEvPT_PKS4_PfPimiiiif
                                        ; -- End function
	.section	.AMDGPU.csdata,"",@progbits
; Kernel info:
; codeLenInByte = 2576
; NumSgprs: 28
; NumVgprs: 18
; NumAgprs: 0
; TotalNumVgprs: 18
; ScratchSize: 0
; MemoryBound: 0
; FloatMode: 240
; IeeeMode: 1
; LDSByteSize: 0 bytes/workgroup (compile time only)
; SGPRBlocks: 3
; VGPRBlocks: 2
; NumSGPRsForWavesPerEU: 28
; NumVGPRsForWavesPerEU: 18
; AccumOffset: 20
; Occupancy: 8
; WaveLimiterHint : 0
; COMPUTE_PGM_RSRC2:SCRATCH_EN: 0
; COMPUTE_PGM_RSRC2:USER_SGPR: 6
; COMPUTE_PGM_RSRC2:TRAP_HANDLER: 0
; COMPUTE_PGM_RSRC2:TGID_X_EN: 1
; COMPUTE_PGM_RSRC2:TGID_Y_EN: 0
; COMPUTE_PGM_RSRC2:TGID_Z_EN: 0
; COMPUTE_PGM_RSRC2:TIDIG_COMP_CNT: 0
; COMPUTE_PGM_RSRC3_GFX90A:ACCUM_OFFSET: 4
; COMPUTE_PGM_RSRC3_GFX90A:TG_SPLIT: 0
	.section	.text._ZN5aiter19grouped_topk_kernelIfDv4_fLi8ELb0ELb0ELb0EEEvPT_PKS2_PfPimiiiif,"axG",@progbits,_ZN5aiter19grouped_topk_kernelIfDv4_fLi8ELb0ELb0ELb0EEEvPT_PKS2_PfPimiiiif,comdat
	.protected	_ZN5aiter19grouped_topk_kernelIfDv4_fLi8ELb0ELb0ELb0EEEvPT_PKS2_PfPimiiiif ; -- Begin function _ZN5aiter19grouped_topk_kernelIfDv4_fLi8ELb0ELb0ELb0EEEvPT_PKS2_PfPimiiiif
	.globl	_ZN5aiter19grouped_topk_kernelIfDv4_fLi8ELb0ELb0ELb0EEEvPT_PKS2_PfPimiiiif
	.p2align	8
	.type	_ZN5aiter19grouped_topk_kernelIfDv4_fLi8ELb0ELb0ELb0EEEvPT_PKS2_PfPimiiiif,@function
_ZN5aiter19grouped_topk_kernelIfDv4_fLi8ELb0ELb0ELb0EEEvPT_PKS2_PfPimiiiif: ; @_ZN5aiter19grouped_topk_kernelIfDv4_fLi8ELb0ELb0ELb0EEEvPT_PKS2_PfPimiiiif
; %bb.0:
	s_load_dwordx4 s[12:15], s[4:5], 0x28
	s_load_dwordx4 s[16:19], s[4:5], 0x10
	s_waitcnt lgkmcnt(0)
	s_ashr_i32 s15, s12, 31
	s_lshr_b32 s0, s15, 30
	s_add_i32 s0, s12, s0
	s_ashr_i32 s7, s0, 2
	v_cmp_gt_i32_e64 s[0:1], s7, v0
	s_and_saveexec_b64 s[20:21], s[0:1]
	s_cbranch_execz .LBB22_3
; %bb.1:
	s_load_dword s10, s[4:5], 0x4c
	s_load_dwordx2 s[2:3], s[4:5], 0x0
	s_mul_i32 s8, s6, s12
	s_ashr_i32 s9, s8, 31
	s_lshl_b64 s[8:9], s[8:9], 2
	s_waitcnt lgkmcnt(0)
	s_and_b32 s24, s10, 0xffff
	s_add_u32 s2, s2, s8
	v_lshlrev_b32_e32 v1, 4, v0
	s_addc_u32 s3, s3, s9
	s_mov_b32 s11, 0
	v_mov_b32_e32 v2, s3
	v_add_co_u32_e32 v6, vcc, s2, v1
	v_addc_co_u32_e32 v7, vcc, 0, v2, vcc
	s_lshl_b32 s25, s24, 4
	v_add_u32_e32 v1, 0, v1
	s_mov_b64 s[22:23], 0
	s_mov_b32 s26, 0xbfb8aa3b
	s_mov_b32 s27, 0x42ce8ed0
	;; [unrolled: 1-line block ×3, first 2 shown]
	v_mov_b32_e32 v8, 0x7f800000
	v_mov_b32_e32 v9, s11
	;; [unrolled: 1-line block ×3, first 2 shown]
.LBB22_2:                               ; =>This Inner Loop Header: Depth=1
	global_load_dwordx4 v[2:5], v[6:7], off
	v_add_co_u32_e32 v6, vcc, s25, v6
	v_add_u32_e32 v10, s24, v10
	v_addc_co_u32_e32 v7, vcc, v7, v9, vcc
	v_cmp_le_i32_e32 vcc, s7, v10
	s_or_b64 s[22:23], vcc, s[22:23]
	s_waitcnt vmcnt(0)
	v_mul_f32_e32 v11, 0xbfb8aa3b, v3
	v_mul_f32_e32 v12, 0xbfb8aa3b, v2
	v_rndne_f32_e32 v15, v11
	v_fma_f32 v16, v3, s26, -v11
	v_rndne_f32_e32 v17, v12
	v_fma_f32 v18, v2, s26, -v12
	v_mul_f32_e32 v13, 0xbfb8aa3b, v5
	v_mul_f32_e32 v14, 0xbfb8aa3b, v4
	v_sub_f32_e32 v11, v11, v15
	v_fmac_f32_e32 v16, 0xb2a5705f, v3
	v_sub_f32_e32 v12, v12, v17
	v_fmac_f32_e32 v18, 0xb2a5705f, v2
	v_rndne_f32_e32 v19, v13
	v_fma_f32 v20, v5, s26, -v13
	v_rndne_f32_e32 v21, v14
	v_fma_f32 v22, v4, s26, -v14
	v_add_f32_e32 v11, v11, v16
	v_add_f32_e32 v12, v12, v18
	v_cvt_i32_f32_e32 v15, v15
	v_cvt_i32_f32_e32 v17, v17
	v_sub_f32_e32 v13, v13, v19
	v_fmac_f32_e32 v20, 0xb2a5705f, v5
	v_sub_f32_e32 v14, v14, v21
	v_fmac_f32_e32 v22, 0xb2a5705f, v4
	v_exp_f32_e32 v11, v11
	v_exp_f32_e32 v12, v12
	v_add_f32_e32 v13, v13, v20
	v_add_f32_e32 v14, v14, v22
	v_cvt_i32_f32_e32 v19, v19
	v_cvt_i32_f32_e32 v21, v21
	v_exp_f32_e32 v13, v13
	v_exp_f32_e32 v14, v14
	v_ldexp_f32 v11, v11, v15
	v_ldexp_f32 v12, v12, v17
	v_cmp_nlt_f32_e32 vcc, s27, v2
	v_cmp_nlt_f32_e64 s[10:11], s27, v3
	v_cndmask_b32_e64 v11, 0, v11, s[10:11]
	v_cndmask_b32_e32 v12, 0, v12, vcc
	v_cmp_ngt_f32_e32 vcc, s28, v2
	v_cmp_ngt_f32_e64 s[10:11], s28, v3
	v_ldexp_f32 v13, v13, v19
	v_cmp_nlt_f32_e64 s[2:3], s27, v5
	v_ldexp_f32 v14, v14, v21
	v_cmp_nlt_f32_e64 s[8:9], s27, v4
	v_cndmask_b32_e64 v3, v8, v11, s[10:11]
	v_cndmask_b32_e32 v2, v8, v12, vcc
	v_cndmask_b32_e64 v13, 0, v13, s[2:3]
	v_cmp_ngt_f32_e64 s[2:3], s28, v5
	v_cndmask_b32_e64 v14, 0, v14, s[8:9]
	v_cmp_ngt_f32_e64 s[8:9], s28, v4
	v_pk_add_f32 v[2:3], v[2:3], 1.0 op_sel_hi:[1,0]
	v_cndmask_b32_e64 v5, v8, v13, s[2:3]
	v_cndmask_b32_e64 v4, v8, v14, s[8:9]
	v_div_scale_f32 v11, s[2:3], v3, v3, 1.0
	v_pk_add_f32 v[4:5], v[4:5], 1.0 op_sel_hi:[1,0]
	v_div_scale_f32 v13, s[2:3], v2, v2, 1.0
	v_rcp_f32_e32 v19, v11
	v_div_scale_f32 v15, s[8:9], v5, v5, 1.0
	v_rcp_f32_e32 v20, v13
	;; [unrolled: 2-line block ×3, first 2 shown]
	v_rcp_f32_e32 v22, v17
	v_fma_f32 v23, -v11, v19, 1.0
	v_div_scale_f32 v12, vcc, 1.0, v3, 1.0
	v_fma_f32 v24, -v13, v20, 1.0
	v_fmac_f32_e32 v19, v23, v19
	v_div_scale_f32 v14, s[2:3], 1.0, v2, 1.0
	v_fma_f32 v25, -v15, v21, 1.0
	v_fmac_f32_e32 v20, v24, v20
	v_mul_f32_e32 v23, v12, v19
	v_div_scale_f32 v16, s[8:9], 1.0, v5, 1.0
	v_fma_f32 v26, -v17, v22, 1.0
	v_fmac_f32_e32 v21, v25, v21
	v_mul_f32_e32 v24, v14, v20
	v_fma_f32 v27, -v11, v23, v12
	v_div_scale_f32 v18, s[10:11], 1.0, v4, 1.0
	v_fmac_f32_e32 v22, v26, v22
	v_mul_f32_e32 v25, v16, v21
	v_fma_f32 v28, -v13, v24, v14
	v_fmac_f32_e32 v23, v27, v19
	v_mul_f32_e32 v26, v18, v22
	v_fma_f32 v29, -v15, v25, v16
	v_fmac_f32_e32 v24, v28, v20
	v_fma_f32 v11, -v11, v23, v12
	v_fma_f32 v30, -v17, v26, v18
	v_fmac_f32_e32 v25, v29, v21
	v_fma_f32 v12, -v13, v24, v14
	v_div_fmas_f32 v11, v11, v19, v23
	s_mov_b64 vcc, s[2:3]
	v_fmac_f32_e32 v26, v30, v22
	v_fma_f32 v13, -v15, v25, v16
	v_div_fixup_f32 v3, v11, v3, 1.0
	v_div_fmas_f32 v11, v12, v20, v24
	s_mov_b64 vcc, s[8:9]
	v_fma_f32 v14, -v17, v26, v18
	v_div_fixup_f32 v2, v11, v2, 1.0
	v_div_fmas_f32 v11, v13, v21, v25
	s_mov_b64 vcc, s[10:11]
	v_div_fixup_f32 v5, v11, v5, 1.0
	v_div_fmas_f32 v11, v14, v22, v26
	v_div_fixup_f32 v4, v11, v4, 1.0
	ds_write_b128 v1, v[2:5]
	v_add_u32_e32 v1, s25, v1
	s_andn2_b64 exec, exec, s[22:23]
	s_cbranch_execnz .LBB22_2
.LBB22_3:
	s_or_b64 exec, exec, s[20:21]
	s_lshr_b32 s2, s15, 29
	s_add_i32 s2, s12, s2
	s_ashr_i32 s22, s2, 3
	s_lshl_b32 s2, s12, 2
	s_add_i32 s15, s2, 0
	v_cmp_gt_u32_e32 vcc, 8, v0
	s_waitcnt lgkmcnt(0)
	s_barrier
	s_and_saveexec_b64 s[8:9], vcc
	s_cbranch_execz .LBB22_10
; %bb.4:
	s_load_dword s2, s[4:5], 0x4c
	v_mul_lo_u32 v1, v0, s22
	v_lshl_add_u32 v1, v1, 2, 0
	s_waitcnt lgkmcnt(0)
	s_and_b32 s23, s2, 0xffff
	s_cmp_gt_i32 s12, 7
	s_cselect_b64 s[2:3], -1, 0
	s_mul_i32 s10, s22, s23
	v_cndmask_b32_e64 v2, 0, 1, s[2:3]
	s_lshl_b32 s12, s10, 2
	s_mov_b64 s[10:11], 0
	v_cmp_ne_u32_e64 s[2:3], 1, v2
	v_mov_b32_e32 v2, v0
	s_branch .LBB22_6
.LBB22_5:                               ;   in Loop: Header=BB22_6 Depth=1
	v_lshl_add_u32 v4, v2, 2, s15
	v_add_u32_e32 v2, s23, v2
	v_cmp_lt_u32_e32 vcc, 7, v2
	s_or_b64 s[10:11], vcc, s[10:11]
	v_add_u32_e32 v1, s12, v1
	ds_write_b32 v4, v3
	s_andn2_b64 exec, exec, s[10:11]
	s_cbranch_execz .LBB22_10
.LBB22_6:                               ; =>This Loop Header: Depth=1
                                        ;     Child Loop BB22_8 Depth 2
	s_and_b64 vcc, exec, s[2:3]
	v_mov_b32_e32 v3, 0xff800000
	s_cbranch_vccnz .LBB22_5
; %bb.7:                                ;   in Loop: Header=BB22_6 Depth=1
	v_mul_lo_u32 v4, v2, s22
	v_add_u32_e32 v5, s22, v4
	s_mov_b64 s[20:21], 0
	v_mov_b32_e32 v3, 0xff800000
	v_mov_b32_e32 v6, v1
.LBB22_8:                               ;   Parent Loop BB22_6 Depth=1
                                        ; =>  This Inner Loop Header: Depth=2
	ds_read_b32 v7, v6
	v_add_u32_e32 v4, 1, v4
	v_cmp_ge_i32_e32 vcc, v4, v5
	s_or_b64 s[20:21], vcc, s[20:21]
	v_add_u32_e32 v6, 4, v6
	s_waitcnt lgkmcnt(0)
	v_cmp_gt_f32_e32 vcc, v7, v3
	v_cndmask_b32_e32 v3, v3, v7, vcc
	s_andn2_b64 exec, exec, s[20:21]
	s_cbranch_execnz .LBB22_8
; %bb.9:                                ;   in Loop: Header=BB22_6 Depth=1
	s_or_b64 exec, exec, s[20:21]
	s_branch .LBB22_5
.LBB22_10:
	s_or_b64 exec, exec, s[8:9]
	s_cmp_lt_i32 s14, 1
	s_waitcnt lgkmcnt(0)
	s_barrier
	s_cbranch_scc1 .LBB22_13
; %bb.11:
	v_mov_b32_e32 v1, s15
	s_mov_b32 s2, 0xff800000
	v_mov_b32_e32 v2, 0xff800000
.LBB22_12:                              ; =>This Inner Loop Header: Depth=1
	ds_read2_b32 v[4:5], v1 offset1:1
	ds_read2_b32 v[6:7], v1 offset0:2 offset1:3
	ds_read2_b32 v[8:9], v1 offset0:4 offset1:5
	ds_read2_b32 v[10:11], v1 offset0:6 offset1:7
	s_waitcnt lgkmcnt(3)
	v_cmp_nlg_f32_e32 vcc, s2, v4
	v_cndmask_b32_e64 v3, 0, 1, vcc
	v_cmp_lg_f32_e32 vcc, s2, v4
	v_readfirstlane_b32 s3, v3
	v_cndmask_b32_e32 v3, v2, v4, vcc
	v_cmp_gt_f32_e32 vcc, v5, v3
	s_lshl_b32 s3, s3, 3
	v_cndmask_b32_e32 v3, v3, v5, vcc
	s_and_b64 s[8:9], vcc, exec
	s_waitcnt lgkmcnt(2)
	v_cmp_gt_f32_e32 vcc, v6, v3
	v_cndmask_b32_e32 v3, v3, v6, vcc
	s_cselect_b32 s3, 1, s3
	s_and_b64 s[8:9], vcc, exec
	v_cmp_gt_f32_e32 vcc, v7, v3
	v_cndmask_b32_e32 v3, v3, v7, vcc
	s_cselect_b32 s3, 2, s3
	s_and_b64 s[8:9], vcc, exec
	s_waitcnt lgkmcnt(1)
	v_cmp_gt_f32_e32 vcc, v8, v3
	v_cndmask_b32_e32 v3, v3, v8, vcc
	s_cselect_b32 s3, 3, s3
	s_and_b64 s[8:9], vcc, exec
	v_cmp_gt_f32_e32 vcc, v9, v3
	v_cndmask_b32_e32 v3, v3, v9, vcc
	s_cselect_b32 s3, 4, s3
	s_and_b64 s[8:9], vcc, exec
	s_waitcnt lgkmcnt(0)
	v_cmp_gt_f32_e32 vcc, v10, v3
	v_cndmask_b32_e32 v3, v3, v10, vcc
	s_cselect_b32 s3, 5, s3
	s_and_b64 s[8:9], vcc, exec
	v_cmp_ngt_f32_e32 vcc, v11, v3
	s_cselect_b32 s3, 6, s3
	s_and_b64 s[8:9], vcc, exec
	s_cselect_b32 s3, s3, 7
	s_lshl_b32 s3, s3, 2
	s_add_i32 s3, s15, s3
	s_add_i32 s14, s14, -1
	v_mov_b32_e32 v3, s3
	s_cmp_lg_u32 s14, 0
	ds_write_b32 v3, v2
	s_cbranch_scc1 .LBB22_12
.LBB22_13:
	v_lshlrev_b32_e32 v1, 2, v0
	v_lshl_add_u32 v6, v0, 4, 0
	s_and_saveexec_b64 s[2:3], s[0:1]
	s_cbranch_execz .LBB22_18
; %bb.14:
	s_abs_i32 s12, s22
	v_cvt_f32_u32_e32 v2, s12
	s_load_dword s10, s[4:5], 0x4c
	s_sub_i32 s11, 0, s12
	s_ashr_i32 s14, s22, 31
	v_rcp_iflag_f32_e32 v2, v2
	v_lshlrev_b32_e32 v7, 2, v0
	s_waitcnt lgkmcnt(0)
	s_and_b32 s20, s10, 0xffff
	v_lshl_add_u32 v8, v0, 4, 0
	v_mul_f32_e32 v2, 0x4f7ffffe, v2
	v_cvt_u32_f32_e32 v2, v2
	s_mov_b64 s[8:9], 0
	s_lshl_b32 s21, s20, 2
	s_lshl_b32 s22, s20, 4
	v_mul_lo_u32 v3, s11, v2
	v_mul_hi_u32 v3, v2, v3
	v_add_u32_e32 v9, v2, v3
	s_mov_b32 s23, 0xff800000
	v_mov_b32_e32 v2, 0xff800000
	v_mov_b32_e32 v10, v0
	s_branch .LBB22_16
.LBB22_15:                              ;   in Loop: Header=BB22_16 Depth=1
	s_or_b64 exec, exec, s[10:11]
	v_add_u32_e32 v10, s20, v10
	v_cmp_le_i32_e32 vcc, s7, v10
	v_add_u32_e32 v7, s21, v7
	s_or_b64 s[8:9], vcc, s[8:9]
	v_add_u32_e32 v8, s22, v8
	s_andn2_b64 exec, exec, s[8:9]
	s_cbranch_execz .LBB22_18
.LBB22_16:                              ; =>This Inner Loop Header: Depth=1
	v_mul_hi_u32 v3, v7, v9
	v_mul_lo_u32 v4, v3, s12
	v_sub_u32_e32 v4, v7, v4
	v_add_u32_e32 v5, 1, v3
	v_cmp_le_u32_e32 vcc, s12, v4
	v_cndmask_b32_e32 v3, v3, v5, vcc
	v_subrev_u32_e32 v5, s12, v4
	v_cndmask_b32_e32 v4, v4, v5, vcc
	v_add_u32_e32 v5, 1, v3
	v_cmp_le_u32_e32 vcc, s12, v4
	v_cndmask_b32_e32 v3, v3, v5, vcc
	v_xor_b32_e32 v3, s14, v3
	v_subrev_u32_e32 v3, s14, v3
	v_lshl_add_u32 v3, v3, 2, s15
	ds_read_b32 v3, v3
	s_waitcnt lgkmcnt(0)
	v_cmp_neq_f32_e32 vcc, s23, v3
	s_and_saveexec_b64 s[10:11], vcc
	s_cbranch_execz .LBB22_15
; %bb.17:                               ;   in Loop: Header=BB22_16 Depth=1
	v_mov_b32_e32 v3, v2
	v_mov_b32_e32 v4, v2
	;; [unrolled: 1-line block ×3, first 2 shown]
	ds_write_b128 v8, v[2:5]
	s_branch .LBB22_15
.LBB22_18:
	s_or_b64 exec, exec, s[2:3]
	s_cmp_lt_i32 s13, 1
	s_waitcnt lgkmcnt(0)
	s_barrier
	s_cbranch_scc1 .LBB22_25
; %bb.19:
	s_add_u32 s2, s4, 64
	s_addc_u32 s3, s5, 0
	s_mov_b32 s12, 0
	v_mov_b32_e32 v4, 0xff800000
                                        ; implicit-def: $vgpr3
                                        ; implicit-def: $vgpr2
	s_branch .LBB22_21
.LBB22_20:                              ;   in Loop: Header=BB22_21 Depth=1
	s_or_b64 exec, exec, s[8:9]
	v_mov_b32_dpp v9, v7 quad_perm:[1,0,3,2] row_mask:0xf bank_mask:0xf
	v_cmp_lt_f32_e32 vcc, v7, v9
	v_cndmask_b32_e32 v7, v7, v9, vcc
	v_mov_b32_dpp v8, v5 quad_perm:[1,0,3,2] row_mask:0xf bank_mask:0xf
	v_cndmask_b32_e32 v5, v5, v8, vcc
	v_mov_b32_dpp v9, v7 quad_perm:[2,3,0,1] row_mask:0xf bank_mask:0xf
	v_cmp_gt_f32_e32 vcc, v9, v7
	v_cndmask_b32_e32 v7, v7, v9, vcc
	v_mov_b32_dpp v8, v5 quad_perm:[2,3,0,1] row_mask:0xf bank_mask:0xf
	v_cndmask_b32_e32 v5, v5, v8, vcc
	v_mov_b32_dpp v9, v7 row_half_mirror row_mask:0xf bank_mask:0xf
	v_cmp_gt_f32_e32 vcc, v9, v7
	v_cndmask_b32_e32 v7, v7, v9, vcc
	v_mov_b32_dpp v8, v5 row_half_mirror row_mask:0xf bank_mask:0xf
	v_cndmask_b32_e32 v5, v5, v8, vcc
	v_mov_b32_dpp v9, v7 row_mirror row_mask:0xf bank_mask:0xf
	v_cmp_gt_f32_e32 vcc, v9, v7
	v_cndmask_b32_e32 v7, v7, v9, vcc
	v_mov_b32_dpp v8, v5 row_mirror row_mask:0xf bank_mask:0xf
	v_cndmask_b32_e32 v5, v5, v8, vcc
	v_mov_b32_dpp v9, v7 row_bcast:15 row_mask:0xf bank_mask:0xf
	v_cmp_gt_f32_e32 vcc, v9, v7
	v_mov_b32_dpp v8, v5 row_bcast:15 row_mask:0xf bank_mask:0xf
	v_cndmask_b32_e32 v7, v7, v9, vcc
	v_cndmask_b32_e32 v5, v5, v8, vcc
	s_nop 0
	v_mov_b32_dpp v9, v7 row_bcast:31 row_mask:0xf bank_mask:0xf
	v_mov_b32_dpp v8, v5 row_bcast:31 row_mask:0xf bank_mask:0xf
	v_cmp_gt_f32_e32 vcc, v9, v7
	v_cndmask_b32_e32 v5, v5, v8, vcc
	v_readlane_b32 s9, v5, 63
	s_lshl_b32 s10, s9, 2
	s_add_i32 s10, s10, 0
	v_cndmask_b32_e32 v7, v7, v9, vcc
	v_mov_b32_e32 v5, s10
	v_readlane_b32 s8, v7, 63
	ds_write_b32 v5, v4
	v_mov_b32_e32 v5, s9
	v_cmp_eq_u32_e32 vcc, s12, v0
	v_cndmask_b32_e32 v2, v2, v5, vcc
	v_mov_b32_e32 v5, s8
	s_add_i32 s12, s12, 1
	s_cmp_eq_u32 s12, s13
	v_cndmask_b32_e32 v3, v3, v5, vcc
	s_cbranch_scc1 .LBB22_26
.LBB22_21:                              ; =>This Loop Header: Depth=1
                                        ;     Child Loop BB22_23 Depth 2
	v_mov_b32_e32 v5, s12
	v_mov_b32_e32 v7, 0xff800000
	s_and_saveexec_b64 s[8:9], s[0:1]
	s_cbranch_execz .LBB22_20
; %bb.22:                               ;   in Loop: Header=BB22_21 Depth=1
	s_load_dword s14, s[2:3], 0xc
	s_mov_b64 s[10:11], 0
	v_mov_b32_e32 v5, s12
	v_mov_b32_e32 v7, 0xff800000
	;; [unrolled: 1-line block ×3, first 2 shown]
	s_waitcnt lgkmcnt(0)
	s_and_b32 s14, s14, 0xffff
	s_lshl_b32 s15, s14, 2
	s_lshl_b32 s20, s14, 4
	v_mov_b32_e32 v9, v1
	v_mov_b32_e32 v10, v0
.LBB22_23:                              ;   Parent Loop BB22_21 Depth=1
                                        ; =>  This Inner Loop Header: Depth=2
	ds_read_b128 v[12:15], v8
	v_add_u32_e32 v10, s14, v10
	v_cmp_le_i32_e32 vcc, s7, v10
	s_or_b64 s[10:11], vcc, s[10:11]
	v_add_u32_e32 v11, 1, v9
	s_waitcnt lgkmcnt(0)
	v_cmp_gt_f32_e32 vcc, v12, v7
	v_cndmask_b32_e32 v7, v7, v12, vcc
	v_cndmask_b32_e32 v5, v5, v9, vcc
	v_cmp_gt_f32_e32 vcc, v13, v7
	v_cndmask_b32_e32 v7, v7, v13, vcc
	v_cndmask_b32_e32 v5, v5, v11, vcc
	v_cmp_gt_f32_e32 vcc, v14, v7
	v_add_u32_e32 v16, 2, v9
	v_cndmask_b32_e32 v7, v7, v14, vcc
	v_add_u32_e32 v17, 3, v9
	v_cndmask_b32_e32 v5, v5, v16, vcc
	v_cmp_gt_f32_e32 vcc, v15, v7
	v_add_u32_e32 v8, s20, v8
	v_add_u32_e32 v9, s15, v9
	v_cndmask_b32_e32 v7, v7, v15, vcc
	v_cndmask_b32_e32 v5, v5, v17, vcc
	s_andn2_b64 exec, exec, s[10:11]
	s_cbranch_execnz .LBB22_23
; %bb.24:                               ;   in Loop: Header=BB22_21 Depth=1
	s_or_b64 exec, exec, s[10:11]
	s_branch .LBB22_20
.LBB22_25:
                                        ; implicit-def: $vgpr3
                                        ; implicit-def: $vgpr2
.LBB22_26:
	v_cmp_gt_i32_e32 vcc, s13, v0
	s_and_saveexec_b64 s[0:1], vcc
	s_cbranch_execz .LBB22_29
; %bb.27:
	s_load_dword s2, s[4:5], 0x38
	s_load_dwordx2 s[0:1], s[4:5], 0x20
	s_ashr_i32 s3, s6, 31
	s_load_dword s4, s[4:5], 0x4c
	v_mov_b32_e32 v4, s17
	s_waitcnt lgkmcnt(0)
	v_mul_f32_e32 v1, s2, v3
	s_mul_i32 s1, s6, s1
	s_mul_hi_u32 s2, s6, s0
	s_add_i32 s1, s2, s1
	s_mul_i32 s3, s3, s0
	s_add_i32 s5, s1, s3
	s_mul_i32 s2, s6, s0
	s_and_b32 s3, s4, 0xffff
	s_mov_b64 s[0:1], 0
	v_mov_b32_e32 v3, s5
	v_mov_b32_e32 v5, s19
.LBB22_28:                              ; =>This Inner Loop Header: Depth=1
	v_ashrrev_i32_e32 v7, 31, v0
	v_add_co_u32_e32 v6, vcc, s2, v0
	v_addc_co_u32_e32 v7, vcc, v3, v7, vcc
	v_add_u32_e32 v0, s3, v0
	v_cmp_le_i32_e32 vcc, s13, v0
	v_lshlrev_b64 v[6:7], 2, v[6:7]
	s_or_b64 s[0:1], vcc, s[0:1]
	v_add_co_u32_e32 v8, vcc, s16, v6
	v_addc_co_u32_e32 v9, vcc, v4, v7, vcc
	v_add_co_u32_e32 v6, vcc, s18, v6
	v_addc_co_u32_e32 v7, vcc, v5, v7, vcc
	global_store_dword v[8:9], v1, off
	global_store_dword v[6:7], v2, off
	s_andn2_b64 exec, exec, s[0:1]
	s_cbranch_execnz .LBB22_28
.LBB22_29:
	s_endpgm
	.section	.rodata,"a",@progbits
	.p2align	6, 0x0
	.amdhsa_kernel _ZN5aiter19grouped_topk_kernelIfDv4_fLi8ELb0ELb0ELb0EEEvPT_PKS2_PfPimiiiif
		.amdhsa_group_segment_fixed_size 0
		.amdhsa_private_segment_fixed_size 0
		.amdhsa_kernarg_size 320
		.amdhsa_user_sgpr_count 6
		.amdhsa_user_sgpr_private_segment_buffer 1
		.amdhsa_user_sgpr_dispatch_ptr 0
		.amdhsa_user_sgpr_queue_ptr 0
		.amdhsa_user_sgpr_kernarg_segment_ptr 1
		.amdhsa_user_sgpr_dispatch_id 0
		.amdhsa_user_sgpr_flat_scratch_init 0
		.amdhsa_user_sgpr_kernarg_preload_length 0
		.amdhsa_user_sgpr_kernarg_preload_offset 0
		.amdhsa_user_sgpr_private_segment_size 0
		.amdhsa_uses_dynamic_stack 0
		.amdhsa_system_sgpr_private_segment_wavefront_offset 0
		.amdhsa_system_sgpr_workgroup_id_x 1
		.amdhsa_system_sgpr_workgroup_id_y 0
		.amdhsa_system_sgpr_workgroup_id_z 0
		.amdhsa_system_sgpr_workgroup_info 0
		.amdhsa_system_vgpr_workitem_id 0
		.amdhsa_next_free_vgpr 31
		.amdhsa_next_free_sgpr 29
		.amdhsa_accum_offset 32
		.amdhsa_reserve_vcc 1
		.amdhsa_reserve_flat_scratch 0
		.amdhsa_float_round_mode_32 0
		.amdhsa_float_round_mode_16_64 0
		.amdhsa_float_denorm_mode_32 3
		.amdhsa_float_denorm_mode_16_64 3
		.amdhsa_dx10_clamp 1
		.amdhsa_ieee_mode 1
		.amdhsa_fp16_overflow 0
		.amdhsa_tg_split 0
		.amdhsa_exception_fp_ieee_invalid_op 0
		.amdhsa_exception_fp_denorm_src 0
		.amdhsa_exception_fp_ieee_div_zero 0
		.amdhsa_exception_fp_ieee_overflow 0
		.amdhsa_exception_fp_ieee_underflow 0
		.amdhsa_exception_fp_ieee_inexact 0
		.amdhsa_exception_int_div_zero 0
	.end_amdhsa_kernel
	.section	.text._ZN5aiter19grouped_topk_kernelIfDv4_fLi8ELb0ELb0ELb0EEEvPT_PKS2_PfPimiiiif,"axG",@progbits,_ZN5aiter19grouped_topk_kernelIfDv4_fLi8ELb0ELb0ELb0EEEvPT_PKS2_PfPimiiiif,comdat
.Lfunc_end22:
	.size	_ZN5aiter19grouped_topk_kernelIfDv4_fLi8ELb0ELb0ELb0EEEvPT_PKS2_PfPimiiiif, .Lfunc_end22-_ZN5aiter19grouped_topk_kernelIfDv4_fLi8ELb0ELb0ELb0EEEvPT_PKS2_PfPimiiiif
                                        ; -- End function
	.section	.AMDGPU.csdata,"",@progbits
; Kernel info:
; codeLenInByte = 2308
; NumSgprs: 33
; NumVgprs: 31
; NumAgprs: 0
; TotalNumVgprs: 31
; ScratchSize: 0
; MemoryBound: 0
; FloatMode: 240
; IeeeMode: 1
; LDSByteSize: 0 bytes/workgroup (compile time only)
; SGPRBlocks: 4
; VGPRBlocks: 3
; NumSGPRsForWavesPerEU: 33
; NumVGPRsForWavesPerEU: 31
; AccumOffset: 32
; Occupancy: 8
; WaveLimiterHint : 0
; COMPUTE_PGM_RSRC2:SCRATCH_EN: 0
; COMPUTE_PGM_RSRC2:USER_SGPR: 6
; COMPUTE_PGM_RSRC2:TRAP_HANDLER: 0
; COMPUTE_PGM_RSRC2:TGID_X_EN: 1
; COMPUTE_PGM_RSRC2:TGID_Y_EN: 0
; COMPUTE_PGM_RSRC2:TGID_Z_EN: 0
; COMPUTE_PGM_RSRC2:TIDIG_COMP_CNT: 0
; COMPUTE_PGM_RSRC3_GFX90A:ACCUM_OFFSET: 7
; COMPUTE_PGM_RSRC3_GFX90A:TG_SPLIT: 0
	.section	.text._ZN5aiter19grouped_topk_kernelIN3c104HalfEDv4_fLi8ELb0ELb0ELb0EEEvPT_PKS4_PfPimiiiif,"axG",@progbits,_ZN5aiter19grouped_topk_kernelIN3c104HalfEDv4_fLi8ELb0ELb0ELb0EEEvPT_PKS4_PfPimiiiif,comdat
	.protected	_ZN5aiter19grouped_topk_kernelIN3c104HalfEDv4_fLi8ELb0ELb0ELb0EEEvPT_PKS4_PfPimiiiif ; -- Begin function _ZN5aiter19grouped_topk_kernelIN3c104HalfEDv4_fLi8ELb0ELb0ELb0EEEvPT_PKS4_PfPimiiiif
	.globl	_ZN5aiter19grouped_topk_kernelIN3c104HalfEDv4_fLi8ELb0ELb0ELb0EEEvPT_PKS4_PfPimiiiif
	.p2align	8
	.type	_ZN5aiter19grouped_topk_kernelIN3c104HalfEDv4_fLi8ELb0ELb0ELb0EEEvPT_PKS4_PfPimiiiif,@function
_ZN5aiter19grouped_topk_kernelIN3c104HalfEDv4_fLi8ELb0ELb0ELb0EEEvPT_PKS4_PfPimiiiif: ; @_ZN5aiter19grouped_topk_kernelIN3c104HalfEDv4_fLi8ELb0ELb0ELb0EEEvPT_PKS4_PfPimiiiif
; %bb.0:
	s_load_dwordx4 s[12:15], s[4:5], 0x28
	s_load_dwordx4 s[16:19], s[4:5], 0x10
	v_lshl_add_u32 v1, v0, 4, 0
	s_waitcnt lgkmcnt(0)
	s_ashr_i32 s15, s12, 31
	s_lshr_b32 s0, s15, 30
	s_add_i32 s0, s12, s0
	s_ashr_i32 s7, s0, 2
	v_cmp_gt_i32_e64 s[0:1], s7, v0
	s_and_saveexec_b64 s[20:21], s[0:1]
	s_cbranch_execz .LBB23_3
; %bb.1:
	s_load_dword s10, s[4:5], 0x4c
	s_load_dwordx2 s[2:3], s[4:5], 0x0
	s_mul_i32 s8, s6, s12
	s_ashr_i32 s9, s8, 31
	s_lshl_b64 s[8:9], s[8:9], 1
	s_waitcnt lgkmcnt(0)
	s_and_b32 s24, s10, 0xffff
	s_add_u32 s2, s2, s8
	v_lshlrev_b32_e32 v2, 3, v0
	s_addc_u32 s3, s3, s9
	s_mov_b32 s10, 0
	v_mov_b32_e32 v3, s3
	v_add_co_u32_e32 v2, vcc, s2, v2
	v_addc_co_u32_e32 v3, vcc, 0, v3, vcc
	s_lshl_b32 s25, s24, 3
	v_lshl_add_u32 v6, v0, 4, 0
	s_lshl_b32 s26, s24, 4
	s_mov_b64 s[22:23], 0
	s_mov_b32 s27, 0x3fb8aa3b
	s_mov_b32 s28, 0x32a5705f
	;; [unrolled: 1-line block ×4, first 2 shown]
	v_mov_b32_e32 v7, 0x7f800000
	v_mov_b32_e32 v8, s10
	;; [unrolled: 1-line block ×3, first 2 shown]
.LBB23_2:                               ; =>This Inner Loop Header: Depth=1
	global_load_dwordx2 v[4:5], v[2:3], off
	v_add_co_u32_e32 v2, vcc, s25, v2
	v_add_u32_e32 v9, s24, v9
	v_addc_co_u32_e32 v3, vcc, v3, v8, vcc
	v_cmp_le_i32_e32 vcc, s7, v9
	s_or_b64 s[22:23], vcc, s[22:23]
	s_waitcnt vmcnt(0)
	v_cvt_f32_f16_e64 v10, -v5
	v_cvt_f32_f16_sdwa v11, -v5 dst_sel:DWORD dst_unused:UNUSED_PAD src0_sel:WORD_1
	v_cvt_f32_f16_e64 v12, -v4
	v_cvt_f32_f16_sdwa v13, -v4 dst_sel:DWORD dst_unused:UNUSED_PAD src0_sel:WORD_1
	v_mul_f32_e32 v14, 0x3fb8aa3b, v10
	v_mul_f32_e32 v15, 0x3fb8aa3b, v11
	;; [unrolled: 1-line block ×4, first 2 shown]
	v_rndne_f32_e32 v18, v14
	v_fma_mix_f32 v19, -v5, s27, -v14 op_sel_hi:[1,0,0]
	v_rndne_f32_e32 v20, v15
	v_fma_mix_f32 v21, -v5, s27, -v15 op_sel:[1,0,0] op_sel_hi:[1,0,0]
	v_rndne_f32_e32 v22, v16
	v_fma_mix_f32 v23, -v4, s27, -v16 op_sel_hi:[1,0,0]
	v_rndne_f32_e32 v24, v17
	v_fma_mix_f32 v25, -v4, s27, -v17 op_sel:[1,0,0] op_sel_hi:[1,0,0]
	v_sub_f32_e32 v14, v14, v18
	v_fma_mix_f32 v19, -v5, s28, v19 op_sel_hi:[1,0,0]
	v_sub_f32_e32 v15, v15, v20
	v_fma_mix_f32 v5, -v5, s28, v21 op_sel:[1,0,0] op_sel_hi:[1,0,0]
	v_sub_f32_e32 v16, v16, v22
	v_fma_mix_f32 v21, -v4, s28, v23 op_sel_hi:[1,0,0]
	v_sub_f32_e32 v17, v17, v24
	v_fma_mix_f32 v4, -v4, s28, v25 op_sel:[1,0,0] op_sel_hi:[1,0,0]
	v_add_f32_e32 v14, v14, v19
	v_add_f32_e32 v5, v15, v5
	v_cvt_i32_f32_e32 v18, v18
	v_cvt_i32_f32_e32 v20, v20
	v_add_f32_e32 v15, v16, v21
	v_add_f32_e32 v4, v17, v4
	v_exp_f32_e32 v14, v14
	v_exp_f32_e32 v5, v5
	v_cvt_i32_f32_e32 v22, v22
	v_cvt_i32_f32_e32 v23, v24
	v_exp_f32_e32 v15, v15
	v_exp_f32_e32 v4, v4
	v_ldexp_f32 v14, v14, v18
	v_ldexp_f32 v5, v5, v20
	v_cmp_ngt_f32_e32 vcc, s29, v11
	v_cmp_ngt_f32_e64 s[10:11], s29, v10
	v_ldexp_f32 v15, v15, v22
	v_cmp_ngt_f32_e64 s[2:3], s29, v12
	v_ldexp_f32 v4, v4, v23
	v_cmp_ngt_f32_e64 s[8:9], s29, v13
	v_cndmask_b32_e64 v14, 0, v14, s[10:11]
	v_cndmask_b32_e32 v5, 0, v5, vcc
	v_cmp_nlt_f32_e32 vcc, s30, v11
	v_cmp_nlt_f32_e64 s[10:11], s30, v10
	v_cndmask_b32_e64 v11, 0, v15, s[2:3]
	v_cmp_nlt_f32_e64 s[2:3], s30, v12
	v_cndmask_b32_e64 v12, 0, v4, s[8:9]
	v_cndmask_b32_e64 v4, v7, v14, s[10:11]
	v_cndmask_b32_e32 v5, v7, v5, vcc
	v_cmp_nlt_f32_e64 s[8:9], s30, v13
	v_pk_add_f32 v[4:5], v[4:5], 1.0 op_sel_hi:[1,0]
	v_cndmask_b32_e64 v10, v7, v11, s[2:3]
	v_cndmask_b32_e64 v11, v7, v12, s[8:9]
	v_div_scale_f32 v12, s[2:3], v5, v5, 1.0
	v_pk_add_f32 v[10:11], v[10:11], 1.0 op_sel_hi:[1,0]
	v_div_scale_f32 v14, s[2:3], v4, v4, 1.0
	v_rcp_f32_e32 v20, v12
	v_div_scale_f32 v16, s[8:9], v11, v11, 1.0
	v_rcp_f32_e32 v21, v14
	;; [unrolled: 2-line block ×3, first 2 shown]
	v_rcp_f32_e32 v23, v18
	v_fma_f32 v24, -v12, v20, 1.0
	v_div_scale_f32 v13, vcc, 1.0, v5, 1.0
	v_fma_f32 v25, -v14, v21, 1.0
	v_fmac_f32_e32 v20, v24, v20
	v_div_scale_f32 v15, s[2:3], 1.0, v4, 1.0
	v_fma_f32 v26, -v16, v22, 1.0
	v_fmac_f32_e32 v21, v25, v21
	v_mul_f32_e32 v24, v13, v20
	v_div_scale_f32 v17, s[8:9], 1.0, v11, 1.0
	v_fma_f32 v27, -v18, v23, 1.0
	v_fmac_f32_e32 v22, v26, v22
	v_mul_f32_e32 v25, v15, v21
	v_fma_f32 v28, -v12, v24, v13
	v_div_scale_f32 v19, s[10:11], 1.0, v10, 1.0
	v_fmac_f32_e32 v23, v27, v23
	v_mul_f32_e32 v26, v17, v22
	v_fma_f32 v29, -v14, v25, v15
	v_fmac_f32_e32 v24, v28, v20
	v_mul_f32_e32 v27, v19, v23
	v_fma_f32 v30, -v16, v26, v17
	v_fmac_f32_e32 v25, v29, v21
	v_fma_f32 v12, -v12, v24, v13
	v_fma_f32 v31, -v18, v27, v19
	v_fmac_f32_e32 v26, v30, v22
	v_fma_f32 v14, -v14, v25, v15
	v_div_fmas_f32 v12, v12, v20, v24
	s_mov_b64 vcc, s[2:3]
	v_fmac_f32_e32 v27, v31, v23
	v_fma_f32 v15, -v16, v26, v17
	v_div_fixup_f32 v13, v12, v5, 1.0
	v_div_fmas_f32 v5, v14, v21, v25
	s_mov_b64 vcc, s[8:9]
	v_fma_f32 v16, -v18, v27, v19
	v_div_fixup_f32 v12, v5, v4, 1.0
	v_div_fmas_f32 v4, v15, v22, v26
	s_mov_b64 vcc, s[10:11]
	v_div_fixup_f32 v11, v4, v11, 1.0
	v_div_fmas_f32 v4, v16, v23, v27
	v_div_fixup_f32 v10, v4, v10, 1.0
	ds_write_b128 v6, v[10:13]
	v_add_u32_e32 v6, s26, v6
	s_andn2_b64 exec, exec, s[22:23]
	s_cbranch_execnz .LBB23_2
.LBB23_3:
	s_or_b64 exec, exec, s[20:21]
	s_lshr_b32 s2, s15, 29
	s_add_i32 s2, s12, s2
	s_ashr_i32 s22, s2, 3
	s_lshl_b32 s2, s12, 2
	s_add_i32 s15, s2, 0
	v_cmp_gt_u32_e32 vcc, 8, v0
	s_waitcnt lgkmcnt(0)
	s_barrier
	s_and_saveexec_b64 s[8:9], vcc
	s_cbranch_execz .LBB23_10
; %bb.4:
	s_load_dword s2, s[4:5], 0x4c
	v_mul_lo_u32 v2, v0, s22
	v_lshl_add_u32 v2, v2, 2, 0
	s_waitcnt lgkmcnt(0)
	s_and_b32 s23, s2, 0xffff
	s_cmp_gt_i32 s12, 7
	s_cselect_b64 s[2:3], -1, 0
	s_mul_i32 s10, s22, s23
	v_cndmask_b32_e64 v3, 0, 1, s[2:3]
	s_lshl_b32 s12, s10, 2
	s_mov_b64 s[10:11], 0
	v_cmp_ne_u32_e64 s[2:3], 1, v3
	v_mov_b32_e32 v3, v0
	s_branch .LBB23_6
.LBB23_5:                               ;   in Loop: Header=BB23_6 Depth=1
	v_lshl_add_u32 v5, v3, 2, s15
	v_add_u32_e32 v3, s23, v3
	v_cmp_lt_u32_e32 vcc, 7, v3
	s_or_b64 s[10:11], vcc, s[10:11]
	v_add_u32_e32 v2, s12, v2
	ds_write_b32 v5, v4
	s_andn2_b64 exec, exec, s[10:11]
	s_cbranch_execz .LBB23_10
.LBB23_6:                               ; =>This Loop Header: Depth=1
                                        ;     Child Loop BB23_8 Depth 2
	s_and_b64 vcc, exec, s[2:3]
	v_mov_b32_e32 v4, 0xff800000
	s_cbranch_vccnz .LBB23_5
; %bb.7:                                ;   in Loop: Header=BB23_6 Depth=1
	v_mul_lo_u32 v5, v3, s22
	v_add_u32_e32 v6, s22, v5
	s_mov_b64 s[20:21], 0
	v_mov_b32_e32 v4, 0xff800000
	v_mov_b32_e32 v7, v2
.LBB23_8:                               ;   Parent Loop BB23_6 Depth=1
                                        ; =>  This Inner Loop Header: Depth=2
	ds_read_b32 v8, v7
	v_add_u32_e32 v5, 1, v5
	v_cmp_ge_i32_e32 vcc, v5, v6
	s_or_b64 s[20:21], vcc, s[20:21]
	v_add_u32_e32 v7, 4, v7
	s_waitcnt lgkmcnt(0)
	v_cmp_gt_f32_e32 vcc, v8, v4
	v_cndmask_b32_e32 v4, v4, v8, vcc
	s_andn2_b64 exec, exec, s[20:21]
	s_cbranch_execnz .LBB23_8
; %bb.9:                                ;   in Loop: Header=BB23_6 Depth=1
	s_or_b64 exec, exec, s[20:21]
	s_branch .LBB23_5
.LBB23_10:
	s_or_b64 exec, exec, s[8:9]
	s_cmp_lt_i32 s14, 1
	s_waitcnt lgkmcnt(0)
	s_barrier
	s_cbranch_scc1 .LBB23_13
; %bb.11:
	v_mov_b32_e32 v2, s15
	s_mov_b32 s2, 0xff800000
	v_mov_b32_e32 v3, 0xff800000
.LBB23_12:                              ; =>This Inner Loop Header: Depth=1
	ds_read2_b32 v[4:5], v2 offset1:1
	ds_read2_b32 v[6:7], v2 offset0:2 offset1:3
	ds_read2_b32 v[8:9], v2 offset0:4 offset1:5
	;; [unrolled: 1-line block ×3, first 2 shown]
	s_waitcnt lgkmcnt(3)
	v_cmp_nlg_f32_e32 vcc, s2, v4
	v_cndmask_b32_e64 v12, 0, 1, vcc
	v_cmp_lg_f32_e32 vcc, s2, v4
	v_cndmask_b32_e32 v4, v3, v4, vcc
	v_readfirstlane_b32 s3, v12
	v_cmp_gt_f32_e32 vcc, v5, v4
	s_lshl_b32 s3, s3, 3
	v_cndmask_b32_e32 v4, v4, v5, vcc
	s_and_b64 s[8:9], vcc, exec
	s_waitcnt lgkmcnt(2)
	v_cmp_gt_f32_e32 vcc, v6, v4
	v_cndmask_b32_e32 v4, v4, v6, vcc
	s_cselect_b32 s3, 1, s3
	s_and_b64 s[8:9], vcc, exec
	v_cmp_gt_f32_e32 vcc, v7, v4
	v_cndmask_b32_e32 v4, v4, v7, vcc
	s_cselect_b32 s3, 2, s3
	s_and_b64 s[8:9], vcc, exec
	s_waitcnt lgkmcnt(1)
	v_cmp_gt_f32_e32 vcc, v8, v4
	v_cndmask_b32_e32 v4, v4, v8, vcc
	s_cselect_b32 s3, 3, s3
	s_and_b64 s[8:9], vcc, exec
	v_cmp_gt_f32_e32 vcc, v9, v4
	v_cndmask_b32_e32 v4, v4, v9, vcc
	s_cselect_b32 s3, 4, s3
	s_and_b64 s[8:9], vcc, exec
	s_waitcnt lgkmcnt(0)
	v_cmp_gt_f32_e32 vcc, v10, v4
	v_cndmask_b32_e32 v4, v4, v10, vcc
	s_cselect_b32 s3, 5, s3
	s_and_b64 s[8:9], vcc, exec
	v_cmp_ngt_f32_e32 vcc, v11, v4
	s_cselect_b32 s3, 6, s3
	s_and_b64 s[8:9], vcc, exec
	s_cselect_b32 s3, s3, 7
	s_lshl_b32 s3, s3, 2
	s_add_i32 s3, s15, s3
	s_add_i32 s14, s14, -1
	v_mov_b32_e32 v4, s3
	s_cmp_lg_u32 s14, 0
	ds_write_b32 v4, v3
	s_cbranch_scc1 .LBB23_12
.LBB23_13:
	v_lshlrev_b32_e32 v6, 2, v0
	s_and_saveexec_b64 s[2:3], s[0:1]
	s_cbranch_execz .LBB23_18
; %bb.14:
	s_abs_i32 s12, s22
	v_cvt_f32_u32_e32 v2, s12
	s_load_dword s10, s[4:5], 0x4c
	s_sub_i32 s11, 0, s12
	s_ashr_i32 s14, s22, 31
	v_rcp_iflag_f32_e32 v2, v2
	v_lshlrev_b32_e32 v7, 2, v0
	s_waitcnt lgkmcnt(0)
	s_and_b32 s20, s10, 0xffff
	v_lshl_add_u32 v8, v0, 4, 0
	v_mul_f32_e32 v2, 0x4f7ffffe, v2
	v_cvt_u32_f32_e32 v2, v2
	s_mov_b64 s[8:9], 0
	s_lshl_b32 s21, s20, 2
	s_lshl_b32 s22, s20, 4
	v_mul_lo_u32 v3, s11, v2
	v_mul_hi_u32 v3, v2, v3
	v_add_u32_e32 v9, v2, v3
	s_mov_b32 s23, 0xff800000
	v_mov_b32_e32 v2, 0xff800000
	v_mov_b32_e32 v10, v0
	s_branch .LBB23_16
.LBB23_15:                              ;   in Loop: Header=BB23_16 Depth=1
	s_or_b64 exec, exec, s[10:11]
	v_add_u32_e32 v10, s20, v10
	v_cmp_le_i32_e32 vcc, s7, v10
	v_add_u32_e32 v7, s21, v7
	s_or_b64 s[8:9], vcc, s[8:9]
	v_add_u32_e32 v8, s22, v8
	s_andn2_b64 exec, exec, s[8:9]
	s_cbranch_execz .LBB23_18
.LBB23_16:                              ; =>This Inner Loop Header: Depth=1
	v_mul_hi_u32 v3, v7, v9
	v_mul_lo_u32 v4, v3, s12
	v_sub_u32_e32 v4, v7, v4
	v_add_u32_e32 v5, 1, v3
	v_cmp_le_u32_e32 vcc, s12, v4
	v_cndmask_b32_e32 v3, v3, v5, vcc
	v_subrev_u32_e32 v5, s12, v4
	v_cndmask_b32_e32 v4, v4, v5, vcc
	v_add_u32_e32 v5, 1, v3
	v_cmp_le_u32_e32 vcc, s12, v4
	v_cndmask_b32_e32 v3, v3, v5, vcc
	v_xor_b32_e32 v3, s14, v3
	v_subrev_u32_e32 v3, s14, v3
	v_lshl_add_u32 v3, v3, 2, s15
	ds_read_b32 v3, v3
	s_waitcnt lgkmcnt(0)
	v_cmp_neq_f32_e32 vcc, s23, v3
	s_and_saveexec_b64 s[10:11], vcc
	s_cbranch_execz .LBB23_15
; %bb.17:                               ;   in Loop: Header=BB23_16 Depth=1
	v_mov_b32_e32 v3, v2
	v_mov_b32_e32 v4, v2
	;; [unrolled: 1-line block ×3, first 2 shown]
	ds_write_b128 v8, v[2:5]
	s_branch .LBB23_15
.LBB23_18:
	s_or_b64 exec, exec, s[2:3]
	s_cmp_lt_i32 s13, 1
	s_waitcnt lgkmcnt(0)
	s_barrier
	s_cbranch_scc1 .LBB23_25
; %bb.19:
	s_add_u32 s2, s4, 64
	s_addc_u32 s3, s5, 0
	s_mov_b32 s12, 0
	v_mov_b32_e32 v4, 0xff800000
                                        ; implicit-def: $vgpr3
                                        ; implicit-def: $vgpr2
	s_branch .LBB23_21
.LBB23_20:                              ;   in Loop: Header=BB23_21 Depth=1
	s_or_b64 exec, exec, s[8:9]
	v_mov_b32_dpp v9, v7 quad_perm:[1,0,3,2] row_mask:0xf bank_mask:0xf
	v_cmp_lt_f32_e32 vcc, v7, v9
	v_cndmask_b32_e32 v7, v7, v9, vcc
	v_mov_b32_dpp v8, v5 quad_perm:[1,0,3,2] row_mask:0xf bank_mask:0xf
	v_cndmask_b32_e32 v5, v5, v8, vcc
	v_mov_b32_dpp v9, v7 quad_perm:[2,3,0,1] row_mask:0xf bank_mask:0xf
	v_cmp_gt_f32_e32 vcc, v9, v7
	v_cndmask_b32_e32 v7, v7, v9, vcc
	v_mov_b32_dpp v8, v5 quad_perm:[2,3,0,1] row_mask:0xf bank_mask:0xf
	v_cndmask_b32_e32 v5, v5, v8, vcc
	v_mov_b32_dpp v9, v7 row_half_mirror row_mask:0xf bank_mask:0xf
	v_cmp_gt_f32_e32 vcc, v9, v7
	v_cndmask_b32_e32 v7, v7, v9, vcc
	v_mov_b32_dpp v8, v5 row_half_mirror row_mask:0xf bank_mask:0xf
	v_cndmask_b32_e32 v5, v5, v8, vcc
	v_mov_b32_dpp v9, v7 row_mirror row_mask:0xf bank_mask:0xf
	v_cmp_gt_f32_e32 vcc, v9, v7
	v_cndmask_b32_e32 v7, v7, v9, vcc
	v_mov_b32_dpp v8, v5 row_mirror row_mask:0xf bank_mask:0xf
	v_cndmask_b32_e32 v5, v5, v8, vcc
	v_mov_b32_dpp v9, v7 row_bcast:15 row_mask:0xf bank_mask:0xf
	v_cmp_gt_f32_e32 vcc, v9, v7
	v_mov_b32_dpp v8, v5 row_bcast:15 row_mask:0xf bank_mask:0xf
	v_cndmask_b32_e32 v7, v7, v9, vcc
	v_cndmask_b32_e32 v5, v5, v8, vcc
	s_nop 0
	v_mov_b32_dpp v9, v7 row_bcast:31 row_mask:0xf bank_mask:0xf
	v_mov_b32_dpp v8, v5 row_bcast:31 row_mask:0xf bank_mask:0xf
	v_cmp_gt_f32_e32 vcc, v9, v7
	v_cndmask_b32_e32 v5, v5, v8, vcc
	v_readlane_b32 s9, v5, 63
	s_lshl_b32 s10, s9, 2
	s_add_i32 s10, s10, 0
	v_cndmask_b32_e32 v7, v7, v9, vcc
	v_mov_b32_e32 v5, s10
	v_readlane_b32 s8, v7, 63
	ds_write_b32 v5, v4
	v_mov_b32_e32 v5, s9
	v_cmp_eq_u32_e32 vcc, s12, v0
	v_cndmask_b32_e32 v2, v2, v5, vcc
	v_mov_b32_e32 v5, s8
	s_add_i32 s12, s12, 1
	s_cmp_eq_u32 s12, s13
	v_cndmask_b32_e32 v3, v3, v5, vcc
	s_cbranch_scc1 .LBB23_26
.LBB23_21:                              ; =>This Loop Header: Depth=1
                                        ;     Child Loop BB23_23 Depth 2
	v_mov_b32_e32 v5, s12
	v_mov_b32_e32 v7, 0xff800000
	s_and_saveexec_b64 s[8:9], s[0:1]
	s_cbranch_execz .LBB23_20
; %bb.22:                               ;   in Loop: Header=BB23_21 Depth=1
	s_load_dword s14, s[2:3], 0xc
	s_mov_b64 s[10:11], 0
	v_mov_b32_e32 v5, s12
	v_mov_b32_e32 v7, 0xff800000
	;; [unrolled: 1-line block ×3, first 2 shown]
	s_waitcnt lgkmcnt(0)
	s_and_b32 s14, s14, 0xffff
	s_lshl_b32 s15, s14, 2
	s_lshl_b32 s20, s14, 4
	v_mov_b32_e32 v9, v6
	v_mov_b32_e32 v10, v0
.LBB23_23:                              ;   Parent Loop BB23_21 Depth=1
                                        ; =>  This Inner Loop Header: Depth=2
	ds_read_b128 v[12:15], v8
	v_add_u32_e32 v10, s14, v10
	v_cmp_le_i32_e32 vcc, s7, v10
	s_or_b64 s[10:11], vcc, s[10:11]
	v_add_u32_e32 v11, 1, v9
	s_waitcnt lgkmcnt(0)
	v_cmp_gt_f32_e32 vcc, v12, v7
	v_cndmask_b32_e32 v7, v7, v12, vcc
	v_cndmask_b32_e32 v5, v5, v9, vcc
	v_cmp_gt_f32_e32 vcc, v13, v7
	v_cndmask_b32_e32 v7, v7, v13, vcc
	v_cndmask_b32_e32 v5, v5, v11, vcc
	v_cmp_gt_f32_e32 vcc, v14, v7
	v_add_u32_e32 v16, 2, v9
	v_cndmask_b32_e32 v7, v7, v14, vcc
	v_add_u32_e32 v17, 3, v9
	v_cndmask_b32_e32 v5, v5, v16, vcc
	v_cmp_gt_f32_e32 vcc, v15, v7
	v_add_u32_e32 v8, s20, v8
	v_add_u32_e32 v9, s15, v9
	v_cndmask_b32_e32 v7, v7, v15, vcc
	v_cndmask_b32_e32 v5, v5, v17, vcc
	s_andn2_b64 exec, exec, s[10:11]
	s_cbranch_execnz .LBB23_23
; %bb.24:                               ;   in Loop: Header=BB23_21 Depth=1
	s_or_b64 exec, exec, s[10:11]
	s_branch .LBB23_20
.LBB23_25:
                                        ; implicit-def: $vgpr3
                                        ; implicit-def: $vgpr2
.LBB23_26:
	v_cmp_gt_i32_e32 vcc, s13, v0
	s_and_saveexec_b64 s[0:1], vcc
	s_cbranch_execz .LBB23_29
; %bb.27:
	s_load_dword s2, s[4:5], 0x38
	s_load_dwordx2 s[0:1], s[4:5], 0x20
	s_ashr_i32 s3, s6, 31
	s_load_dword s4, s[4:5], 0x4c
	v_mov_b32_e32 v4, s17
	s_waitcnt lgkmcnt(0)
	v_mul_f32_e32 v1, s2, v3
	s_mul_i32 s1, s6, s1
	s_mul_hi_u32 s2, s6, s0
	s_add_i32 s1, s2, s1
	s_mul_i32 s3, s3, s0
	s_add_i32 s5, s1, s3
	s_mul_i32 s2, s6, s0
	s_and_b32 s3, s4, 0xffff
	s_mov_b64 s[0:1], 0
	v_mov_b32_e32 v3, s5
	v_mov_b32_e32 v5, s19
.LBB23_28:                              ; =>This Inner Loop Header: Depth=1
	v_ashrrev_i32_e32 v7, 31, v0
	v_add_co_u32_e32 v6, vcc, s2, v0
	v_addc_co_u32_e32 v7, vcc, v3, v7, vcc
	v_add_u32_e32 v0, s3, v0
	v_cmp_le_i32_e32 vcc, s13, v0
	v_lshlrev_b64 v[6:7], 2, v[6:7]
	s_or_b64 s[0:1], vcc, s[0:1]
	v_add_co_u32_e32 v8, vcc, s16, v6
	v_addc_co_u32_e32 v9, vcc, v4, v7, vcc
	v_add_co_u32_e32 v6, vcc, s18, v6
	v_addc_co_u32_e32 v7, vcc, v5, v7, vcc
	global_store_dword v[8:9], v1, off
	global_store_dword v[6:7], v2, off
	s_andn2_b64 exec, exec, s[0:1]
	s_cbranch_execnz .LBB23_28
.LBB23_29:
	s_endpgm
	.section	.rodata,"a",@progbits
	.p2align	6, 0x0
	.amdhsa_kernel _ZN5aiter19grouped_topk_kernelIN3c104HalfEDv4_fLi8ELb0ELb0ELb0EEEvPT_PKS4_PfPimiiiif
		.amdhsa_group_segment_fixed_size 0
		.amdhsa_private_segment_fixed_size 0
		.amdhsa_kernarg_size 320
		.amdhsa_user_sgpr_count 6
		.amdhsa_user_sgpr_private_segment_buffer 1
		.amdhsa_user_sgpr_dispatch_ptr 0
		.amdhsa_user_sgpr_queue_ptr 0
		.amdhsa_user_sgpr_kernarg_segment_ptr 1
		.amdhsa_user_sgpr_dispatch_id 0
		.amdhsa_user_sgpr_flat_scratch_init 0
		.amdhsa_user_sgpr_kernarg_preload_length 0
		.amdhsa_user_sgpr_kernarg_preload_offset 0
		.amdhsa_user_sgpr_private_segment_size 0
		.amdhsa_uses_dynamic_stack 0
		.amdhsa_system_sgpr_private_segment_wavefront_offset 0
		.amdhsa_system_sgpr_workgroup_id_x 1
		.amdhsa_system_sgpr_workgroup_id_y 0
		.amdhsa_system_sgpr_workgroup_id_z 0
		.amdhsa_system_sgpr_workgroup_info 0
		.amdhsa_system_vgpr_workitem_id 0
		.amdhsa_next_free_vgpr 32
		.amdhsa_next_free_sgpr 31
		.amdhsa_accum_offset 32
		.amdhsa_reserve_vcc 1
		.amdhsa_reserve_flat_scratch 0
		.amdhsa_float_round_mode_32 0
		.amdhsa_float_round_mode_16_64 0
		.amdhsa_float_denorm_mode_32 3
		.amdhsa_float_denorm_mode_16_64 3
		.amdhsa_dx10_clamp 1
		.amdhsa_ieee_mode 1
		.amdhsa_fp16_overflow 0
		.amdhsa_tg_split 0
		.amdhsa_exception_fp_ieee_invalid_op 0
		.amdhsa_exception_fp_denorm_src 0
		.amdhsa_exception_fp_ieee_div_zero 0
		.amdhsa_exception_fp_ieee_overflow 0
		.amdhsa_exception_fp_ieee_underflow 0
		.amdhsa_exception_fp_ieee_inexact 0
		.amdhsa_exception_int_div_zero 0
	.end_amdhsa_kernel
	.section	.text._ZN5aiter19grouped_topk_kernelIN3c104HalfEDv4_fLi8ELb0ELb0ELb0EEEvPT_PKS4_PfPimiiiif,"axG",@progbits,_ZN5aiter19grouped_topk_kernelIN3c104HalfEDv4_fLi8ELb0ELb0ELb0EEEvPT_PKS4_PfPimiiiif,comdat
.Lfunc_end23:
	.size	_ZN5aiter19grouped_topk_kernelIN3c104HalfEDv4_fLi8ELb0ELb0ELb0EEEvPT_PKS4_PfPimiiiif, .Lfunc_end23-_ZN5aiter19grouped_topk_kernelIN3c104HalfEDv4_fLi8ELb0ELb0ELb0EEEvPT_PKS4_PfPimiiiif
                                        ; -- End function
	.section	.AMDGPU.csdata,"",@progbits
; Kernel info:
; codeLenInByte = 2356
; NumSgprs: 35
; NumVgprs: 32
; NumAgprs: 0
; TotalNumVgprs: 32
; ScratchSize: 0
; MemoryBound: 0
; FloatMode: 240
; IeeeMode: 1
; LDSByteSize: 0 bytes/workgroup (compile time only)
; SGPRBlocks: 4
; VGPRBlocks: 3
; NumSGPRsForWavesPerEU: 35
; NumVGPRsForWavesPerEU: 32
; AccumOffset: 32
; Occupancy: 8
; WaveLimiterHint : 0
; COMPUTE_PGM_RSRC2:SCRATCH_EN: 0
; COMPUTE_PGM_RSRC2:USER_SGPR: 6
; COMPUTE_PGM_RSRC2:TRAP_HANDLER: 0
; COMPUTE_PGM_RSRC2:TGID_X_EN: 1
; COMPUTE_PGM_RSRC2:TGID_Y_EN: 0
; COMPUTE_PGM_RSRC2:TGID_Z_EN: 0
; COMPUTE_PGM_RSRC2:TIDIG_COMP_CNT: 0
; COMPUTE_PGM_RSRC3_GFX90A:ACCUM_OFFSET: 7
; COMPUTE_PGM_RSRC3_GFX90A:TG_SPLIT: 0
	.section	.text._ZN5aiter19grouped_topk_kernelIN3c108BFloat16EDv4_fLi8ELb0ELb0ELb0EEEvPT_PKS4_PfPimiiiif,"axG",@progbits,_ZN5aiter19grouped_topk_kernelIN3c108BFloat16EDv4_fLi8ELb0ELb0ELb0EEEvPT_PKS4_PfPimiiiif,comdat
	.protected	_ZN5aiter19grouped_topk_kernelIN3c108BFloat16EDv4_fLi8ELb0ELb0ELb0EEEvPT_PKS4_PfPimiiiif ; -- Begin function _ZN5aiter19grouped_topk_kernelIN3c108BFloat16EDv4_fLi8ELb0ELb0ELb0EEEvPT_PKS4_PfPimiiiif
	.globl	_ZN5aiter19grouped_topk_kernelIN3c108BFloat16EDv4_fLi8ELb0ELb0ELb0EEEvPT_PKS4_PfPimiiiif
	.p2align	8
	.type	_ZN5aiter19grouped_topk_kernelIN3c108BFloat16EDv4_fLi8ELb0ELb0ELb0EEEvPT_PKS4_PfPimiiiif,@function
_ZN5aiter19grouped_topk_kernelIN3c108BFloat16EDv4_fLi8ELb0ELb0ELb0EEEvPT_PKS4_PfPimiiiif: ; @_ZN5aiter19grouped_topk_kernelIN3c108BFloat16EDv4_fLi8ELb0ELb0ELb0EEEvPT_PKS4_PfPimiiiif
; %bb.0:
	s_load_dwordx4 s[12:15], s[4:5], 0x28
	s_load_dwordx4 s[16:19], s[4:5], 0x10
	v_lshl_add_u32 v1, v0, 4, 0
	s_waitcnt lgkmcnt(0)
	s_ashr_i32 s15, s12, 31
	s_lshr_b32 s0, s15, 30
	s_add_i32 s0, s12, s0
	s_ashr_i32 s7, s0, 2
	v_cmp_gt_i32_e64 s[0:1], s7, v0
	s_and_saveexec_b64 s[20:21], s[0:1]
	s_cbranch_execz .LBB24_3
; %bb.1:
	s_load_dword s10, s[4:5], 0x4c
	s_load_dwordx2 s[2:3], s[4:5], 0x0
	s_mul_i32 s8, s6, s12
	s_ashr_i32 s9, s8, 31
	s_lshl_b64 s[8:9], s[8:9], 1
	s_waitcnt lgkmcnt(0)
	s_and_b32 s24, s10, 0xffff
	s_add_u32 s2, s2, s8
	v_lshlrev_b32_e32 v2, 3, v0
	s_addc_u32 s3, s3, s9
	s_mov_b32 s10, 0
	v_mov_b32_e32 v3, s3
	v_add_co_u32_e32 v2, vcc, s2, v2
	v_addc_co_u32_e32 v3, vcc, 0, v3, vcc
	s_lshl_b32 s25, s24, 3
	v_lshl_add_u32 v6, v0, 4, 0
	s_lshl_b32 s26, s24, 4
	s_mov_b64 s[22:23], 0
	s_mov_b32 s27, 0xbfb8aa3b
	s_mov_b32 s28, 0x42ce8ed0
	;; [unrolled: 1-line block ×3, first 2 shown]
	v_mov_b32_e32 v7, 0x7f800000
	v_mov_b32_e32 v8, s10
	v_mov_b32_e32 v9, v0
.LBB24_2:                               ; =>This Inner Loop Header: Depth=1
	global_load_dwordx2 v[4:5], v[2:3], off
	v_add_co_u32_e32 v2, vcc, s25, v2
	v_add_u32_e32 v9, s24, v9
	v_addc_co_u32_e32 v3, vcc, v3, v8, vcc
	v_cmp_le_i32_e32 vcc, s7, v9
	s_or_b64 s[22:23], vcc, s[22:23]
	s_waitcnt vmcnt(0)
	v_cvt_f32_u32_sdwa v10, v5 dst_sel:DWORD dst_unused:UNUSED_PAD src0_sel:WORD_1
	v_cvt_f32_u32_sdwa v5, v5 dst_sel:DWORD dst_unused:UNUSED_PAD src0_sel:WORD_0
	v_cvt_f32_u32_sdwa v11, v4 dst_sel:DWORD dst_unused:UNUSED_PAD src0_sel:WORD_1
	v_cvt_f32_u32_sdwa v4, v4 dst_sel:DWORD dst_unused:UNUSED_PAD src0_sel:WORD_0
	v_mul_f32_e32 v12, 0xbfb8aa3b, v10
	v_mul_f32_e32 v13, 0xbfb8aa3b, v5
	v_fma_f32 v16, v10, s27, -v12
	v_mul_f32_e32 v15, 0xbfb8aa3b, v4
	v_rndne_f32_e32 v17, v12
	v_fma_f32 v18, v5, s27, -v13
	v_rndne_f32_e32 v19, v13
	v_mul_f32_e32 v14, 0xbfb8aa3b, v11
	v_fma_f32 v22, v4, s27, -v15
	v_rndne_f32_e32 v23, v15
	v_fmac_f32_e32 v16, 0xb2a5705f, v10
	v_sub_f32_e32 v12, v12, v17
	v_fmac_f32_e32 v18, 0xb2a5705f, v5
	v_sub_f32_e32 v13, v13, v19
	v_fma_f32 v20, v11, s27, -v14
	v_rndne_f32_e32 v21, v14
	v_fmac_f32_e32 v22, 0xb2a5705f, v4
	v_sub_f32_e32 v15, v15, v23
	v_add_f32_e32 v12, v12, v16
	v_add_f32_e32 v13, v13, v18
	v_cvt_i32_f32_e32 v17, v17
	v_cvt_i32_f32_e32 v19, v19
	v_fmac_f32_e32 v20, 0xb2a5705f, v11
	v_sub_f32_e32 v14, v14, v21
	v_add_f32_e32 v15, v15, v22
	v_exp_f32_e32 v12, v12
	v_exp_f32_e32 v13, v13
	v_cvt_i32_f32_e32 v23, v23
	v_add_f32_e32 v14, v14, v20
	v_exp_f32_e32 v15, v15
	v_cvt_i32_f32_e32 v21, v21
	v_exp_f32_e32 v14, v14
	v_ldexp_f32 v12, v12, v17
	v_ldexp_f32 v13, v13, v19
	v_cmp_nlt_f32_e32 vcc, s28, v5
	v_cmp_nlt_f32_e64 s[10:11], s28, v10
	v_ldexp_f32 v15, v15, v23
	v_cmp_nlt_f32_e64 s[8:9], s28, v4
	v_cndmask_b32_e64 v12, 0, v12, s[10:11]
	v_cndmask_b32_e32 v13, 0, v13, vcc
	v_cmp_ngt_f32_e32 vcc, s29, v5
	v_cmp_ngt_f32_e64 s[10:11], s29, v10
	v_ldexp_f32 v14, v14, v21
	v_cmp_nlt_f32_e64 s[2:3], s28, v11
	v_cndmask_b32_e64 v15, 0, v15, s[8:9]
	v_cmp_ngt_f32_e64 s[8:9], s29, v4
	v_cndmask_b32_e64 v5, v7, v12, s[10:11]
	v_cndmask_b32_e32 v4, v7, v13, vcc
	v_cndmask_b32_e64 v14, 0, v14, s[2:3]
	v_cmp_ngt_f32_e64 s[2:3], s29, v11
	v_pk_add_f32 v[4:5], v[4:5], 1.0 op_sel_hi:[1,0]
	v_cndmask_b32_e64 v11, v7, v14, s[2:3]
	v_cndmask_b32_e64 v10, v7, v15, s[8:9]
	v_div_scale_f32 v12, s[2:3], v5, v5, 1.0
	v_pk_add_f32 v[10:11], v[10:11], 1.0 op_sel_hi:[1,0]
	v_div_scale_f32 v14, s[2:3], v4, v4, 1.0
	v_rcp_f32_e32 v20, v12
	v_div_scale_f32 v16, s[8:9], v11, v11, 1.0
	v_rcp_f32_e32 v21, v14
	;; [unrolled: 2-line block ×3, first 2 shown]
	v_rcp_f32_e32 v23, v18
	v_fma_f32 v24, -v12, v20, 1.0
	v_div_scale_f32 v13, vcc, 1.0, v5, 1.0
	v_fma_f32 v25, -v14, v21, 1.0
	v_fmac_f32_e32 v20, v24, v20
	v_div_scale_f32 v15, s[2:3], 1.0, v4, 1.0
	v_fma_f32 v26, -v16, v22, 1.0
	v_fmac_f32_e32 v21, v25, v21
	v_mul_f32_e32 v24, v13, v20
	v_div_scale_f32 v17, s[8:9], 1.0, v11, 1.0
	v_fma_f32 v27, -v18, v23, 1.0
	v_fmac_f32_e32 v22, v26, v22
	v_mul_f32_e32 v25, v15, v21
	v_fma_f32 v28, -v12, v24, v13
	v_div_scale_f32 v19, s[10:11], 1.0, v10, 1.0
	v_fmac_f32_e32 v23, v27, v23
	v_mul_f32_e32 v26, v17, v22
	v_fma_f32 v29, -v14, v25, v15
	v_fmac_f32_e32 v24, v28, v20
	v_mul_f32_e32 v27, v19, v23
	v_fma_f32 v30, -v16, v26, v17
	v_fmac_f32_e32 v25, v29, v21
	v_fma_f32 v12, -v12, v24, v13
	v_fma_f32 v31, -v18, v27, v19
	v_fmac_f32_e32 v26, v30, v22
	v_fma_f32 v14, -v14, v25, v15
	v_div_fmas_f32 v12, v12, v20, v24
	s_mov_b64 vcc, s[2:3]
	v_fmac_f32_e32 v27, v31, v23
	v_fma_f32 v15, -v16, v26, v17
	v_div_fixup_f32 v13, v12, v5, 1.0
	v_div_fmas_f32 v5, v14, v21, v25
	s_mov_b64 vcc, s[8:9]
	v_fma_f32 v16, -v18, v27, v19
	v_div_fixup_f32 v12, v5, v4, 1.0
	v_div_fmas_f32 v4, v15, v22, v26
	s_mov_b64 vcc, s[10:11]
	v_div_fixup_f32 v11, v4, v11, 1.0
	v_div_fmas_f32 v4, v16, v23, v27
	v_div_fixup_f32 v10, v4, v10, 1.0
	ds_write_b128 v6, v[10:13]
	v_add_u32_e32 v6, s26, v6
	s_andn2_b64 exec, exec, s[22:23]
	s_cbranch_execnz .LBB24_2
.LBB24_3:
	s_or_b64 exec, exec, s[20:21]
	s_lshr_b32 s2, s15, 29
	s_add_i32 s2, s12, s2
	s_ashr_i32 s22, s2, 3
	s_lshl_b32 s2, s12, 2
	s_add_i32 s15, s2, 0
	v_cmp_gt_u32_e32 vcc, 8, v0
	s_waitcnt lgkmcnt(0)
	s_barrier
	s_and_saveexec_b64 s[8:9], vcc
	s_cbranch_execz .LBB24_10
; %bb.4:
	s_load_dword s2, s[4:5], 0x4c
	v_mul_lo_u32 v2, v0, s22
	v_lshl_add_u32 v2, v2, 2, 0
	s_waitcnt lgkmcnt(0)
	s_and_b32 s23, s2, 0xffff
	s_cmp_gt_i32 s12, 7
	s_cselect_b64 s[2:3], -1, 0
	s_mul_i32 s10, s22, s23
	v_cndmask_b32_e64 v3, 0, 1, s[2:3]
	s_lshl_b32 s12, s10, 2
	s_mov_b64 s[10:11], 0
	v_cmp_ne_u32_e64 s[2:3], 1, v3
	v_mov_b32_e32 v3, v0
	s_branch .LBB24_6
.LBB24_5:                               ;   in Loop: Header=BB24_6 Depth=1
	v_lshl_add_u32 v5, v3, 2, s15
	v_add_u32_e32 v3, s23, v3
	v_cmp_lt_u32_e32 vcc, 7, v3
	s_or_b64 s[10:11], vcc, s[10:11]
	v_add_u32_e32 v2, s12, v2
	ds_write_b32 v5, v4
	s_andn2_b64 exec, exec, s[10:11]
	s_cbranch_execz .LBB24_10
.LBB24_6:                               ; =>This Loop Header: Depth=1
                                        ;     Child Loop BB24_8 Depth 2
	s_and_b64 vcc, exec, s[2:3]
	v_mov_b32_e32 v4, 0xff800000
	s_cbranch_vccnz .LBB24_5
; %bb.7:                                ;   in Loop: Header=BB24_6 Depth=1
	v_mul_lo_u32 v5, v3, s22
	v_add_u32_e32 v6, s22, v5
	s_mov_b64 s[20:21], 0
	v_mov_b32_e32 v4, 0xff800000
	v_mov_b32_e32 v7, v2
.LBB24_8:                               ;   Parent Loop BB24_6 Depth=1
                                        ; =>  This Inner Loop Header: Depth=2
	ds_read_b32 v8, v7
	v_add_u32_e32 v5, 1, v5
	v_cmp_ge_i32_e32 vcc, v5, v6
	s_or_b64 s[20:21], vcc, s[20:21]
	v_add_u32_e32 v7, 4, v7
	s_waitcnt lgkmcnt(0)
	v_cmp_gt_f32_e32 vcc, v8, v4
	v_cndmask_b32_e32 v4, v4, v8, vcc
	s_andn2_b64 exec, exec, s[20:21]
	s_cbranch_execnz .LBB24_8
; %bb.9:                                ;   in Loop: Header=BB24_6 Depth=1
	s_or_b64 exec, exec, s[20:21]
	s_branch .LBB24_5
.LBB24_10:
	s_or_b64 exec, exec, s[8:9]
	s_cmp_lt_i32 s14, 1
	s_waitcnt lgkmcnt(0)
	s_barrier
	s_cbranch_scc1 .LBB24_13
; %bb.11:
	v_mov_b32_e32 v2, s15
	s_mov_b32 s2, 0xff800000
	v_mov_b32_e32 v3, 0xff800000
.LBB24_12:                              ; =>This Inner Loop Header: Depth=1
	ds_read2_b32 v[4:5], v2 offset1:1
	ds_read2_b32 v[6:7], v2 offset0:2 offset1:3
	ds_read2_b32 v[8:9], v2 offset0:4 offset1:5
	ds_read2_b32 v[10:11], v2 offset0:6 offset1:7
	s_waitcnt lgkmcnt(3)
	v_cmp_nlg_f32_e32 vcc, s2, v4
	v_cndmask_b32_e64 v12, 0, 1, vcc
	v_cmp_lg_f32_e32 vcc, s2, v4
	v_cndmask_b32_e32 v4, v3, v4, vcc
	v_readfirstlane_b32 s3, v12
	v_cmp_gt_f32_e32 vcc, v5, v4
	s_lshl_b32 s3, s3, 3
	v_cndmask_b32_e32 v4, v4, v5, vcc
	s_and_b64 s[8:9], vcc, exec
	s_waitcnt lgkmcnt(2)
	v_cmp_gt_f32_e32 vcc, v6, v4
	v_cndmask_b32_e32 v4, v4, v6, vcc
	s_cselect_b32 s3, 1, s3
	s_and_b64 s[8:9], vcc, exec
	v_cmp_gt_f32_e32 vcc, v7, v4
	v_cndmask_b32_e32 v4, v4, v7, vcc
	s_cselect_b32 s3, 2, s3
	s_and_b64 s[8:9], vcc, exec
	s_waitcnt lgkmcnt(1)
	v_cmp_gt_f32_e32 vcc, v8, v4
	v_cndmask_b32_e32 v4, v4, v8, vcc
	s_cselect_b32 s3, 3, s3
	s_and_b64 s[8:9], vcc, exec
	v_cmp_gt_f32_e32 vcc, v9, v4
	v_cndmask_b32_e32 v4, v4, v9, vcc
	s_cselect_b32 s3, 4, s3
	s_and_b64 s[8:9], vcc, exec
	s_waitcnt lgkmcnt(0)
	v_cmp_gt_f32_e32 vcc, v10, v4
	v_cndmask_b32_e32 v4, v4, v10, vcc
	s_cselect_b32 s3, 5, s3
	s_and_b64 s[8:9], vcc, exec
	v_cmp_ngt_f32_e32 vcc, v11, v4
	s_cselect_b32 s3, 6, s3
	s_and_b64 s[8:9], vcc, exec
	s_cselect_b32 s3, s3, 7
	s_lshl_b32 s3, s3, 2
	s_add_i32 s3, s15, s3
	s_add_i32 s14, s14, -1
	v_mov_b32_e32 v4, s3
	s_cmp_lg_u32 s14, 0
	ds_write_b32 v4, v3
	s_cbranch_scc1 .LBB24_12
.LBB24_13:
	v_lshlrev_b32_e32 v6, 2, v0
	s_and_saveexec_b64 s[2:3], s[0:1]
	s_cbranch_execz .LBB24_18
; %bb.14:
	s_abs_i32 s12, s22
	v_cvt_f32_u32_e32 v2, s12
	s_load_dword s10, s[4:5], 0x4c
	s_sub_i32 s11, 0, s12
	s_ashr_i32 s14, s22, 31
	v_rcp_iflag_f32_e32 v2, v2
	v_lshlrev_b32_e32 v7, 2, v0
	s_waitcnt lgkmcnt(0)
	s_and_b32 s20, s10, 0xffff
	v_lshl_add_u32 v8, v0, 4, 0
	v_mul_f32_e32 v2, 0x4f7ffffe, v2
	v_cvt_u32_f32_e32 v2, v2
	s_mov_b64 s[8:9], 0
	s_lshl_b32 s21, s20, 2
	s_lshl_b32 s22, s20, 4
	v_mul_lo_u32 v3, s11, v2
	v_mul_hi_u32 v3, v2, v3
	v_add_u32_e32 v9, v2, v3
	s_mov_b32 s23, 0xff800000
	v_mov_b32_e32 v2, 0xff800000
	v_mov_b32_e32 v10, v0
	s_branch .LBB24_16
.LBB24_15:                              ;   in Loop: Header=BB24_16 Depth=1
	s_or_b64 exec, exec, s[10:11]
	v_add_u32_e32 v10, s20, v10
	v_cmp_le_i32_e32 vcc, s7, v10
	v_add_u32_e32 v7, s21, v7
	s_or_b64 s[8:9], vcc, s[8:9]
	v_add_u32_e32 v8, s22, v8
	s_andn2_b64 exec, exec, s[8:9]
	s_cbranch_execz .LBB24_18
.LBB24_16:                              ; =>This Inner Loop Header: Depth=1
	v_mul_hi_u32 v3, v7, v9
	v_mul_lo_u32 v4, v3, s12
	v_sub_u32_e32 v4, v7, v4
	v_add_u32_e32 v5, 1, v3
	v_cmp_le_u32_e32 vcc, s12, v4
	v_cndmask_b32_e32 v3, v3, v5, vcc
	v_subrev_u32_e32 v5, s12, v4
	v_cndmask_b32_e32 v4, v4, v5, vcc
	v_add_u32_e32 v5, 1, v3
	v_cmp_le_u32_e32 vcc, s12, v4
	v_cndmask_b32_e32 v3, v3, v5, vcc
	v_xor_b32_e32 v3, s14, v3
	v_subrev_u32_e32 v3, s14, v3
	v_lshl_add_u32 v3, v3, 2, s15
	ds_read_b32 v3, v3
	s_waitcnt lgkmcnt(0)
	v_cmp_neq_f32_e32 vcc, s23, v3
	s_and_saveexec_b64 s[10:11], vcc
	s_cbranch_execz .LBB24_15
; %bb.17:                               ;   in Loop: Header=BB24_16 Depth=1
	v_mov_b32_e32 v3, v2
	v_mov_b32_e32 v4, v2
	;; [unrolled: 1-line block ×3, first 2 shown]
	ds_write_b128 v8, v[2:5]
	s_branch .LBB24_15
.LBB24_18:
	s_or_b64 exec, exec, s[2:3]
	s_cmp_lt_i32 s13, 1
	s_waitcnt lgkmcnt(0)
	s_barrier
	s_cbranch_scc1 .LBB24_25
; %bb.19:
	s_add_u32 s2, s4, 64
	s_addc_u32 s3, s5, 0
	s_mov_b32 s12, 0
	v_mov_b32_e32 v4, 0xff800000
                                        ; implicit-def: $vgpr3
                                        ; implicit-def: $vgpr2
	s_branch .LBB24_21
.LBB24_20:                              ;   in Loop: Header=BB24_21 Depth=1
	s_or_b64 exec, exec, s[8:9]
	v_mov_b32_dpp v9, v7 quad_perm:[1,0,3,2] row_mask:0xf bank_mask:0xf
	v_cmp_lt_f32_e32 vcc, v7, v9
	v_cndmask_b32_e32 v7, v7, v9, vcc
	v_mov_b32_dpp v8, v5 quad_perm:[1,0,3,2] row_mask:0xf bank_mask:0xf
	v_cndmask_b32_e32 v5, v5, v8, vcc
	v_mov_b32_dpp v9, v7 quad_perm:[2,3,0,1] row_mask:0xf bank_mask:0xf
	v_cmp_gt_f32_e32 vcc, v9, v7
	v_cndmask_b32_e32 v7, v7, v9, vcc
	v_mov_b32_dpp v8, v5 quad_perm:[2,3,0,1] row_mask:0xf bank_mask:0xf
	v_cndmask_b32_e32 v5, v5, v8, vcc
	v_mov_b32_dpp v9, v7 row_half_mirror row_mask:0xf bank_mask:0xf
	v_cmp_gt_f32_e32 vcc, v9, v7
	v_cndmask_b32_e32 v7, v7, v9, vcc
	v_mov_b32_dpp v8, v5 row_half_mirror row_mask:0xf bank_mask:0xf
	v_cndmask_b32_e32 v5, v5, v8, vcc
	v_mov_b32_dpp v9, v7 row_mirror row_mask:0xf bank_mask:0xf
	v_cmp_gt_f32_e32 vcc, v9, v7
	v_cndmask_b32_e32 v7, v7, v9, vcc
	v_mov_b32_dpp v8, v5 row_mirror row_mask:0xf bank_mask:0xf
	v_cndmask_b32_e32 v5, v5, v8, vcc
	v_mov_b32_dpp v9, v7 row_bcast:15 row_mask:0xf bank_mask:0xf
	v_cmp_gt_f32_e32 vcc, v9, v7
	v_mov_b32_dpp v8, v5 row_bcast:15 row_mask:0xf bank_mask:0xf
	v_cndmask_b32_e32 v7, v7, v9, vcc
	v_cndmask_b32_e32 v5, v5, v8, vcc
	s_nop 0
	v_mov_b32_dpp v9, v7 row_bcast:31 row_mask:0xf bank_mask:0xf
	v_mov_b32_dpp v8, v5 row_bcast:31 row_mask:0xf bank_mask:0xf
	v_cmp_gt_f32_e32 vcc, v9, v7
	v_cndmask_b32_e32 v5, v5, v8, vcc
	v_readlane_b32 s9, v5, 63
	s_lshl_b32 s10, s9, 2
	s_add_i32 s10, s10, 0
	v_cndmask_b32_e32 v7, v7, v9, vcc
	v_mov_b32_e32 v5, s10
	v_readlane_b32 s8, v7, 63
	ds_write_b32 v5, v4
	v_mov_b32_e32 v5, s9
	v_cmp_eq_u32_e32 vcc, s12, v0
	v_cndmask_b32_e32 v2, v2, v5, vcc
	v_mov_b32_e32 v5, s8
	s_add_i32 s12, s12, 1
	s_cmp_eq_u32 s12, s13
	v_cndmask_b32_e32 v3, v3, v5, vcc
	s_cbranch_scc1 .LBB24_26
.LBB24_21:                              ; =>This Loop Header: Depth=1
                                        ;     Child Loop BB24_23 Depth 2
	v_mov_b32_e32 v5, s12
	v_mov_b32_e32 v7, 0xff800000
	s_and_saveexec_b64 s[8:9], s[0:1]
	s_cbranch_execz .LBB24_20
; %bb.22:                               ;   in Loop: Header=BB24_21 Depth=1
	s_load_dword s14, s[2:3], 0xc
	s_mov_b64 s[10:11], 0
	v_mov_b32_e32 v5, s12
	v_mov_b32_e32 v7, 0xff800000
	;; [unrolled: 1-line block ×3, first 2 shown]
	s_waitcnt lgkmcnt(0)
	s_and_b32 s14, s14, 0xffff
	s_lshl_b32 s15, s14, 2
	s_lshl_b32 s20, s14, 4
	v_mov_b32_e32 v9, v6
	v_mov_b32_e32 v10, v0
.LBB24_23:                              ;   Parent Loop BB24_21 Depth=1
                                        ; =>  This Inner Loop Header: Depth=2
	ds_read_b128 v[12:15], v8
	v_add_u32_e32 v10, s14, v10
	v_cmp_le_i32_e32 vcc, s7, v10
	s_or_b64 s[10:11], vcc, s[10:11]
	v_add_u32_e32 v11, 1, v9
	s_waitcnt lgkmcnt(0)
	v_cmp_gt_f32_e32 vcc, v12, v7
	v_cndmask_b32_e32 v7, v7, v12, vcc
	v_cndmask_b32_e32 v5, v5, v9, vcc
	v_cmp_gt_f32_e32 vcc, v13, v7
	v_cndmask_b32_e32 v7, v7, v13, vcc
	v_cndmask_b32_e32 v5, v5, v11, vcc
	v_cmp_gt_f32_e32 vcc, v14, v7
	v_add_u32_e32 v16, 2, v9
	v_cndmask_b32_e32 v7, v7, v14, vcc
	v_add_u32_e32 v17, 3, v9
	v_cndmask_b32_e32 v5, v5, v16, vcc
	v_cmp_gt_f32_e32 vcc, v15, v7
	v_add_u32_e32 v8, s20, v8
	v_add_u32_e32 v9, s15, v9
	v_cndmask_b32_e32 v7, v7, v15, vcc
	v_cndmask_b32_e32 v5, v5, v17, vcc
	s_andn2_b64 exec, exec, s[10:11]
	s_cbranch_execnz .LBB24_23
; %bb.24:                               ;   in Loop: Header=BB24_21 Depth=1
	s_or_b64 exec, exec, s[10:11]
	s_branch .LBB24_20
.LBB24_25:
                                        ; implicit-def: $vgpr3
                                        ; implicit-def: $vgpr2
.LBB24_26:
	v_cmp_gt_i32_e32 vcc, s13, v0
	s_and_saveexec_b64 s[0:1], vcc
	s_cbranch_execz .LBB24_29
; %bb.27:
	s_load_dword s2, s[4:5], 0x38
	s_load_dwordx2 s[0:1], s[4:5], 0x20
	s_ashr_i32 s3, s6, 31
	s_load_dword s4, s[4:5], 0x4c
	v_mov_b32_e32 v4, s17
	s_waitcnt lgkmcnt(0)
	v_mul_f32_e32 v1, s2, v3
	s_mul_i32 s1, s6, s1
	s_mul_hi_u32 s2, s6, s0
	s_add_i32 s1, s2, s1
	s_mul_i32 s3, s3, s0
	s_add_i32 s5, s1, s3
	s_mul_i32 s2, s6, s0
	s_and_b32 s3, s4, 0xffff
	s_mov_b64 s[0:1], 0
	v_mov_b32_e32 v3, s5
	v_mov_b32_e32 v5, s19
.LBB24_28:                              ; =>This Inner Loop Header: Depth=1
	v_ashrrev_i32_e32 v7, 31, v0
	v_add_co_u32_e32 v6, vcc, s2, v0
	v_addc_co_u32_e32 v7, vcc, v3, v7, vcc
	v_add_u32_e32 v0, s3, v0
	v_cmp_le_i32_e32 vcc, s13, v0
	v_lshlrev_b64 v[6:7], 2, v[6:7]
	s_or_b64 s[0:1], vcc, s[0:1]
	v_add_co_u32_e32 v8, vcc, s16, v6
	v_addc_co_u32_e32 v9, vcc, v4, v7, vcc
	v_add_co_u32_e32 v6, vcc, s18, v6
	v_addc_co_u32_e32 v7, vcc, v5, v7, vcc
	global_store_dword v[8:9], v1, off
	global_store_dword v[6:7], v2, off
	s_andn2_b64 exec, exec, s[0:1]
	s_cbranch_execnz .LBB24_28
.LBB24_29:
	s_endpgm
	.section	.rodata,"a",@progbits
	.p2align	6, 0x0
	.amdhsa_kernel _ZN5aiter19grouped_topk_kernelIN3c108BFloat16EDv4_fLi8ELb0ELb0ELb0EEEvPT_PKS4_PfPimiiiif
		.amdhsa_group_segment_fixed_size 0
		.amdhsa_private_segment_fixed_size 0
		.amdhsa_kernarg_size 320
		.amdhsa_user_sgpr_count 6
		.amdhsa_user_sgpr_private_segment_buffer 1
		.amdhsa_user_sgpr_dispatch_ptr 0
		.amdhsa_user_sgpr_queue_ptr 0
		.amdhsa_user_sgpr_kernarg_segment_ptr 1
		.amdhsa_user_sgpr_dispatch_id 0
		.amdhsa_user_sgpr_flat_scratch_init 0
		.amdhsa_user_sgpr_kernarg_preload_length 0
		.amdhsa_user_sgpr_kernarg_preload_offset 0
		.amdhsa_user_sgpr_private_segment_size 0
		.amdhsa_uses_dynamic_stack 0
		.amdhsa_system_sgpr_private_segment_wavefront_offset 0
		.amdhsa_system_sgpr_workgroup_id_x 1
		.amdhsa_system_sgpr_workgroup_id_y 0
		.amdhsa_system_sgpr_workgroup_id_z 0
		.amdhsa_system_sgpr_workgroup_info 0
		.amdhsa_system_vgpr_workitem_id 0
		.amdhsa_next_free_vgpr 32
		.amdhsa_next_free_sgpr 30
		.amdhsa_accum_offset 32
		.amdhsa_reserve_vcc 1
		.amdhsa_reserve_flat_scratch 0
		.amdhsa_float_round_mode_32 0
		.amdhsa_float_round_mode_16_64 0
		.amdhsa_float_denorm_mode_32 3
		.amdhsa_float_denorm_mode_16_64 3
		.amdhsa_dx10_clamp 1
		.amdhsa_ieee_mode 1
		.amdhsa_fp16_overflow 0
		.amdhsa_tg_split 0
		.amdhsa_exception_fp_ieee_invalid_op 0
		.amdhsa_exception_fp_denorm_src 0
		.amdhsa_exception_fp_ieee_div_zero 0
		.amdhsa_exception_fp_ieee_overflow 0
		.amdhsa_exception_fp_ieee_underflow 0
		.amdhsa_exception_fp_ieee_inexact 0
		.amdhsa_exception_int_div_zero 0
	.end_amdhsa_kernel
	.section	.text._ZN5aiter19grouped_topk_kernelIN3c108BFloat16EDv4_fLi8ELb0ELb0ELb0EEEvPT_PKS4_PfPimiiiif,"axG",@progbits,_ZN5aiter19grouped_topk_kernelIN3c108BFloat16EDv4_fLi8ELb0ELb0ELb0EEEvPT_PKS4_PfPimiiiif,comdat
.Lfunc_end24:
	.size	_ZN5aiter19grouped_topk_kernelIN3c108BFloat16EDv4_fLi8ELb0ELb0ELb0EEEvPT_PKS4_PfPimiiiif, .Lfunc_end24-_ZN5aiter19grouped_topk_kernelIN3c108BFloat16EDv4_fLi8ELb0ELb0ELb0EEEvPT_PKS4_PfPimiiiif
                                        ; -- End function
	.section	.AMDGPU.csdata,"",@progbits
; Kernel info:
; codeLenInByte = 2348
; NumSgprs: 34
; NumVgprs: 32
; NumAgprs: 0
; TotalNumVgprs: 32
; ScratchSize: 0
; MemoryBound: 0
; FloatMode: 240
; IeeeMode: 1
; LDSByteSize: 0 bytes/workgroup (compile time only)
; SGPRBlocks: 4
; VGPRBlocks: 3
; NumSGPRsForWavesPerEU: 34
; NumVGPRsForWavesPerEU: 32
; AccumOffset: 32
; Occupancy: 8
; WaveLimiterHint : 0
; COMPUTE_PGM_RSRC2:SCRATCH_EN: 0
; COMPUTE_PGM_RSRC2:USER_SGPR: 6
; COMPUTE_PGM_RSRC2:TRAP_HANDLER: 0
; COMPUTE_PGM_RSRC2:TGID_X_EN: 1
; COMPUTE_PGM_RSRC2:TGID_Y_EN: 0
; COMPUTE_PGM_RSRC2:TGID_Z_EN: 0
; COMPUTE_PGM_RSRC2:TIDIG_COMP_CNT: 0
; COMPUTE_PGM_RSRC3_GFX90A:ACCUM_OFFSET: 7
; COMPUTE_PGM_RSRC3_GFX90A:TG_SPLIT: 0
	.section	.text._ZN5aiter28grouped_topk_opt_sort_kernelIfDv4_fLi4ELb1ELb1ELb0EEEvPT_PKS2_PfPimiiiif,"axG",@progbits,_ZN5aiter28grouped_topk_opt_sort_kernelIfDv4_fLi4ELb1ELb1ELb0EEEvPT_PKS2_PfPimiiiif,comdat
	.protected	_ZN5aiter28grouped_topk_opt_sort_kernelIfDv4_fLi4ELb1ELb1ELb0EEEvPT_PKS2_PfPimiiiif ; -- Begin function _ZN5aiter28grouped_topk_opt_sort_kernelIfDv4_fLi4ELb1ELb1ELb0EEEvPT_PKS2_PfPimiiiif
	.globl	_ZN5aiter28grouped_topk_opt_sort_kernelIfDv4_fLi4ELb1ELb1ELb0EEEvPT_PKS2_PfPimiiiif
	.p2align	8
	.type	_ZN5aiter28grouped_topk_opt_sort_kernelIfDv4_fLi4ELb1ELb1ELb0EEEvPT_PKS2_PfPimiiiif,@function
_ZN5aiter28grouped_topk_opt_sort_kernelIfDv4_fLi4ELb1ELb1ELb0EEEvPT_PKS2_PfPimiiiif: ; @_ZN5aiter28grouped_topk_opt_sort_kernelIfDv4_fLi4ELb1ELb1ELb0EEEvPT_PKS2_PfPimiiiif
; %bb.0:
	s_load_dword s7, s[4:5], 0x28
	s_load_dwordx4 s[0:3], s[4:5], 0x0
	s_load_dword s8, s[4:5], 0x30
	v_lshlrev_b32_e32 v1, 4, v0
	v_mbcnt_lo_u32_b32 v10, -1, 0
	s_waitcnt lgkmcnt(0)
	s_mul_i32 s4, s6, s7
	s_ashr_i32 s5, s4, 31
	s_lshl_b64 s[4:5], s[4:5], 2
	s_add_u32 s0, s0, s4
	s_addc_u32 s1, s1, s5
	global_load_dwordx4 v[6:9], v1, s[0:1]
	global_load_dwordx4 v[2:5], v1, s[2:3]
	v_mbcnt_hi_u32_b32 v10, -1, v10
	v_and_b32_e32 v18, 64, v10
	s_mov_b32 s0, 0x652b82fe
	v_lshrrev_b32_e32 v11, 1, v0
	v_and_or_b32 v10, v1, 48, v18
	s_mov_b32 s1, 0xbff71547
	v_and_b32_e32 v12, 2, v0
	v_xor_b32_e32 v19, v11, v0
	v_lshlrev_b32_e32 v22, 2, v10
	v_mov_b32_e32 v16, 0xff800000
	v_mov_b32_e32 v17, 0x7f800000
	v_and_b32_e32 v13, 1, v0
	v_cmp_eq_u32_e32 vcc, 0, v12
	s_mov_b32 s4, 0xc2fc0000
	v_cndmask_b32_e32 v20, v16, v17, vcc
	v_cmp_eq_u32_e32 vcc, 0, v13
	v_mov_b32_e32 v14, 0x42800000
	v_cndmask_b32_e32 v21, v16, v17, vcc
	v_mov_b32_e32 v15, 0x1f800000
	s_mov_b32 s6, 0xff800000
	v_add_u32_e32 v1, 0, v1
	s_waitcnt vmcnt(1)
	v_cvt_f64_f32_e32 v[10:11], v6
	v_cvt_f64_f32_e32 v[6:7], v7
	v_mul_f64 v[10:11], v[10:11], s[0:1]
	v_cvt_f64_f32_e32 v[12:13], v8
	v_cvt_f64_f32_e32 v[8:9], v9
	v_mul_f64 v[6:7], v[6:7], s[0:1]
	v_cvt_f32_f64_e32 v10, v[10:11]
	v_mul_f64 v[12:13], v[12:13], s[0:1]
	v_mul_f64 v[8:9], v[8:9], s[0:1]
	v_cvt_f32_f64_e32 v6, v[6:7]
	v_cmp_gt_f32_e32 vcc, s4, v10
	v_cvt_f32_f64_e32 v7, v[12:13]
	v_cvt_f32_f64_e32 v8, v[8:9]
	v_cndmask_b32_e32 v9, 0, v14, vcc
	v_cmp_gt_f32_e64 s[0:1], s4, v6
	v_cndmask_b32_e64 v11, 0, v14, s[0:1]
	v_cmp_gt_f32_e64 s[2:3], s4, v7
	v_add_f32_e32 v9, v10, v9
	v_cndmask_b32_e64 v12, 0, v14, s[2:3]
	v_cmp_gt_f32_e64 s[4:5], s4, v8
	v_add_f32_e32 v6, v6, v11
	v_exp_f32_e32 v9, v9
	v_cndmask_b32_e64 v13, 0, v14, s[4:5]
	v_add_f32_e32 v7, v7, v12
	v_exp_f32_e32 v6, v6
	v_add_f32_e32 v8, v8, v13
	v_exp_f32_e32 v7, v7
	v_cndmask_b32_e32 v10, 1.0, v15, vcc
	v_exp_f32_e32 v8, v8
	v_cndmask_b32_e64 v11, 1.0, v15, s[0:1]
	v_fma_f32 v9, v9, v10, 1.0
	v_cndmask_b32_e64 v12, 1.0, v15, s[2:3]
	v_fma_f32 v6, v6, v11, 1.0
	v_rcp_f32_e32 v9, v9
	v_cndmask_b32_e64 v13, 1.0, v15, s[4:5]
	v_fma_f32 v7, v7, v12, 1.0
	v_rcp_f32_e32 v6, v6
	v_fma_f32 v8, v8, v13, 1.0
	v_rcp_f32_e32 v7, v7
	v_rcp_f32_e32 v8, v8
	s_waitcnt vmcnt(0)
	v_add_f32_e32 v2, v2, v9
	v_add_f32_e32 v3, v3, v6
	v_cmp_o_f32_e32 vcc, v2, v2
	v_add_f32_e32 v4, v4, v7
	v_cndmask_b32_e32 v2, v16, v2, vcc
	v_cmp_o_f32_e32 vcc, v3, v3
	v_add_f32_e32 v5, v5, v8
	v_cndmask_b32_e32 v3, v16, v3, vcc
	v_cmp_o_f32_e32 vcc, v4, v4
	v_cndmask_b32_e32 v4, v16, v4, vcc
	v_cmp_o_f32_e32 vcc, v5, v5
	v_max_f32_e32 v7, v2, v2
	v_max_f32_e32 v8, v3, v3
	v_cndmask_b32_e32 v5, v16, v5, vcc
	v_med3_f32 v6, v3, v2, s6
	v_max_f32_e32 v9, v4, v4
	v_max_f32_e32 v7, v8, v7
	;; [unrolled: 1-line block ×3, first 2 shown]
	v_med3_f32 v6, v4, v7, v6
	v_max_f32_e32 v7, v9, v7
	v_med3_f32 v6, v5, v7, v6
	v_max_f32_e32 v7, v10, v7
	v_add_f32_e32 v6, v6, v7
	ds_bpermute_b32 v6, v22, v6
	v_and_b32_e32 v7, 1, v19
	v_cmp_eq_u32_e32 vcc, 0, v7
	v_cndmask_b32_e32 v7, v16, v17, vcc
	v_lshlrev_b32_e32 v8, 2, v18
	s_waitcnt lgkmcnt(0)
	v_mov_b32_dpp v9, v6 quad_perm:[1,0,3,2] row_mask:0xf bank_mask:0xf bound_ctrl:1
	v_med3_f32 v7, v6, v9, v7
	ds_write_b128 v1, v[2:5]
	s_nop 0
	v_mov_b32_dpp v9, v7 quad_perm:[2,3,0,1] row_mask:0xf bank_mask:0xf bound_ctrl:1
	v_med3_f32 v7, v7, v9, v20
	s_nop 1
	v_mov_b32_dpp v9, v7 quad_perm:[1,0,3,2] row_mask:0xf bank_mask:0xf bound_ctrl:1
	v_med3_f32 v7, v7, v9, v21
	ds_bpermute_b32 v7, v8, v7 offset:12
	s_waitcnt lgkmcnt(0)
	v_cmp_gt_f32_e32 vcc, v6, v7
	v_cndmask_b32_e64 v1, 0, 1, vcc
	v_cmp_eq_f32_e64 s[0:1], v6, v7
	v_cndmask_b32_e64 v2, 0, 1, s[0:1]
	v_mov_b32_dpp v1, v1 row_shr:1 row_mask:0xf bank_mask:0xf bound_ctrl:1
	v_addc_co_u32_e64 v3, s[4:5], 0, v1, vcc
	v_mov_b32_dpp v2, v2 row_shr:1 row_mask:0xf bank_mask:0xf bound_ctrl:1
	s_nop 0
	v_mov_b32_dpp v3, v3 row_shr:2 row_mask:0xf bank_mask:0xf bound_ctrl:1
	v_addc_co_u32_e64 v4, s[4:5], 0, v2, s[0:1]
	v_addc_co_u32_e32 v1, vcc, v3, v1, vcc
	v_readlane_b32 s4, v1, 3
	v_mov_b32_e32 v3, s4
	v_addc_co_u32_e64 v2, vcc, v3, v2, s[0:1]
	v_cmp_ge_f32_e64 s[2:3], v6, v7
	s_nop 0
	v_add_u32_dpp v2, v4, v2 row_shr:2 row_mask:0xf bank_mask:0xf bound_ctrl:1
	v_cndmask_b32_e64 v1, v1, v2, s[0:1]
	v_cmp_ge_i32_e32 vcc, s8, v1
	s_and_b64 s[0:1], s[2:3], vcc
	v_cmp_gt_u32_e32 vcc, 4, v0
	s_and_b64 s[2:3], vcc, s[0:1]
	s_and_saveexec_b64 s[0:1], s[2:3]
	s_cbranch_execz .LBB25_2
; %bb.1:
	s_lshl_b32 s2, s7, 2
	s_add_i32 s2, s2, 0
	v_lshl_add_u32 v1, v1, 2, s2
	ds_write_b32 v1, v0 offset:12
.LBB25_2:
	s_or_b64 exec, exec, s[0:1]
	s_waitcnt lgkmcnt(0)
	s_barrier
	s_endpgm
	.section	.rodata,"a",@progbits
	.p2align	6, 0x0
	.amdhsa_kernel _ZN5aiter28grouped_topk_opt_sort_kernelIfDv4_fLi4ELb1ELb1ELb0EEEvPT_PKS2_PfPimiiiif
		.amdhsa_group_segment_fixed_size 0
		.amdhsa_private_segment_fixed_size 0
		.amdhsa_kernarg_size 60
		.amdhsa_user_sgpr_count 6
		.amdhsa_user_sgpr_private_segment_buffer 1
		.amdhsa_user_sgpr_dispatch_ptr 0
		.amdhsa_user_sgpr_queue_ptr 0
		.amdhsa_user_sgpr_kernarg_segment_ptr 1
		.amdhsa_user_sgpr_dispatch_id 0
		.amdhsa_user_sgpr_flat_scratch_init 0
		.amdhsa_user_sgpr_kernarg_preload_length 0
		.amdhsa_user_sgpr_kernarg_preload_offset 0
		.amdhsa_user_sgpr_private_segment_size 0
		.amdhsa_uses_dynamic_stack 0
		.amdhsa_system_sgpr_private_segment_wavefront_offset 0
		.amdhsa_system_sgpr_workgroup_id_x 1
		.amdhsa_system_sgpr_workgroup_id_y 0
		.amdhsa_system_sgpr_workgroup_id_z 0
		.amdhsa_system_sgpr_workgroup_info 0
		.amdhsa_system_vgpr_workitem_id 0
		.amdhsa_next_free_vgpr 23
		.amdhsa_next_free_sgpr 9
		.amdhsa_accum_offset 24
		.amdhsa_reserve_vcc 1
		.amdhsa_reserve_flat_scratch 0
		.amdhsa_float_round_mode_32 0
		.amdhsa_float_round_mode_16_64 0
		.amdhsa_float_denorm_mode_32 3
		.amdhsa_float_denorm_mode_16_64 3
		.amdhsa_dx10_clamp 1
		.amdhsa_ieee_mode 1
		.amdhsa_fp16_overflow 0
		.amdhsa_tg_split 0
		.amdhsa_exception_fp_ieee_invalid_op 0
		.amdhsa_exception_fp_denorm_src 0
		.amdhsa_exception_fp_ieee_div_zero 0
		.amdhsa_exception_fp_ieee_overflow 0
		.amdhsa_exception_fp_ieee_underflow 0
		.amdhsa_exception_fp_ieee_inexact 0
		.amdhsa_exception_int_div_zero 0
	.end_amdhsa_kernel
	.section	.text._ZN5aiter28grouped_topk_opt_sort_kernelIfDv4_fLi4ELb1ELb1ELb0EEEvPT_PKS2_PfPimiiiif,"axG",@progbits,_ZN5aiter28grouped_topk_opt_sort_kernelIfDv4_fLi4ELb1ELb1ELb0EEEvPT_PKS2_PfPimiiiif,comdat
.Lfunc_end25:
	.size	_ZN5aiter28grouped_topk_opt_sort_kernelIfDv4_fLi4ELb1ELb1ELb0EEEvPT_PKS2_PfPimiiiif, .Lfunc_end25-_ZN5aiter28grouped_topk_opt_sort_kernelIfDv4_fLi4ELb1ELb1ELb0EEEvPT_PKS2_PfPimiiiif
                                        ; -- End function
	.section	.AMDGPU.csdata,"",@progbits
; Kernel info:
; codeLenInByte = 832
; NumSgprs: 13
; NumVgprs: 23
; NumAgprs: 0
; TotalNumVgprs: 23
; ScratchSize: 0
; MemoryBound: 0
; FloatMode: 240
; IeeeMode: 1
; LDSByteSize: 0 bytes/workgroup (compile time only)
; SGPRBlocks: 1
; VGPRBlocks: 2
; NumSGPRsForWavesPerEU: 13
; NumVGPRsForWavesPerEU: 23
; AccumOffset: 24
; Occupancy: 8
; WaveLimiterHint : 0
; COMPUTE_PGM_RSRC2:SCRATCH_EN: 0
; COMPUTE_PGM_RSRC2:USER_SGPR: 6
; COMPUTE_PGM_RSRC2:TRAP_HANDLER: 0
; COMPUTE_PGM_RSRC2:TGID_X_EN: 1
; COMPUTE_PGM_RSRC2:TGID_Y_EN: 0
; COMPUTE_PGM_RSRC2:TGID_Z_EN: 0
; COMPUTE_PGM_RSRC2:TIDIG_COMP_CNT: 0
; COMPUTE_PGM_RSRC3_GFX90A:ACCUM_OFFSET: 5
; COMPUTE_PGM_RSRC3_GFX90A:TG_SPLIT: 0
	.section	.text._ZN5aiter28grouped_topk_opt_sort_kernelIN3c104HalfEDv4_fLi4ELb1ELb1ELb0EEEvPT_PKS4_PfPimiiiif,"axG",@progbits,_ZN5aiter28grouped_topk_opt_sort_kernelIN3c104HalfEDv4_fLi4ELb1ELb1ELb0EEEvPT_PKS4_PfPimiiiif,comdat
	.protected	_ZN5aiter28grouped_topk_opt_sort_kernelIN3c104HalfEDv4_fLi4ELb1ELb1ELb0EEEvPT_PKS4_PfPimiiiif ; -- Begin function _ZN5aiter28grouped_topk_opt_sort_kernelIN3c104HalfEDv4_fLi4ELb1ELb1ELb0EEEvPT_PKS4_PfPimiiiif
	.globl	_ZN5aiter28grouped_topk_opt_sort_kernelIN3c104HalfEDv4_fLi4ELb1ELb1ELb0EEEvPT_PKS4_PfPimiiiif
	.p2align	8
	.type	_ZN5aiter28grouped_topk_opt_sort_kernelIN3c104HalfEDv4_fLi4ELb1ELb1ELb0EEEvPT_PKS4_PfPimiiiif,@function
_ZN5aiter28grouped_topk_opt_sort_kernelIN3c104HalfEDv4_fLi4ELb1ELb1ELb0EEEvPT_PKS4_PfPimiiiif: ; @_ZN5aiter28grouped_topk_opt_sort_kernelIN3c104HalfEDv4_fLi4ELb1ELb1ELb0EEEvPT_PKS4_PfPimiiiif
; %bb.0:
	s_load_dword s7, s[4:5], 0x28
	s_load_dwordx4 s[0:3], s[4:5], 0x0
	s_load_dword s8, s[4:5], 0x30
	v_lshlrev_b32_e32 v1, 3, v0
	v_mbcnt_lo_u32_b32 v6, -1, 0
	s_waitcnt lgkmcnt(0)
	s_mul_i32 s4, s6, s7
	s_ashr_i32 s5, s4, 31
	s_lshl_b64 s[4:5], s[4:5], 1
	s_add_u32 s0, s0, s4
	s_addc_u32 s1, s1, s5
	global_load_dwordx2 v[2:3], v1, s[0:1]
	global_load_dwordx2 v[4:5], v1, s[2:3]
	v_mbcnt_hi_u32_b32 v6, -1, v6
	v_lshlrev_b32_e32 v13, 4, v0
	v_and_b32_e32 v14, 64, v6
	v_and_or_b32 v6, v13, 48, v14
	v_lshrrev_b32_e32 v7, 1, v0
	v_lshlrev_b32_e32 v18, 2, v6
	v_and_b32_e32 v8, 2, v0
	v_xor_b32_e32 v15, v7, v0
	v_mov_b32_e32 v11, 0xff800000
	v_mov_b32_e32 v12, 0x7f800000
	v_and_b32_e32 v9, 1, v0
	v_cmp_eq_u32_e32 vcc, 0, v8
	s_mov_b32 s0, 0x652b82fe
	v_cndmask_b32_e32 v16, v11, v12, vcc
	v_cmp_eq_u32_e32 vcc, 0, v9
	s_mov_b32 s1, 0xbff71547
	s_mov_b32 s4, 0xc2fc0000
	v_mov_b32_e32 v1, 0x42800000
	v_cndmask_b32_e32 v17, v11, v12, vcc
	v_mov_b32_e32 v10, 0x1f800000
	s_mov_b32 s6, 0xff800000
	s_waitcnt vmcnt(1)
	v_cvt_f32_f16_e32 v6, v2
	v_cvt_f32_f16_sdwa v7, v2 dst_sel:DWORD dst_unused:UNUSED_PAD src0_sel:WORD_1
	v_cvt_f32_f16_e32 v8, v3
	v_cvt_f32_f16_sdwa v9, v3 dst_sel:DWORD dst_unused:UNUSED_PAD src0_sel:WORD_1
	v_cvt_f64_f32_e32 v[2:3], v6
	s_waitcnt vmcnt(0)
	v_cvt_f32_f16_e32 v19, v4
	v_cvt_f32_f16_sdwa v20, v4 dst_sel:DWORD dst_unused:UNUSED_PAD src0_sel:WORD_1
	v_cvt_f32_f16_e32 v21, v5
	v_cvt_f32_f16_sdwa v22, v5 dst_sel:DWORD dst_unused:UNUSED_PAD src0_sel:WORD_1
	v_cvt_f64_f32_e32 v[4:5], v7
	v_mul_f64 v[2:3], v[2:3], s[0:1]
	v_cvt_f64_f32_e32 v[6:7], v8
	v_mul_f64 v[4:5], v[4:5], s[0:1]
	v_cvt_f32_f64_e32 v2, v[2:3]
	v_cvt_f64_f32_e32 v[8:9], v9
	v_mul_f64 v[6:7], v[6:7], s[0:1]
	v_cvt_f32_f64_e32 v3, v[4:5]
	v_cmp_gt_f32_e32 vcc, s4, v2
	v_mul_f64 v[8:9], v[8:9], s[0:1]
	v_cvt_f32_f64_e32 v4, v[6:7]
	v_cndmask_b32_e32 v6, 0, v1, vcc
	v_cmp_gt_f32_e64 s[0:1], s4, v3
	v_cvt_f32_f64_e32 v5, v[8:9]
	v_cndmask_b32_e64 v7, 0, v1, s[0:1]
	v_cmp_gt_f32_e64 s[2:3], s4, v4
	v_add_f32_e32 v2, v2, v6
	v_cndmask_b32_e64 v8, 0, v1, s[2:3]
	v_cmp_gt_f32_e64 s[4:5], s4, v5
	v_add_f32_e32 v3, v3, v7
	v_exp_f32_e32 v2, v2
	v_cndmask_b32_e64 v1, 0, v1, s[4:5]
	v_add_f32_e32 v4, v4, v8
	v_exp_f32_e32 v3, v3
	v_add_f32_e32 v1, v5, v1
	v_exp_f32_e32 v4, v4
	v_cndmask_b32_e32 v6, 1.0, v10, vcc
	v_exp_f32_e32 v1, v1
	v_cndmask_b32_e64 v7, 1.0, v10, s[0:1]
	v_fma_f32 v2, v2, v6, 1.0
	v_cndmask_b32_e64 v8, 1.0, v10, s[2:3]
	v_fma_f32 v3, v3, v7, 1.0
	v_rcp_f32_e32 v2, v2
	v_cndmask_b32_e64 v5, 1.0, v10, s[4:5]
	v_fma_f32 v4, v4, v8, 1.0
	v_rcp_f32_e32 v3, v3
	v_fma_f32 v1, v1, v5, 1.0
	v_rcp_f32_e32 v4, v4
	v_rcp_f32_e32 v1, v1
	v_add_f32_e32 v2, v2, v19
	v_add_f32_e32 v3, v3, v20
	v_cmp_o_f32_e32 vcc, v2, v2
	v_add_f32_e32 v4, v4, v21
	v_cndmask_b32_e32 v2, v11, v2, vcc
	v_cmp_o_f32_e32 vcc, v3, v3
	v_add_f32_e32 v1, v1, v22
	v_cndmask_b32_e32 v3, v11, v3, vcc
	v_cmp_o_f32_e32 vcc, v4, v4
	v_cndmask_b32_e32 v4, v11, v4, vcc
	v_cmp_o_f32_e32 vcc, v1, v1
	v_max_f32_e32 v6, v2, v2
	v_max_f32_e32 v7, v3, v3
	v_cndmask_b32_e32 v5, v11, v1, vcc
	v_med3_f32 v1, v3, v2, s6
	v_max_f32_e32 v8, v4, v4
	v_max_f32_e32 v6, v7, v6
	;; [unrolled: 1-line block ×3, first 2 shown]
	v_med3_f32 v1, v4, v6, v1
	v_max_f32_e32 v6, v8, v6
	v_med3_f32 v1, v5, v6, v1
	v_max_f32_e32 v6, v9, v6
	v_add_f32_e32 v1, v1, v6
	ds_bpermute_b32 v1, v18, v1
	v_and_b32_e32 v6, 1, v15
	v_cmp_eq_u32_e32 vcc, 0, v6
	v_cndmask_b32_e32 v6, v11, v12, vcc
	v_lshlrev_b32_e32 v7, 2, v14
	s_waitcnt lgkmcnt(0)
	v_mov_b32_dpp v8, v1 quad_perm:[1,0,3,2] row_mask:0xf bank_mask:0xf bound_ctrl:1
	v_med3_f32 v6, v1, v8, v6
	s_nop 1
	v_mov_b32_dpp v8, v6 quad_perm:[2,3,0,1] row_mask:0xf bank_mask:0xf bound_ctrl:1
	v_med3_f32 v6, v6, v8, v16
	s_nop 1
	v_mov_b32_dpp v8, v6 quad_perm:[1,0,3,2] row_mask:0xf bank_mask:0xf bound_ctrl:1
	v_med3_f32 v6, v6, v8, v17
	ds_bpermute_b32 v6, v7, v6 offset:12
	v_add_u32_e32 v7, 0, v13
	ds_write_b128 v7, v[2:5]
	s_waitcnt lgkmcnt(1)
	v_cmp_gt_f32_e32 vcc, v1, v6
	v_cndmask_b32_e64 v2, 0, 1, vcc
	v_cmp_eq_f32_e64 s[0:1], v1, v6
	v_cndmask_b32_e64 v3, 0, 1, s[0:1]
	v_cmp_ge_f32_e64 s[2:3], v1, v6
	v_mov_b32_dpp v1, v2 row_shr:1 row_mask:0xf bank_mask:0xf bound_ctrl:1
	v_mov_b32_dpp v2, v3 row_shr:1 row_mask:0xf bank_mask:0xf bound_ctrl:1
	v_addc_co_u32_e64 v3, s[4:5], 0, v1, vcc
	v_addc_co_u32_e64 v4, s[4:5], 0, v2, s[0:1]
	s_nop 0
	v_mov_b32_dpp v3, v3 row_shr:2 row_mask:0xf bank_mask:0xf bound_ctrl:1
	v_addc_co_u32_e32 v1, vcc, v3, v1, vcc
	v_readlane_b32 s4, v1, 3
	v_mov_b32_e32 v3, s4
	v_addc_co_u32_e64 v2, vcc, v3, v2, s[0:1]
	s_nop 1
	v_add_u32_dpp v2, v4, v2 row_shr:2 row_mask:0xf bank_mask:0xf bound_ctrl:1
	v_cndmask_b32_e64 v1, v1, v2, s[0:1]
	v_cmp_ge_i32_e32 vcc, s8, v1
	s_and_b64 s[0:1], s[2:3], vcc
	v_cmp_gt_u32_e32 vcc, 4, v0
	s_and_b64 s[2:3], vcc, s[0:1]
	s_and_saveexec_b64 s[0:1], s[2:3]
	s_cbranch_execz .LBB26_2
; %bb.1:
	s_lshl_b32 s2, s7, 2
	s_add_i32 s2, s2, 0
	v_lshl_add_u32 v1, v1, 2, s2
	ds_write_b32 v1, v0 offset:12
.LBB26_2:
	s_or_b64 exec, exec, s[0:1]
	s_waitcnt lgkmcnt(0)
	s_barrier
	s_endpgm
	.section	.rodata,"a",@progbits
	.p2align	6, 0x0
	.amdhsa_kernel _ZN5aiter28grouped_topk_opt_sort_kernelIN3c104HalfEDv4_fLi4ELb1ELb1ELb0EEEvPT_PKS4_PfPimiiiif
		.amdhsa_group_segment_fixed_size 0
		.amdhsa_private_segment_fixed_size 0
		.amdhsa_kernarg_size 60
		.amdhsa_user_sgpr_count 6
		.amdhsa_user_sgpr_private_segment_buffer 1
		.amdhsa_user_sgpr_dispatch_ptr 0
		.amdhsa_user_sgpr_queue_ptr 0
		.amdhsa_user_sgpr_kernarg_segment_ptr 1
		.amdhsa_user_sgpr_dispatch_id 0
		.amdhsa_user_sgpr_flat_scratch_init 0
		.amdhsa_user_sgpr_kernarg_preload_length 0
		.amdhsa_user_sgpr_kernarg_preload_offset 0
		.amdhsa_user_sgpr_private_segment_size 0
		.amdhsa_uses_dynamic_stack 0
		.amdhsa_system_sgpr_private_segment_wavefront_offset 0
		.amdhsa_system_sgpr_workgroup_id_x 1
		.amdhsa_system_sgpr_workgroup_id_y 0
		.amdhsa_system_sgpr_workgroup_id_z 0
		.amdhsa_system_sgpr_workgroup_info 0
		.amdhsa_system_vgpr_workitem_id 0
		.amdhsa_next_free_vgpr 23
		.amdhsa_next_free_sgpr 9
		.amdhsa_accum_offset 24
		.amdhsa_reserve_vcc 1
		.amdhsa_reserve_flat_scratch 0
		.amdhsa_float_round_mode_32 0
		.amdhsa_float_round_mode_16_64 0
		.amdhsa_float_denorm_mode_32 3
		.amdhsa_float_denorm_mode_16_64 3
		.amdhsa_dx10_clamp 1
		.amdhsa_ieee_mode 1
		.amdhsa_fp16_overflow 0
		.amdhsa_tg_split 0
		.amdhsa_exception_fp_ieee_invalid_op 0
		.amdhsa_exception_fp_denorm_src 0
		.amdhsa_exception_fp_ieee_div_zero 0
		.amdhsa_exception_fp_ieee_overflow 0
		.amdhsa_exception_fp_ieee_underflow 0
		.amdhsa_exception_fp_ieee_inexact 0
		.amdhsa_exception_int_div_zero 0
	.end_amdhsa_kernel
	.section	.text._ZN5aiter28grouped_topk_opt_sort_kernelIN3c104HalfEDv4_fLi4ELb1ELb1ELb0EEEvPT_PKS4_PfPimiiiif,"axG",@progbits,_ZN5aiter28grouped_topk_opt_sort_kernelIN3c104HalfEDv4_fLi4ELb1ELb1ELb0EEEvPT_PKS4_PfPimiiiif,comdat
.Lfunc_end26:
	.size	_ZN5aiter28grouped_topk_opt_sort_kernelIN3c104HalfEDv4_fLi4ELb1ELb1ELb0EEEvPT_PKS4_PfPimiiiif, .Lfunc_end26-_ZN5aiter28grouped_topk_opt_sort_kernelIN3c104HalfEDv4_fLi4ELb1ELb1ELb0EEEvPT_PKS4_PfPimiiiif
                                        ; -- End function
	.section	.AMDGPU.csdata,"",@progbits
; Kernel info:
; codeLenInByte = 884
; NumSgprs: 13
; NumVgprs: 23
; NumAgprs: 0
; TotalNumVgprs: 23
; ScratchSize: 0
; MemoryBound: 0
; FloatMode: 240
; IeeeMode: 1
; LDSByteSize: 0 bytes/workgroup (compile time only)
; SGPRBlocks: 1
; VGPRBlocks: 2
; NumSGPRsForWavesPerEU: 13
; NumVGPRsForWavesPerEU: 23
; AccumOffset: 24
; Occupancy: 8
; WaveLimiterHint : 0
; COMPUTE_PGM_RSRC2:SCRATCH_EN: 0
; COMPUTE_PGM_RSRC2:USER_SGPR: 6
; COMPUTE_PGM_RSRC2:TRAP_HANDLER: 0
; COMPUTE_PGM_RSRC2:TGID_X_EN: 1
; COMPUTE_PGM_RSRC2:TGID_Y_EN: 0
; COMPUTE_PGM_RSRC2:TGID_Z_EN: 0
; COMPUTE_PGM_RSRC2:TIDIG_COMP_CNT: 0
; COMPUTE_PGM_RSRC3_GFX90A:ACCUM_OFFSET: 5
; COMPUTE_PGM_RSRC3_GFX90A:TG_SPLIT: 0
	.section	.text._ZN5aiter28grouped_topk_opt_sort_kernelIN3c108BFloat16EDv4_fLi4ELb1ELb1ELb0EEEvPT_PKS4_PfPimiiiif,"axG",@progbits,_ZN5aiter28grouped_topk_opt_sort_kernelIN3c108BFloat16EDv4_fLi4ELb1ELb1ELb0EEEvPT_PKS4_PfPimiiiif,comdat
	.protected	_ZN5aiter28grouped_topk_opt_sort_kernelIN3c108BFloat16EDv4_fLi4ELb1ELb1ELb0EEEvPT_PKS4_PfPimiiiif ; -- Begin function _ZN5aiter28grouped_topk_opt_sort_kernelIN3c108BFloat16EDv4_fLi4ELb1ELb1ELb0EEEvPT_PKS4_PfPimiiiif
	.globl	_ZN5aiter28grouped_topk_opt_sort_kernelIN3c108BFloat16EDv4_fLi4ELb1ELb1ELb0EEEvPT_PKS4_PfPimiiiif
	.p2align	8
	.type	_ZN5aiter28grouped_topk_opt_sort_kernelIN3c108BFloat16EDv4_fLi4ELb1ELb1ELb0EEEvPT_PKS4_PfPimiiiif,@function
_ZN5aiter28grouped_topk_opt_sort_kernelIN3c108BFloat16EDv4_fLi4ELb1ELb1ELb0EEEvPT_PKS4_PfPimiiiif: ; @_ZN5aiter28grouped_topk_opt_sort_kernelIN3c108BFloat16EDv4_fLi4ELb1ELb1ELb0EEEvPT_PKS4_PfPimiiiif
; %bb.0:
	s_load_dword s7, s[4:5], 0x28
	s_load_dwordx4 s[0:3], s[4:5], 0x0
	s_load_dword s8, s[4:5], 0x30
	v_lshlrev_b32_e32 v1, 3, v0
	v_mbcnt_lo_u32_b32 v6, -1, 0
	s_waitcnt lgkmcnt(0)
	s_mul_i32 s4, s6, s7
	s_ashr_i32 s5, s4, 31
	s_lshl_b64 s[4:5], s[4:5], 1
	s_add_u32 s0, s0, s4
	s_addc_u32 s1, s1, s5
	global_load_dwordx2 v[2:3], v1, s[0:1]
	global_load_dwordx2 v[4:5], v1, s[2:3]
	v_mbcnt_hi_u32_b32 v6, -1, v6
	v_lshlrev_b32_e32 v13, 4, v0
	v_and_b32_e32 v14, 64, v6
	v_and_b32_e32 v8, 2, v0
	v_and_or_b32 v6, v13, 48, v14
	s_mov_b32 s0, 0x652b82fe
	v_mov_b32_e32 v11, 0xff800000
	v_mov_b32_e32 v12, 0x7f800000
	v_lshrrev_b32_e32 v7, 1, v0
	v_and_b32_e32 v9, 1, v0
	v_cmp_eq_u32_e32 vcc, 0, v8
	v_lshlrev_b32_e32 v18, 2, v6
	s_mov_b32 s1, 0xbff71547
	v_xor_b32_e32 v15, v7, v0
	v_cndmask_b32_e32 v16, v11, v12, vcc
	v_cmp_eq_u32_e32 vcc, 0, v9
	s_mov_b32 s4, 0xc2fc0000
	v_mov_b32_e32 v1, 0x42800000
	v_cndmask_b32_e32 v17, v11, v12, vcc
	v_mov_b32_e32 v10, 0x1f800000
	s_mov_b32 s6, 0xff800000
	s_waitcnt vmcnt(1)
	v_and_b32_e32 v6, 0xffff, v2
	v_lshrrev_b32_e32 v7, 16, v2
	v_and_b32_e32 v8, 0xffff, v3
	v_lshrrev_b32_e32 v9, 16, v3
	v_cvt_f64_u32_e32 v[2:3], v6
	s_waitcnt vmcnt(0)
	v_cvt_f32_u32_sdwa v19, v4 dst_sel:DWORD dst_unused:UNUSED_PAD src0_sel:WORD_0
	v_cvt_f32_u32_sdwa v20, v4 dst_sel:DWORD dst_unused:UNUSED_PAD src0_sel:WORD_1
	v_cvt_f32_u32_sdwa v21, v5 dst_sel:DWORD dst_unused:UNUSED_PAD src0_sel:WORD_0
	v_cvt_f32_u32_sdwa v22, v5 dst_sel:DWORD dst_unused:UNUSED_PAD src0_sel:WORD_1
	v_cvt_f64_u32_e32 v[4:5], v7
	v_mul_f64 v[2:3], v[2:3], s[0:1]
	v_cvt_f64_u32_e32 v[6:7], v8
	v_mul_f64 v[4:5], v[4:5], s[0:1]
	v_cvt_f32_f64_e32 v2, v[2:3]
	v_cvt_f64_u32_e32 v[8:9], v9
	v_mul_f64 v[6:7], v[6:7], s[0:1]
	v_cvt_f32_f64_e32 v3, v[4:5]
	v_cmp_gt_f32_e32 vcc, s4, v2
	v_mul_f64 v[8:9], v[8:9], s[0:1]
	v_cvt_f32_f64_e32 v4, v[6:7]
	v_cndmask_b32_e32 v6, 0, v1, vcc
	v_cmp_gt_f32_e64 s[0:1], s4, v3
	v_cvt_f32_f64_e32 v5, v[8:9]
	v_cndmask_b32_e64 v7, 0, v1, s[0:1]
	v_cmp_gt_f32_e64 s[2:3], s4, v4
	v_add_f32_e32 v2, v2, v6
	v_cndmask_b32_e64 v8, 0, v1, s[2:3]
	v_cmp_gt_f32_e64 s[4:5], s4, v5
	v_add_f32_e32 v3, v3, v7
	v_exp_f32_e32 v2, v2
	v_cndmask_b32_e64 v1, 0, v1, s[4:5]
	v_add_f32_e32 v4, v4, v8
	v_exp_f32_e32 v3, v3
	v_add_f32_e32 v1, v5, v1
	v_exp_f32_e32 v4, v4
	v_cndmask_b32_e32 v6, 1.0, v10, vcc
	v_exp_f32_e32 v1, v1
	v_cndmask_b32_e64 v7, 1.0, v10, s[0:1]
	v_fma_f32 v2, v2, v6, 1.0
	v_cndmask_b32_e64 v8, 1.0, v10, s[2:3]
	v_fma_f32 v3, v3, v7, 1.0
	v_rcp_f32_e32 v2, v2
	v_cndmask_b32_e64 v5, 1.0, v10, s[4:5]
	v_fma_f32 v4, v4, v8, 1.0
	v_rcp_f32_e32 v3, v3
	v_fma_f32 v1, v1, v5, 1.0
	v_rcp_f32_e32 v4, v4
	v_rcp_f32_e32 v1, v1
	v_add_f32_e32 v2, v2, v19
	v_add_f32_e32 v3, v3, v20
	v_cmp_o_f32_e32 vcc, v2, v2
	v_add_f32_e32 v4, v4, v21
	v_cndmask_b32_e32 v2, v11, v2, vcc
	v_cmp_o_f32_e32 vcc, v3, v3
	v_add_f32_e32 v1, v1, v22
	v_cndmask_b32_e32 v3, v11, v3, vcc
	v_cmp_o_f32_e32 vcc, v4, v4
	v_cndmask_b32_e32 v4, v11, v4, vcc
	v_cmp_o_f32_e32 vcc, v1, v1
	v_max_f32_e32 v6, v2, v2
	v_max_f32_e32 v7, v3, v3
	v_cndmask_b32_e32 v5, v11, v1, vcc
	v_med3_f32 v1, v3, v2, s6
	v_max_f32_e32 v8, v4, v4
	v_max_f32_e32 v6, v7, v6
	;; [unrolled: 1-line block ×3, first 2 shown]
	v_med3_f32 v1, v4, v6, v1
	v_max_f32_e32 v6, v8, v6
	v_med3_f32 v1, v5, v6, v1
	v_max_f32_e32 v6, v9, v6
	v_add_f32_e32 v1, v1, v6
	ds_bpermute_b32 v6, v18, v1
	v_and_b32_e32 v1, 1, v15
	v_cmp_eq_u32_e32 vcc, 0, v1
	v_cndmask_b32_e32 v1, v11, v12, vcc
	v_lshlrev_b32_e32 v7, 2, v14
	s_waitcnt lgkmcnt(0)
	v_mov_b32_dpp v8, v6 quad_perm:[1,0,3,2] row_mask:0xf bank_mask:0xf bound_ctrl:1
	v_med3_f32 v1, v6, v8, v1
	s_nop 1
	v_mov_b32_dpp v8, v1 quad_perm:[2,3,0,1] row_mask:0xf bank_mask:0xf bound_ctrl:1
	v_med3_f32 v1, v1, v8, v16
	s_nop 1
	v_mov_b32_dpp v8, v1 quad_perm:[1,0,3,2] row_mask:0xf bank_mask:0xf bound_ctrl:1
	v_med3_f32 v1, v1, v8, v17
	ds_bpermute_b32 v7, v7, v1 offset:12
	v_add_u32_e32 v1, 0, v13
	ds_write_b128 v1, v[2:5]
	s_waitcnt lgkmcnt(1)
	v_cmp_gt_f32_e32 vcc, v6, v7
	v_cndmask_b32_e64 v1, 0, 1, vcc
	v_cmp_eq_f32_e64 s[0:1], v6, v7
	v_cndmask_b32_e64 v2, 0, 1, s[0:1]
	v_mov_b32_dpp v1, v1 row_shr:1 row_mask:0xf bank_mask:0xf bound_ctrl:1
	v_addc_co_u32_e64 v3, s[2:3], 0, v1, vcc
	v_mov_b32_dpp v2, v2 row_shr:1 row_mask:0xf bank_mask:0xf bound_ctrl:1
	s_nop 0
	v_mov_b32_dpp v3, v3 row_shr:2 row_mask:0xf bank_mask:0xf bound_ctrl:1
	v_addc_co_u32_e64 v4, s[2:3], 0, v2, s[0:1]
	v_addc_co_u32_e32 v1, vcc, v3, v1, vcc
	v_readlane_b32 s2, v1, 3
	v_mov_b32_e32 v3, s2
	v_addc_co_u32_e64 v2, vcc, v3, v2, s[0:1]
	v_cmp_ge_f32_e32 vcc, v6, v7
	s_nop 0
	v_add_u32_dpp v2, v4, v2 row_shr:2 row_mask:0xf bank_mask:0xf bound_ctrl:1
	v_cndmask_b32_e64 v1, v1, v2, s[0:1]
	v_cmp_ge_i32_e64 s[0:1], s8, v1
	s_and_b64 s[0:1], vcc, s[0:1]
	v_cmp_gt_u32_e32 vcc, 4, v0
	s_and_b64 s[2:3], vcc, s[0:1]
	s_and_saveexec_b64 s[0:1], s[2:3]
	s_cbranch_execz .LBB27_2
; %bb.1:
	s_lshl_b32 s2, s7, 2
	s_add_i32 s2, s2, 0
	v_lshl_add_u32 v1, v1, 2, s2
	ds_write_b32 v1, v0 offset:12
.LBB27_2:
	s_or_b64 exec, exec, s[0:1]
	s_waitcnt lgkmcnt(0)
	s_barrier
	s_endpgm
	.section	.rodata,"a",@progbits
	.p2align	6, 0x0
	.amdhsa_kernel _ZN5aiter28grouped_topk_opt_sort_kernelIN3c108BFloat16EDv4_fLi4ELb1ELb1ELb0EEEvPT_PKS4_PfPimiiiif
		.amdhsa_group_segment_fixed_size 0
		.amdhsa_private_segment_fixed_size 0
		.amdhsa_kernarg_size 60
		.amdhsa_user_sgpr_count 6
		.amdhsa_user_sgpr_private_segment_buffer 1
		.amdhsa_user_sgpr_dispatch_ptr 0
		.amdhsa_user_sgpr_queue_ptr 0
		.amdhsa_user_sgpr_kernarg_segment_ptr 1
		.amdhsa_user_sgpr_dispatch_id 0
		.amdhsa_user_sgpr_flat_scratch_init 0
		.amdhsa_user_sgpr_kernarg_preload_length 0
		.amdhsa_user_sgpr_kernarg_preload_offset 0
		.amdhsa_user_sgpr_private_segment_size 0
		.amdhsa_uses_dynamic_stack 0
		.amdhsa_system_sgpr_private_segment_wavefront_offset 0
		.amdhsa_system_sgpr_workgroup_id_x 1
		.amdhsa_system_sgpr_workgroup_id_y 0
		.amdhsa_system_sgpr_workgroup_id_z 0
		.amdhsa_system_sgpr_workgroup_info 0
		.amdhsa_system_vgpr_workitem_id 0
		.amdhsa_next_free_vgpr 23
		.amdhsa_next_free_sgpr 9
		.amdhsa_accum_offset 24
		.amdhsa_reserve_vcc 1
		.amdhsa_reserve_flat_scratch 0
		.amdhsa_float_round_mode_32 0
		.amdhsa_float_round_mode_16_64 0
		.amdhsa_float_denorm_mode_32 3
		.amdhsa_float_denorm_mode_16_64 3
		.amdhsa_dx10_clamp 1
		.amdhsa_ieee_mode 1
		.amdhsa_fp16_overflow 0
		.amdhsa_tg_split 0
		.amdhsa_exception_fp_ieee_invalid_op 0
		.amdhsa_exception_fp_denorm_src 0
		.amdhsa_exception_fp_ieee_div_zero 0
		.amdhsa_exception_fp_ieee_overflow 0
		.amdhsa_exception_fp_ieee_underflow 0
		.amdhsa_exception_fp_ieee_inexact 0
		.amdhsa_exception_int_div_zero 0
	.end_amdhsa_kernel
	.section	.text._ZN5aiter28grouped_topk_opt_sort_kernelIN3c108BFloat16EDv4_fLi4ELb1ELb1ELb0EEEvPT_PKS4_PfPimiiiif,"axG",@progbits,_ZN5aiter28grouped_topk_opt_sort_kernelIN3c108BFloat16EDv4_fLi4ELb1ELb1ELb0EEEvPT_PKS4_PfPimiiiif,comdat
.Lfunc_end27:
	.size	_ZN5aiter28grouped_topk_opt_sort_kernelIN3c108BFloat16EDv4_fLi4ELb1ELb1ELb0EEEvPT_PKS4_PfPimiiiif, .Lfunc_end27-_ZN5aiter28grouped_topk_opt_sort_kernelIN3c108BFloat16EDv4_fLi4ELb1ELb1ELb0EEEvPT_PKS4_PfPimiiiif
                                        ; -- End function
	.section	.AMDGPU.csdata,"",@progbits
; Kernel info:
; codeLenInByte = 892
; NumSgprs: 13
; NumVgprs: 23
; NumAgprs: 0
; TotalNumVgprs: 23
; ScratchSize: 0
; MemoryBound: 0
; FloatMode: 240
; IeeeMode: 1
; LDSByteSize: 0 bytes/workgroup (compile time only)
; SGPRBlocks: 1
; VGPRBlocks: 2
; NumSGPRsForWavesPerEU: 13
; NumVGPRsForWavesPerEU: 23
; AccumOffset: 24
; Occupancy: 8
; WaveLimiterHint : 0
; COMPUTE_PGM_RSRC2:SCRATCH_EN: 0
; COMPUTE_PGM_RSRC2:USER_SGPR: 6
; COMPUTE_PGM_RSRC2:TRAP_HANDLER: 0
; COMPUTE_PGM_RSRC2:TGID_X_EN: 1
; COMPUTE_PGM_RSRC2:TGID_Y_EN: 0
; COMPUTE_PGM_RSRC2:TGID_Z_EN: 0
; COMPUTE_PGM_RSRC2:TIDIG_COMP_CNT: 0
; COMPUTE_PGM_RSRC3_GFX90A:ACCUM_OFFSET: 5
; COMPUTE_PGM_RSRC3_GFX90A:TG_SPLIT: 0
	.section	.text._ZN5aiter19grouped_topk_kernelIfDv4_fLi4ELb1ELb1ELb0EEEvPT_PKS2_PfPimiiiif,"axG",@progbits,_ZN5aiter19grouped_topk_kernelIfDv4_fLi4ELb1ELb1ELb0EEEvPT_PKS2_PfPimiiiif,comdat
	.protected	_ZN5aiter19grouped_topk_kernelIfDv4_fLi4ELb1ELb1ELb0EEEvPT_PKS2_PfPimiiiif ; -- Begin function _ZN5aiter19grouped_topk_kernelIfDv4_fLi4ELb1ELb1ELb0EEEvPT_PKS2_PfPimiiiif
	.globl	_ZN5aiter19grouped_topk_kernelIfDv4_fLi4ELb1ELb1ELb0EEEvPT_PKS2_PfPimiiiif
	.p2align	8
	.type	_ZN5aiter19grouped_topk_kernelIfDv4_fLi4ELb1ELb1ELb0EEEvPT_PKS2_PfPimiiiif,@function
_ZN5aiter19grouped_topk_kernelIfDv4_fLi4ELb1ELb1ELb0EEEvPT_PKS2_PfPimiiiif: ; @_ZN5aiter19grouped_topk_kernelIfDv4_fLi4ELb1ELb1ELb0EEEvPT_PKS2_PfPimiiiif
; %bb.0:
	s_load_dwordx4 s[12:15], s[4:5], 0x28
	s_load_dwordx4 s[16:19], s[4:5], 0x8
	s_load_dwordx2 s[20:21], s[4:5], 0x18
	s_waitcnt lgkmcnt(0)
	s_ashr_i32 s15, s12, 31
	s_lshr_b32 s0, s15, 30
	s_add_i32 s0, s12, s0
	s_ashr_i32 s7, s0, 2
	v_cmp_gt_i32_e64 s[0:1], s7, v0
	s_and_saveexec_b64 s[22:23], s[0:1]
	s_cbranch_execz .LBB28_3
; %bb.1:
	s_load_dwordx2 s[2:3], s[4:5], 0x0
	s_load_dword s10, s[4:5], 0x4c
	s_mul_i32 s8, s6, s12
	s_ashr_i32 s9, s8, 31
	s_lshl_b64 s[8:9], s[8:9], 2
	s_waitcnt lgkmcnt(0)
	s_add_u32 s26, s2, s8
	s_addc_u32 s2, s3, s9
	s_and_b32 s27, s10, 0xffff
	s_mov_b32 s3, 0
	v_lshlrev_b32_e32 v2, 4, v0
	v_mov_b32_e32 v1, 0
	s_lshl_b32 s28, s27, 4
	v_add_u32_e32 v3, 0, v2
	s_mov_b64 s[24:25], 0
	v_mov_b32_e32 v8, s2
	v_mov_b32_e32 v9, s17
	s_mov_b32 s29, 0xbfb8aa3b
	s_mov_b32 s30, 0x42ce8ed0
	;; [unrolled: 1-line block ×3, first 2 shown]
	v_mov_b32_e32 v10, 0x7f800000
	v_mov_b32_e32 v11, s3
	;; [unrolled: 1-line block ×3, first 2 shown]
.LBB28_2:                               ; =>This Inner Loop Header: Depth=1
	v_add_co_u32_e32 v4, vcc, s26, v2
	v_addc_co_u32_e32 v5, vcc, v8, v1, vcc
	v_add_co_u32_e32 v6, vcc, s16, v2
	v_addc_co_u32_e32 v7, vcc, v9, v1, vcc
	global_load_dwordx4 v[14:17], v[4:5], off
	global_load_dwordx4 v[18:21], v[6:7], off
	v_add_co_u32_e32 v2, vcc, s28, v2
	v_add_u32_e32 v12, s27, v12
	v_addc_co_u32_e32 v1, vcc, v1, v11, vcc
	v_cmp_le_i32_e32 vcc, s7, v12
	s_or_b64 s[24:25], vcc, s[24:25]
	s_waitcnt vmcnt(1)
	v_mul_f32_e32 v4, 0xbfb8aa3b, v15
	v_mul_f32_e32 v5, 0xbfb8aa3b, v14
	v_fma_f32 v13, v15, s29, -v4
	v_rndne_f32_e32 v22, v4
	v_fma_f32 v23, v14, s29, -v5
	v_rndne_f32_e32 v24, v5
	v_mul_f32_e32 v6, 0xbfb8aa3b, v17
	v_mul_f32_e32 v7, 0xbfb8aa3b, v16
	v_fmac_f32_e32 v13, 0xb2a5705f, v15
	v_sub_f32_e32 v4, v4, v22
	v_fmac_f32_e32 v23, 0xb2a5705f, v14
	v_sub_f32_e32 v5, v5, v24
	v_fma_f32 v25, v17, s29, -v6
	v_rndne_f32_e32 v26, v6
	v_fma_f32 v27, v16, s29, -v7
	v_rndne_f32_e32 v28, v7
	v_add_f32_e32 v4, v4, v13
	v_add_f32_e32 v5, v5, v23
	v_cvt_i32_f32_e32 v22, v22
	v_cvt_i32_f32_e32 v24, v24
	v_fmac_f32_e32 v25, 0xb2a5705f, v17
	v_sub_f32_e32 v6, v6, v26
	v_fmac_f32_e32 v27, 0xb2a5705f, v16
	v_sub_f32_e32 v7, v7, v28
	v_exp_f32_e32 v4, v4
	v_exp_f32_e32 v5, v5
	v_add_f32_e32 v6, v6, v25
	v_add_f32_e32 v7, v7, v27
	v_cvt_i32_f32_e32 v26, v26
	v_cvt_i32_f32_e32 v28, v28
	v_exp_f32_e32 v6, v6
	v_exp_f32_e32 v7, v7
	v_ldexp_f32 v4, v4, v22
	v_ldexp_f32 v5, v5, v24
	v_cmp_nlt_f32_e32 vcc, s30, v14
	v_cmp_nlt_f32_e64 s[10:11], s30, v15
	v_cndmask_b32_e64 v4, 0, v4, s[10:11]
	v_cndmask_b32_e32 v13, 0, v5, vcc
	v_cmp_ngt_f32_e32 vcc, s31, v14
	v_cmp_ngt_f32_e64 s[10:11], s31, v15
	v_ldexp_f32 v6, v6, v26
	v_cmp_nlt_f32_e64 s[2:3], s30, v17
	v_ldexp_f32 v7, v7, v28
	v_cmp_nlt_f32_e64 s[8:9], s30, v16
	v_cndmask_b32_e64 v5, v10, v4, s[10:11]
	v_cndmask_b32_e32 v4, v10, v13, vcc
	v_cndmask_b32_e64 v6, 0, v6, s[2:3]
	v_cmp_ngt_f32_e64 s[2:3], s31, v17
	v_cndmask_b32_e64 v14, 0, v7, s[8:9]
	v_cmp_ngt_f32_e64 s[8:9], s31, v16
	v_pk_add_f32 v[4:5], v[4:5], 1.0 op_sel_hi:[1,0]
	v_cndmask_b32_e64 v7, v10, v6, s[2:3]
	v_cndmask_b32_e64 v6, v10, v14, s[8:9]
	v_div_scale_f32 v13, s[2:3], v5, v5, 1.0
	v_pk_add_f32 v[6:7], v[6:7], 1.0 op_sel_hi:[1,0]
	v_div_scale_f32 v15, s[2:3], v4, v4, 1.0
	v_rcp_f32_e32 v25, v13
	v_div_scale_f32 v17, s[8:9], v7, v7, 1.0
	v_rcp_f32_e32 v26, v15
	;; [unrolled: 2-line block ×3, first 2 shown]
	v_rcp_f32_e32 v28, v23
	v_fma_f32 v29, -v13, v25, 1.0
	v_div_scale_f32 v14, vcc, 1.0, v5, 1.0
	v_fma_f32 v30, -v15, v26, 1.0
	v_fmac_f32_e32 v25, v29, v25
	v_div_scale_f32 v16, s[2:3], 1.0, v4, 1.0
	v_fma_f32 v31, -v17, v27, 1.0
	v_fmac_f32_e32 v26, v30, v26
	v_mul_f32_e32 v29, v14, v25
	v_div_scale_f32 v22, s[8:9], 1.0, v7, 1.0
	v_fma_f32 v32, -v23, v28, 1.0
	v_fmac_f32_e32 v27, v31, v27
	v_mul_f32_e32 v30, v16, v26
	v_fma_f32 v33, -v13, v29, v14
	v_div_scale_f32 v24, s[10:11], 1.0, v6, 1.0
	v_fmac_f32_e32 v28, v32, v28
	v_mul_f32_e32 v31, v22, v27
	v_fma_f32 v34, -v15, v30, v16
	v_fmac_f32_e32 v29, v33, v25
	v_mul_f32_e32 v32, v24, v28
	v_fma_f32 v35, -v17, v31, v22
	v_fmac_f32_e32 v30, v34, v26
	v_fma_f32 v13, -v13, v29, v14
	v_fma_f32 v36, -v23, v32, v24
	v_fmac_f32_e32 v31, v35, v27
	v_fma_f32 v14, -v15, v30, v16
	v_div_fmas_f32 v13, v13, v25, v29
	s_mov_b64 vcc, s[2:3]
	v_fmac_f32_e32 v32, v36, v28
	v_fma_f32 v15, -v17, v31, v22
	v_div_fixup_f32 v5, v13, v5, 1.0
	v_div_fmas_f32 v13, v14, v26, v30
	s_mov_b64 vcc, s[8:9]
	v_fma_f32 v16, -v23, v32, v24
	v_div_fixup_f32 v4, v13, v4, 1.0
	v_div_fmas_f32 v13, v15, v27, v31
	s_mov_b64 vcc, s[10:11]
	v_div_fixup_f32 v7, v13, v7, 1.0
	v_div_fmas_f32 v13, v16, v28, v32
	v_div_fixup_f32 v6, v13, v6, 1.0
	s_waitcnt vmcnt(0)
	v_pk_add_f32 v[4:5], v[18:19], v[4:5]
	v_pk_add_f32 v[6:7], v[20:21], v[6:7]
	ds_write_b128 v3, v[4:7]
	v_add_u32_e32 v3, s28, v3
	s_andn2_b64 exec, exec, s[24:25]
	s_cbranch_execnz .LBB28_2
.LBB28_3:
	s_or_b64 exec, exec, s[22:23]
	s_lshl_b32 s2, s12, 2
	s_add_i32 s28, s2, 0
	v_cmp_gt_u32_e32 vcc, 64, v0
	s_waitcnt lgkmcnt(0)
	s_barrier
	s_and_saveexec_b64 s[10:11], vcc
	s_cbranch_execz .LBB28_12
; %bb.4:
	s_load_dword s8, s[4:5], 0x4c
	v_lshrrev_b32_e32 v2, 4, v0
	s_lshr_b32 s2, s15, 28
	v_and_b32_e32 v1, 15, v0
	s_add_i32 s2, s12, s2
	s_waitcnt lgkmcnt(0)
	s_bfe_u32 s15, s8, 0xc0004
	v_mul_lo_u32 v3, s7, v2
	s_ashr_i32 s12, s2, 4
	v_lshlrev_b32_e32 v3, 2, v3
	v_lshlrev_b32_e32 v4, 4, v1
	s_mul_i32 s8, s7, s15
	v_cmp_gt_i32_e32 vcc, s12, v1
	v_cmp_eq_u32_e64 s[2:3], 0, v1
	v_add3_u32 v3, v3, v4, 0
	s_lshl_b32 s29, s8, 2
	s_mov_b64 s[22:23], 0
	s_branch .LBB28_6
.LBB28_5:                               ;   in Loop: Header=BB28_6 Depth=1
	s_or_b64 exec, exec, s[8:9]
	v_add_u32_e32 v2, s15, v2
	v_cmp_lt_u32_e64 s[8:9], 3, v2
	s_or_b64 s[22:23], s[8:9], s[22:23]
	v_add_u32_e32 v3, s29, v3
	s_andn2_b64 exec, exec, s[22:23]
	s_cbranch_execz .LBB28_12
.LBB28_6:                               ; =>This Loop Header: Depth=1
                                        ;     Child Loop BB28_8 Depth 2
	v_mov_b32_e32 v4, 0xff800000
	v_mov_b32_e32 v7, 0xff800000
	s_and_saveexec_b64 s[24:25], vcc
	s_cbranch_execz .LBB28_10
; %bb.7:                                ;   in Loop: Header=BB28_6 Depth=1
	s_mov_b64 s[26:27], 0
	v_mov_b32_e32 v4, 0xff800000
	v_mov_b32_e32 v5, v3
	;; [unrolled: 1-line block ×4, first 2 shown]
.LBB28_8:                               ;   Parent Loop BB28_6 Depth=1
                                        ; =>  This Inner Loop Header: Depth=2
	ds_read_b128 v[8:11], v5
	v_add_u32_e32 v6, 16, v6
	v_max_f32_e32 v7, v7, v7
	v_cmp_le_i32_e64 s[8:9], s12, v6
	s_or_b64 s[26:27], s[8:9], s[26:27]
	s_waitcnt lgkmcnt(0)
	v_max_f32_e32 v13, v8, v8
	v_max_f32_e32 v7, v13, v7
	v_cmp_gt_f32_e64 s[8:9], v8, v4
	v_max_f32_e32 v12, v4, v4
	v_cndmask_b32_e64 v4, v7, v4, s[8:9]
	v_max_f32_e32 v14, v9, v9
	v_max_f32_e32 v12, v13, v12
	;; [unrolled: 1-line block ×4, first 2 shown]
	v_cmp_gt_f32_e64 s[8:9], v9, v12
	v_max_f32_e32 v15, v10, v10
	v_max_f32_e32 v7, v14, v12
	v_cndmask_b32_e64 v9, v13, v12, s[8:9]
	v_max_f32_e32 v9, v15, v9
	v_cmp_gt_f32_e64 s[8:9], v10, v7
	v_max_f32_e32 v16, v11, v11
	v_max_f32_e32 v8, v15, v7
	v_cndmask_b32_e64 v7, v9, v7, s[8:9]
	v_max_f32_e32 v7, v16, v7
	v_cmp_gt_f32_e64 s[8:9], v11, v8
	v_add_u32_e32 v5, 0x100, v5
	v_max_f32_e32 v4, v16, v8
	v_cndmask_b32_e64 v7, v7, v8, s[8:9]
	s_andn2_b64 exec, exec, s[26:27]
	s_cbranch_execnz .LBB28_8
; %bb.9:                                ;   in Loop: Header=BB28_6 Depth=1
	s_or_b64 exec, exec, s[26:27]
.LBB28_10:                              ;   in Loop: Header=BB28_6 Depth=1
	s_or_b64 exec, exec, s[24:25]
	s_and_saveexec_b64 s[8:9], s[2:3]
	s_cbranch_execz .LBB28_5
; %bb.11:                               ;   in Loop: Header=BB28_6 Depth=1
	v_lshl_add_u32 v5, v2, 2, s28
	v_add_f32_e32 v4, v7, v4
	ds_write_b32 v5, v4
	s_branch .LBB28_5
.LBB28_12:
	s_or_b64 exec, exec, s[10:11]
	s_cmp_lt_i32 s14, 1
	s_waitcnt lgkmcnt(0)
	s_barrier
	s_cbranch_scc1 .LBB28_15
; %bb.13:
	v_mov_b32_e32 v1, s28
	s_mov_b32 s2, 0xff800000
	v_mov_b32_e32 v2, 0xff800000
.LBB28_14:                              ; =>This Inner Loop Header: Depth=1
	ds_read2_b32 v[4:5], v1 offset1:1
	ds_read2_b32 v[6:7], v1 offset0:2 offset1:3
	s_waitcnt lgkmcnt(1)
	v_cmp_nlg_f32_e32 vcc, s2, v4
	v_cndmask_b32_e64 v3, 0, 1, vcc
	v_cmp_lg_f32_e32 vcc, s2, v4
	v_cndmask_b32_e32 v4, v2, v4, vcc
	v_readfirstlane_b32 s3, v3
	v_cmp_gt_f32_e32 vcc, v5, v4
	s_lshl_b32 s3, s3, 2
	v_cndmask_b32_e32 v3, v4, v5, vcc
	s_and_b64 s[8:9], vcc, exec
	s_waitcnt lgkmcnt(0)
	v_cmp_gt_f32_e32 vcc, v6, v3
	v_cndmask_b32_e32 v3, v3, v6, vcc
	s_cselect_b32 s3, 1, s3
	s_and_b64 s[8:9], vcc, exec
	v_cmp_ngt_f32_e32 vcc, v7, v3
	s_cselect_b32 s3, 2, s3
	s_and_b64 s[8:9], vcc, exec
	s_cselect_b32 s3, s3, 3
	s_lshl_b32 s3, s3, 2
	s_add_i32 s3, s28, s3
	s_add_i32 s14, s14, -1
	v_mov_b32_e32 v3, s3
	s_cmp_lg_u32 s14, 0
	ds_write_b32 v3, v2
	s_cbranch_scc1 .LBB28_14
.LBB28_15:
	v_lshlrev_b32_e32 v1, 2, v0
	v_lshl_add_u32 v6, v0, 4, 0
	s_and_saveexec_b64 s[2:3], s[0:1]
	s_cbranch_execz .LBB28_20
; %bb.16:
	s_abs_i32 s12, s7
	v_cvt_f32_u32_e32 v2, s12
	s_load_dword s10, s[4:5], 0x4c
	s_sub_i32 s11, 0, s12
	s_ashr_i32 s14, s7, 31
	v_rcp_iflag_f32_e32 v2, v2
	v_lshlrev_b32_e32 v7, 2, v0
	s_waitcnt lgkmcnt(0)
	s_and_b32 s15, s10, 0xffff
	v_lshl_add_u32 v8, v0, 4, 0
	v_mul_f32_e32 v2, 0x4f7ffffe, v2
	v_cvt_u32_f32_e32 v2, v2
	s_mov_b64 s[8:9], 0
	s_lshl_b32 s22, s15, 2
	s_lshl_b32 s23, s15, 4
	v_mul_lo_u32 v3, s11, v2
	v_mul_hi_u32 v3, v2, v3
	v_add_u32_e32 v9, v2, v3
	s_mov_b32 s24, 0xff800000
	v_mov_b32_e32 v2, 0xff800000
	v_mov_b32_e32 v10, v0
	s_branch .LBB28_18
.LBB28_17:                              ;   in Loop: Header=BB28_18 Depth=1
	s_or_b64 exec, exec, s[10:11]
	v_add_u32_e32 v10, s15, v10
	v_cmp_le_i32_e32 vcc, s7, v10
	v_add_u32_e32 v7, s22, v7
	s_or_b64 s[8:9], vcc, s[8:9]
	v_add_u32_e32 v8, s23, v8
	s_andn2_b64 exec, exec, s[8:9]
	s_cbranch_execz .LBB28_20
.LBB28_18:                              ; =>This Inner Loop Header: Depth=1
	v_mul_hi_u32 v3, v7, v9
	v_mul_lo_u32 v4, v3, s12
	v_sub_u32_e32 v4, v7, v4
	v_add_u32_e32 v5, 1, v3
	v_cmp_le_u32_e32 vcc, s12, v4
	v_cndmask_b32_e32 v3, v3, v5, vcc
	v_subrev_u32_e32 v5, s12, v4
	v_cndmask_b32_e32 v4, v4, v5, vcc
	v_add_u32_e32 v5, 1, v3
	v_cmp_le_u32_e32 vcc, s12, v4
	v_cndmask_b32_e32 v3, v3, v5, vcc
	v_xor_b32_e32 v3, s14, v3
	v_subrev_u32_e32 v3, s14, v3
	v_lshl_add_u32 v3, v3, 2, s28
	ds_read_b32 v3, v3
	s_waitcnt lgkmcnt(0)
	v_cmp_neq_f32_e32 vcc, s24, v3
	s_and_saveexec_b64 s[10:11], vcc
	s_cbranch_execz .LBB28_17
; %bb.19:                               ;   in Loop: Header=BB28_18 Depth=1
	v_mov_b32_e32 v3, v2
	v_mov_b32_e32 v4, v2
	;; [unrolled: 1-line block ×3, first 2 shown]
	ds_write_b128 v8, v[2:5]
	s_branch .LBB28_17
.LBB28_20:
	s_or_b64 exec, exec, s[2:3]
	s_cmp_lt_i32 s13, 1
	s_waitcnt lgkmcnt(0)
	s_barrier
	s_cbranch_scc1 .LBB28_27
; %bb.21:
	s_add_u32 s2, s4, 64
	s_addc_u32 s3, s5, 0
	s_mov_b32 s12, 0
	v_mov_b32_e32 v3, 0
	v_mov_b32_e32 v5, 0xff800000
                                        ; implicit-def: $vgpr4
                                        ; implicit-def: $vgpr2
	s_branch .LBB28_23
.LBB28_22:                              ;   in Loop: Header=BB28_23 Depth=1
	s_or_b64 exec, exec, s[8:9]
	v_mov_b32_dpp v10, v8 quad_perm:[1,0,3,2] row_mask:0xf bank_mask:0xf
	v_cmp_lt_f32_e32 vcc, v8, v10
	v_cndmask_b32_e32 v8, v8, v10, vcc
	v_mov_b32_dpp v9, v7 quad_perm:[1,0,3,2] row_mask:0xf bank_mask:0xf
	v_cndmask_b32_e32 v7, v7, v9, vcc
	v_mov_b32_dpp v10, v8 quad_perm:[2,3,0,1] row_mask:0xf bank_mask:0xf
	v_cmp_gt_f32_e32 vcc, v10, v8
	v_cndmask_b32_e32 v8, v8, v10, vcc
	v_mov_b32_dpp v9, v7 quad_perm:[2,3,0,1] row_mask:0xf bank_mask:0xf
	v_cndmask_b32_e32 v7, v7, v9, vcc
	v_mov_b32_dpp v10, v8 row_half_mirror row_mask:0xf bank_mask:0xf
	v_cmp_gt_f32_e32 vcc, v10, v8
	v_cndmask_b32_e32 v8, v8, v10, vcc
	v_mov_b32_dpp v9, v7 row_half_mirror row_mask:0xf bank_mask:0xf
	v_cndmask_b32_e32 v7, v7, v9, vcc
	v_mov_b32_dpp v10, v8 row_mirror row_mask:0xf bank_mask:0xf
	v_cmp_gt_f32_e32 vcc, v10, v8
	v_cndmask_b32_e32 v8, v8, v10, vcc
	v_mov_b32_dpp v9, v7 row_mirror row_mask:0xf bank_mask:0xf
	v_cndmask_b32_e32 v7, v7, v9, vcc
	v_mov_b32_dpp v10, v8 row_bcast:15 row_mask:0xf bank_mask:0xf
	v_cmp_gt_f32_e32 vcc, v10, v8
	v_mov_b32_dpp v9, v7 row_bcast:15 row_mask:0xf bank_mask:0xf
	v_cndmask_b32_e32 v8, v8, v10, vcc
	v_cndmask_b32_e32 v7, v7, v9, vcc
	s_nop 0
	v_mov_b32_dpp v10, v8 row_bcast:31 row_mask:0xf bank_mask:0xf
	v_mov_b32_dpp v9, v7 row_bcast:31 row_mask:0xf bank_mask:0xf
	v_cmp_gt_f32_e32 vcc, v10, v8
	v_cndmask_b32_e32 v7, v7, v9, vcc
	v_readlane_b32 s8, v7, 63
	s_ashr_i32 s9, s8, 31
	s_lshl_b64 s[10:11], s[8:9], 2
	s_add_u32 s10, s16, s10
	s_addc_u32 s11, s17, s11
	s_load_dword s9, s[10:11], 0x0
	v_cndmask_b32_e32 v7, v8, v10, vcc
	v_readlane_b32 s10, v7, 63
	v_cmp_eq_u32_e32 vcc, s12, v0
	s_add_i32 s12, s12, 1
	s_waitcnt lgkmcnt(0)
	v_mov_b32_e32 v7, s9
	s_lshl_b32 s9, s8, 2
	s_add_i32 s9, s9, 0
	v_mov_b32_e32 v8, s9
	v_sub_f32_e32 v7, s10, v7
	ds_write_b32 v8, v5
	v_mov_b32_e32 v8, s8
	v_cndmask_b32_e32 v2, v2, v8, vcc
	v_cndmask_b32_e32 v4, v4, v7, vcc
	s_cmp_eq_u32 s12, s13
	v_add_f32_e32 v3, v3, v7
	s_cbranch_scc1 .LBB28_28
.LBB28_23:                              ; =>This Loop Header: Depth=1
                                        ;     Child Loop BB28_25 Depth 2
	v_mov_b32_e32 v7, s12
	v_mov_b32_e32 v8, 0xff800000
	s_and_saveexec_b64 s[8:9], s[0:1]
	s_cbranch_execz .LBB28_22
; %bb.24:                               ;   in Loop: Header=BB28_23 Depth=1
	s_load_dword s14, s[2:3], 0xc
	s_mov_b64 s[10:11], 0
	v_mov_b32_e32 v7, s12
	v_mov_b32_e32 v8, 0xff800000
	;; [unrolled: 1-line block ×3, first 2 shown]
	s_waitcnt lgkmcnt(0)
	s_and_b32 s14, s14, 0xffff
	s_lshl_b32 s15, s14, 2
	s_lshl_b32 s22, s14, 4
	v_mov_b32_e32 v10, v1
	v_mov_b32_e32 v11, v0
.LBB28_25:                              ;   Parent Loop BB28_23 Depth=1
                                        ; =>  This Inner Loop Header: Depth=2
	ds_read_b128 v[12:15], v9
	v_add_u32_e32 v11, s14, v11
	v_cmp_le_i32_e32 vcc, s7, v11
	s_or_b64 s[10:11], vcc, s[10:11]
	v_add_u32_e32 v16, 1, v10
	s_waitcnt lgkmcnt(0)
	v_cmp_gt_f32_e32 vcc, v12, v8
	v_cndmask_b32_e32 v8, v8, v12, vcc
	v_cndmask_b32_e32 v7, v7, v10, vcc
	v_cmp_gt_f32_e32 vcc, v13, v8
	v_cndmask_b32_e32 v8, v8, v13, vcc
	v_cndmask_b32_e32 v7, v7, v16, vcc
	v_cmp_gt_f32_e32 vcc, v14, v8
	v_add_u32_e32 v17, 2, v10
	v_cndmask_b32_e32 v8, v8, v14, vcc
	v_add_u32_e32 v18, 3, v10
	v_cndmask_b32_e32 v7, v7, v17, vcc
	v_cmp_gt_f32_e32 vcc, v15, v8
	v_add_u32_e32 v9, s22, v9
	v_add_u32_e32 v10, s15, v10
	v_cndmask_b32_e32 v8, v8, v15, vcc
	v_cndmask_b32_e32 v7, v7, v18, vcc
	s_andn2_b64 exec, exec, s[10:11]
	s_cbranch_execnz .LBB28_25
; %bb.26:                               ;   in Loop: Header=BB28_23 Depth=1
	s_or_b64 exec, exec, s[10:11]
	s_branch .LBB28_22
.LBB28_27:
	v_mov_b32_e32 v3, 0
                                        ; implicit-def: $vgpr4
                                        ; implicit-def: $vgpr2
.LBB28_28:
	v_cmp_gt_i32_e32 vcc, s13, v0
	s_and_saveexec_b64 s[0:1], vcc
	s_cbranch_execz .LBB28_31
; %bb.29:
	s_load_dword s7, s[4:5], 0x38
	s_load_dwordx2 s[0:1], s[4:5], 0x20
	s_load_dword s8, s[4:5], 0x4c
	s_waitcnt lgkmcnt(0)
	v_div_scale_f32 v1, s[2:3], v3, v3, s7
	v_rcp_f32_e32 v5, v1
	v_div_scale_f32 v6, vcc, s7, v3, s7
	s_ashr_i32 s2, s6, 31
	v_fma_f32 v7, -v1, v5, 1.0
	v_fmac_f32_e32 v5, v7, v5
	v_mul_f32_e32 v7, v6, v5
	v_fma_f32 v8, -v1, v7, v6
	v_fmac_f32_e32 v7, v8, v5
	v_fma_f32 v1, -v1, v7, v6
	s_mul_i32 s1, s6, s1
	s_mul_hi_u32 s3, s6, s0
	v_div_fmas_f32 v1, v1, v5, v7
	s_add_i32 s1, s3, s1
	s_mul_i32 s2, s2, s0
	v_div_fixup_f32 v1, v1, v3, s7
	s_add_i32 s4, s1, s2
	v_mul_f32_e32 v1, v1, v4
	s_mul_i32 s2, s6, s0
	s_and_b32 s3, s8, 0xffff
	s_mov_b64 s[0:1], 0
	v_mov_b32_e32 v3, s4
	v_mov_b32_e32 v4, s19
	;; [unrolled: 1-line block ×3, first 2 shown]
.LBB28_30:                              ; =>This Inner Loop Header: Depth=1
	v_ashrrev_i32_e32 v7, 31, v0
	v_add_co_u32_e32 v6, vcc, s2, v0
	v_addc_co_u32_e32 v7, vcc, v3, v7, vcc
	v_add_u32_e32 v0, s3, v0
	v_cmp_le_i32_e32 vcc, s13, v0
	v_lshlrev_b64 v[6:7], 2, v[6:7]
	s_or_b64 s[0:1], vcc, s[0:1]
	v_add_co_u32_e32 v8, vcc, s18, v6
	v_addc_co_u32_e32 v9, vcc, v4, v7, vcc
	v_add_co_u32_e32 v6, vcc, s20, v6
	v_addc_co_u32_e32 v7, vcc, v5, v7, vcc
	global_store_dword v[8:9], v1, off
	global_store_dword v[6:7], v2, off
	s_andn2_b64 exec, exec, s[0:1]
	s_cbranch_execnz .LBB28_30
.LBB28_31:
	s_endpgm
	.section	.rodata,"a",@progbits
	.p2align	6, 0x0
	.amdhsa_kernel _ZN5aiter19grouped_topk_kernelIfDv4_fLi4ELb1ELb1ELb0EEEvPT_PKS2_PfPimiiiif
		.amdhsa_group_segment_fixed_size 0
		.amdhsa_private_segment_fixed_size 0
		.amdhsa_kernarg_size 320
		.amdhsa_user_sgpr_count 6
		.amdhsa_user_sgpr_private_segment_buffer 1
		.amdhsa_user_sgpr_dispatch_ptr 0
		.amdhsa_user_sgpr_queue_ptr 0
		.amdhsa_user_sgpr_kernarg_segment_ptr 1
		.amdhsa_user_sgpr_dispatch_id 0
		.amdhsa_user_sgpr_flat_scratch_init 0
		.amdhsa_user_sgpr_kernarg_preload_length 0
		.amdhsa_user_sgpr_kernarg_preload_offset 0
		.amdhsa_user_sgpr_private_segment_size 0
		.amdhsa_uses_dynamic_stack 0
		.amdhsa_system_sgpr_private_segment_wavefront_offset 0
		.amdhsa_system_sgpr_workgroup_id_x 1
		.amdhsa_system_sgpr_workgroup_id_y 0
		.amdhsa_system_sgpr_workgroup_id_z 0
		.amdhsa_system_sgpr_workgroup_info 0
		.amdhsa_system_vgpr_workitem_id 0
		.amdhsa_next_free_vgpr 37
		.amdhsa_next_free_sgpr 32
		.amdhsa_accum_offset 40
		.amdhsa_reserve_vcc 1
		.amdhsa_reserve_flat_scratch 0
		.amdhsa_float_round_mode_32 0
		.amdhsa_float_round_mode_16_64 0
		.amdhsa_float_denorm_mode_32 3
		.amdhsa_float_denorm_mode_16_64 3
		.amdhsa_dx10_clamp 1
		.amdhsa_ieee_mode 1
		.amdhsa_fp16_overflow 0
		.amdhsa_tg_split 0
		.amdhsa_exception_fp_ieee_invalid_op 0
		.amdhsa_exception_fp_denorm_src 0
		.amdhsa_exception_fp_ieee_div_zero 0
		.amdhsa_exception_fp_ieee_overflow 0
		.amdhsa_exception_fp_ieee_underflow 0
		.amdhsa_exception_fp_ieee_inexact 0
		.amdhsa_exception_int_div_zero 0
	.end_amdhsa_kernel
	.section	.text._ZN5aiter19grouped_topk_kernelIfDv4_fLi4ELb1ELb1ELb0EEEvPT_PKS2_PfPimiiiif,"axG",@progbits,_ZN5aiter19grouped_topk_kernelIfDv4_fLi4ELb1ELb1ELb0EEEvPT_PKS2_PfPimiiiif,comdat
.Lfunc_end28:
	.size	_ZN5aiter19grouped_topk_kernelIfDv4_fLi4ELb1ELb1ELb0EEEvPT_PKS2_PfPimiiiif, .Lfunc_end28-_ZN5aiter19grouped_topk_kernelIfDv4_fLi4ELb1ELb1ELb0EEEvPT_PKS2_PfPimiiiif
                                        ; -- End function
	.section	.AMDGPU.csdata,"",@progbits
; Kernel info:
; codeLenInByte = 2544
; NumSgprs: 36
; NumVgprs: 37
; NumAgprs: 0
; TotalNumVgprs: 37
; ScratchSize: 0
; MemoryBound: 0
; FloatMode: 240
; IeeeMode: 1
; LDSByteSize: 0 bytes/workgroup (compile time only)
; SGPRBlocks: 4
; VGPRBlocks: 4
; NumSGPRsForWavesPerEU: 36
; NumVGPRsForWavesPerEU: 37
; AccumOffset: 40
; Occupancy: 8
; WaveLimiterHint : 0
; COMPUTE_PGM_RSRC2:SCRATCH_EN: 0
; COMPUTE_PGM_RSRC2:USER_SGPR: 6
; COMPUTE_PGM_RSRC2:TRAP_HANDLER: 0
; COMPUTE_PGM_RSRC2:TGID_X_EN: 1
; COMPUTE_PGM_RSRC2:TGID_Y_EN: 0
; COMPUTE_PGM_RSRC2:TGID_Z_EN: 0
; COMPUTE_PGM_RSRC2:TIDIG_COMP_CNT: 0
; COMPUTE_PGM_RSRC3_GFX90A:ACCUM_OFFSET: 9
; COMPUTE_PGM_RSRC3_GFX90A:TG_SPLIT: 0
	.section	.text._ZN5aiter19grouped_topk_kernelIN3c104HalfEDv4_fLi4ELb1ELb1ELb0EEEvPT_PKS4_PfPimiiiif,"axG",@progbits,_ZN5aiter19grouped_topk_kernelIN3c104HalfEDv4_fLi4ELb1ELb1ELb0EEEvPT_PKS4_PfPimiiiif,comdat
	.protected	_ZN5aiter19grouped_topk_kernelIN3c104HalfEDv4_fLi4ELb1ELb1ELb0EEEvPT_PKS4_PfPimiiiif ; -- Begin function _ZN5aiter19grouped_topk_kernelIN3c104HalfEDv4_fLi4ELb1ELb1ELb0EEEvPT_PKS4_PfPimiiiif
	.globl	_ZN5aiter19grouped_topk_kernelIN3c104HalfEDv4_fLi4ELb1ELb1ELb0EEEvPT_PKS4_PfPimiiiif
	.p2align	8
	.type	_ZN5aiter19grouped_topk_kernelIN3c104HalfEDv4_fLi4ELb1ELb1ELb0EEEvPT_PKS4_PfPimiiiif,@function
_ZN5aiter19grouped_topk_kernelIN3c104HalfEDv4_fLi4ELb1ELb1ELb0EEEvPT_PKS4_PfPimiiiif: ; @_ZN5aiter19grouped_topk_kernelIN3c104HalfEDv4_fLi4ELb1ELb1ELb0EEEvPT_PKS4_PfPimiiiif
; %bb.0:
	s_load_dwordx4 s[12:15], s[4:5], 0x28
	s_load_dwordx4 s[16:19], s[4:5], 0x8
	s_load_dwordx2 s[20:21], s[4:5], 0x18
	v_lshl_add_u32 v8, v0, 4, 0
	s_waitcnt lgkmcnt(0)
	s_ashr_i32 s15, s12, 31
	s_lshr_b32 s0, s15, 30
	s_add_i32 s0, s12, s0
	s_ashr_i32 s7, s0, 2
	v_cmp_gt_i32_e64 s[0:1], s7, v0
	s_and_saveexec_b64 s[22:23], s[0:1]
	s_cbranch_execz .LBB29_3
; %bb.1:
	s_load_dwordx2 s[2:3], s[4:5], 0x0
	s_load_dword s10, s[4:5], 0x4c
	s_mul_i32 s8, s6, s12
	s_ashr_i32 s9, s8, 31
	s_lshl_b64 s[8:9], s[8:9], 1
	s_waitcnt lgkmcnt(0)
	s_add_u32 s26, s2, s8
	s_addc_u32 s2, s3, s9
	s_and_b32 s27, s10, 0xffff
	s_mov_b32 s3, 0
	v_lshlrev_b32_e32 v2, 3, v0
	v_mov_b32_e32 v1, 0
	s_lshl_b32 s28, s27, 3
	v_lshl_add_u32 v3, v0, 4, 0
	s_lshl_b32 s29, s27, 4
	s_mov_b64 s[24:25], 0
	v_mov_b32_e32 v9, s2
	v_mov_b32_e32 v10, s17
	s_mov_b32 s30, 0x3fb8aa3b
	s_mov_b32 s31, 0x32a5705f
	;; [unrolled: 1-line block ×4, first 2 shown]
	v_mov_b32_e32 v11, 0x7f800000
	v_mov_b32_e32 v12, s3
	;; [unrolled: 1-line block ×3, first 2 shown]
.LBB29_2:                               ; =>This Inner Loop Header: Depth=1
	v_add_co_u32_e32 v4, vcc, s26, v2
	v_addc_co_u32_e32 v5, vcc, v9, v1, vcc
	v_add_co_u32_e32 v6, vcc, s16, v2
	v_addc_co_u32_e32 v7, vcc, v10, v1, vcc
	global_load_dwordx2 v[14:15], v[6:7], off
	global_load_dwordx2 v[16:17], v[4:5], off
	v_add_co_u32_e32 v2, vcc, s28, v2
	v_add_u32_e32 v13, s27, v13
	v_addc_co_u32_e32 v1, vcc, v1, v12, vcc
	v_cmp_le_i32_e32 vcc, s7, v13
	s_or_b64 s[24:25], vcc, s[24:25]
	s_waitcnt vmcnt(1)
	v_cvt_f32_f16_e32 v4, v14
	v_cvt_f32_f16_sdwa v5, v14 dst_sel:DWORD dst_unused:UNUSED_PAD src0_sel:WORD_1
	v_cvt_f32_f16_e32 v6, v15
	v_cvt_f32_f16_sdwa v7, v15 dst_sel:DWORD dst_unused:UNUSED_PAD src0_sel:WORD_1
	s_waitcnt vmcnt(0)
	v_cvt_f32_f16_e64 v14, -v16
	v_cvt_f32_f16_sdwa v15, -v16 dst_sel:DWORD dst_unused:UNUSED_PAD src0_sel:WORD_1
	v_cvt_f32_f16_e64 v18, -v17
	v_cvt_f32_f16_sdwa v19, -v17 dst_sel:DWORD dst_unused:UNUSED_PAD src0_sel:WORD_1
	v_mul_f32_e32 v20, 0x3fb8aa3b, v14
	v_mul_f32_e32 v21, 0x3fb8aa3b, v15
	v_fma_mix_f32 v24, -v16, s30, -v20 op_sel_hi:[1,0,0]
	v_rndne_f32_e32 v25, v20
	v_fma_mix_f32 v26, -v16, s30, -v21 op_sel:[1,0,0] op_sel_hi:[1,0,0]
	v_rndne_f32_e32 v27, v21
	v_mul_f32_e32 v22, 0x3fb8aa3b, v18
	v_mul_f32_e32 v23, 0x3fb8aa3b, v19
	v_fma_mix_f32 v24, -v16, s31, v24 op_sel_hi:[1,0,0]
	v_sub_f32_e32 v20, v20, v25
	v_fma_mix_f32 v16, -v16, s31, v26 op_sel:[1,0,0] op_sel_hi:[1,0,0]
	v_sub_f32_e32 v21, v21, v27
	v_fma_mix_f32 v28, -v17, s30, -v22 op_sel_hi:[1,0,0]
	v_rndne_f32_e32 v29, v22
	v_fma_mix_f32 v30, -v17, s30, -v23 op_sel:[1,0,0] op_sel_hi:[1,0,0]
	v_rndne_f32_e32 v31, v23
	v_add_f32_e32 v20, v20, v24
	v_add_f32_e32 v16, v21, v16
	v_cvt_i32_f32_e32 v25, v25
	v_cvt_i32_f32_e32 v26, v27
	v_fma_mix_f32 v27, -v17, s31, v28 op_sel_hi:[1,0,0]
	v_sub_f32_e32 v22, v22, v29
	v_fma_mix_f32 v17, -v17, s31, v30 op_sel:[1,0,0] op_sel_hi:[1,0,0]
	v_sub_f32_e32 v23, v23, v31
	v_exp_f32_e32 v20, v20
	v_exp_f32_e32 v16, v16
	v_add_f32_e32 v21, v22, v27
	v_add_f32_e32 v17, v23, v17
	v_cvt_i32_f32_e32 v28, v29
	v_cvt_i32_f32_e32 v29, v31
	v_exp_f32_e32 v21, v21
	v_exp_f32_e32 v17, v17
	v_ldexp_f32 v20, v20, v25
	v_ldexp_f32 v16, v16, v26
	v_cmp_ngt_f32_e32 vcc, s33, v15
	v_cmp_ngt_f32_e64 s[10:11], s33, v14
	v_cndmask_b32_e64 v20, 0, v20, s[10:11]
	v_cndmask_b32_e32 v16, 0, v16, vcc
	v_cmp_nlt_f32_e32 vcc, s34, v15
	v_cmp_nlt_f32_e64 s[10:11], s34, v14
	v_ldexp_f32 v21, v21, v28
	v_cmp_ngt_f32_e64 s[2:3], s33, v18
	v_ldexp_f32 v17, v17, v29
	v_cmp_ngt_f32_e64 s[8:9], s33, v19
	v_cndmask_b32_e64 v14, v11, v20, s[10:11]
	v_cndmask_b32_e32 v15, v11, v16, vcc
	v_cndmask_b32_e64 v21, 0, v21, s[2:3]
	v_cmp_nlt_f32_e64 s[2:3], s34, v18
	v_cndmask_b32_e64 v17, 0, v17, s[8:9]
	v_cmp_nlt_f32_e64 s[8:9], s34, v19
	v_pk_add_f32 v[14:15], v[14:15], 1.0 op_sel_hi:[1,0]
	v_cndmask_b32_e64 v16, v11, v21, s[2:3]
	v_cndmask_b32_e64 v17, v11, v17, s[8:9]
	v_div_scale_f32 v18, s[2:3], v15, v15, 1.0
	v_pk_add_f32 v[16:17], v[16:17], 1.0 op_sel_hi:[1,0]
	v_div_scale_f32 v20, s[2:3], v14, v14, 1.0
	v_rcp_f32_e32 v26, v18
	v_div_scale_f32 v22, s[8:9], v17, v17, 1.0
	v_rcp_f32_e32 v27, v20
	;; [unrolled: 2-line block ×3, first 2 shown]
	v_rcp_f32_e32 v29, v24
	v_fma_f32 v30, -v18, v26, 1.0
	v_div_scale_f32 v19, vcc, 1.0, v15, 1.0
	v_fma_f32 v31, -v20, v27, 1.0
	v_fmac_f32_e32 v26, v30, v26
	v_div_scale_f32 v21, s[2:3], 1.0, v14, 1.0
	v_fma_f32 v32, -v22, v28, 1.0
	v_fmac_f32_e32 v27, v31, v27
	v_mul_f32_e32 v30, v19, v26
	v_div_scale_f32 v23, s[8:9], 1.0, v17, 1.0
	v_fma_f32 v33, -v24, v29, 1.0
	v_fmac_f32_e32 v28, v32, v28
	v_mul_f32_e32 v31, v21, v27
	v_fma_f32 v34, -v18, v30, v19
	v_div_scale_f32 v25, s[10:11], 1.0, v16, 1.0
	v_fmac_f32_e32 v29, v33, v29
	v_mul_f32_e32 v32, v23, v28
	v_fma_f32 v35, -v20, v31, v21
	v_fmac_f32_e32 v30, v34, v26
	v_mul_f32_e32 v33, v25, v29
	v_fma_f32 v36, -v22, v32, v23
	v_fmac_f32_e32 v31, v35, v27
	v_fma_f32 v18, -v18, v30, v19
	v_fma_f32 v37, -v24, v33, v25
	v_fmac_f32_e32 v32, v36, v28
	v_fma_f32 v19, -v20, v31, v21
	v_div_fmas_f32 v18, v18, v26, v30
	s_mov_b64 vcc, s[2:3]
	v_fmac_f32_e32 v33, v37, v29
	v_fma_f32 v20, -v22, v32, v23
	v_div_fixup_f32 v15, v18, v15, 1.0
	v_div_fmas_f32 v18, v19, v27, v31
	s_mov_b64 vcc, s[8:9]
	v_fma_f32 v21, -v24, v33, v25
	v_div_fixup_f32 v14, v18, v14, 1.0
	v_div_fmas_f32 v18, v20, v28, v32
	s_mov_b64 vcc, s[10:11]
	v_div_fixup_f32 v17, v18, v17, 1.0
	v_div_fmas_f32 v18, v21, v29, v33
	v_div_fixup_f32 v16, v18, v16, 1.0
	v_pk_add_f32 v[4:5], v[14:15], v[4:5]
	v_pk_add_f32 v[6:7], v[16:17], v[6:7]
	ds_write_b128 v3, v[4:7]
	v_add_u32_e32 v3, s29, v3
	s_andn2_b64 exec, exec, s[24:25]
	s_cbranch_execnz .LBB29_2
.LBB29_3:
	s_or_b64 exec, exec, s[22:23]
	s_lshl_b32 s2, s12, 2
	s_add_i32 s28, s2, 0
	v_cmp_gt_u32_e32 vcc, 64, v0
	s_waitcnt lgkmcnt(0)
	s_barrier
	s_and_saveexec_b64 s[10:11], vcc
	s_cbranch_execz .LBB29_12
; %bb.4:
	s_load_dword s8, s[4:5], 0x4c
	v_lshrrev_b32_e32 v2, 4, v0
	s_lshr_b32 s2, s15, 28
	v_and_b32_e32 v1, 15, v0
	s_add_i32 s2, s12, s2
	s_waitcnt lgkmcnt(0)
	s_bfe_u32 s15, s8, 0xc0004
	v_mul_lo_u32 v3, s7, v2
	s_ashr_i32 s12, s2, 4
	v_lshlrev_b32_e32 v3, 2, v3
	v_lshlrev_b32_e32 v4, 4, v1
	s_mul_i32 s8, s7, s15
	v_cmp_gt_i32_e32 vcc, s12, v1
	v_cmp_eq_u32_e64 s[2:3], 0, v1
	v_add3_u32 v3, v3, v4, 0
	s_lshl_b32 s29, s8, 2
	s_mov_b64 s[22:23], 0
	s_branch .LBB29_6
.LBB29_5:                               ;   in Loop: Header=BB29_6 Depth=1
	s_or_b64 exec, exec, s[8:9]
	v_add_u32_e32 v2, s15, v2
	v_cmp_lt_u32_e64 s[8:9], 3, v2
	s_or_b64 s[22:23], s[8:9], s[22:23]
	v_add_u32_e32 v3, s29, v3
	s_andn2_b64 exec, exec, s[22:23]
	s_cbranch_execz .LBB29_12
.LBB29_6:                               ; =>This Loop Header: Depth=1
                                        ;     Child Loop BB29_8 Depth 2
	v_mov_b32_e32 v4, 0xff800000
	v_mov_b32_e32 v7, 0xff800000
	s_and_saveexec_b64 s[24:25], vcc
	s_cbranch_execz .LBB29_10
; %bb.7:                                ;   in Loop: Header=BB29_6 Depth=1
	s_mov_b64 s[26:27], 0
	v_mov_b32_e32 v4, 0xff800000
	v_mov_b32_e32 v5, v3
	;; [unrolled: 1-line block ×4, first 2 shown]
.LBB29_8:                               ;   Parent Loop BB29_6 Depth=1
                                        ; =>  This Inner Loop Header: Depth=2
	ds_read_b128 v[10:13], v5
	v_add_u32_e32 v6, 16, v6
	v_max_f32_e32 v7, v7, v7
	v_cmp_le_i32_e64 s[8:9], s12, v6
	s_or_b64 s[26:27], s[8:9], s[26:27]
	s_waitcnt lgkmcnt(0)
	v_max_f32_e32 v14, v10, v10
	v_max_f32_e32 v7, v14, v7
	v_cmp_gt_f32_e64 s[8:9], v10, v4
	v_max_f32_e32 v9, v4, v4
	v_cndmask_b32_e64 v4, v7, v4, s[8:9]
	v_max_f32_e32 v15, v11, v11
	v_max_f32_e32 v9, v14, v9
	;; [unrolled: 1-line block ×4, first 2 shown]
	v_cmp_gt_f32_e64 s[8:9], v11, v9
	v_max_f32_e32 v16, v12, v12
	v_max_f32_e32 v7, v15, v9
	v_cndmask_b32_e64 v9, v14, v9, s[8:9]
	v_max_f32_e32 v9, v16, v9
	v_cmp_gt_f32_e64 s[8:9], v12, v7
	v_max_f32_e32 v17, v13, v13
	v_max_f32_e32 v10, v16, v7
	v_cndmask_b32_e64 v7, v9, v7, s[8:9]
	v_max_f32_e32 v7, v17, v7
	v_cmp_gt_f32_e64 s[8:9], v13, v10
	v_add_u32_e32 v5, 0x100, v5
	v_max_f32_e32 v4, v17, v10
	v_cndmask_b32_e64 v7, v7, v10, s[8:9]
	s_andn2_b64 exec, exec, s[26:27]
	s_cbranch_execnz .LBB29_8
; %bb.9:                                ;   in Loop: Header=BB29_6 Depth=1
	s_or_b64 exec, exec, s[26:27]
.LBB29_10:                              ;   in Loop: Header=BB29_6 Depth=1
	s_or_b64 exec, exec, s[24:25]
	s_and_saveexec_b64 s[8:9], s[2:3]
	s_cbranch_execz .LBB29_5
; %bb.11:                               ;   in Loop: Header=BB29_6 Depth=1
	v_lshl_add_u32 v5, v2, 2, s28
	v_add_f32_e32 v4, v7, v4
	ds_write_b32 v5, v4
	s_branch .LBB29_5
.LBB29_12:
	s_or_b64 exec, exec, s[10:11]
	s_cmp_lt_i32 s14, 1
	s_waitcnt lgkmcnt(0)
	s_barrier
	s_cbranch_scc1 .LBB29_15
; %bb.13:
	v_mov_b32_e32 v1, s28
	s_mov_b32 s2, 0xff800000
	v_mov_b32_e32 v2, 0xff800000
.LBB29_14:                              ; =>This Inner Loop Header: Depth=1
	ds_read2_b32 v[4:5], v1 offset1:1
	ds_read2_b32 v[6:7], v1 offset0:2 offset1:3
	s_waitcnt lgkmcnt(1)
	v_cmp_nlg_f32_e32 vcc, s2, v4
	v_cndmask_b32_e64 v3, 0, 1, vcc
	v_cmp_lg_f32_e32 vcc, s2, v4
	v_cndmask_b32_e32 v4, v2, v4, vcc
	v_readfirstlane_b32 s3, v3
	v_cmp_gt_f32_e32 vcc, v5, v4
	s_lshl_b32 s3, s3, 2
	v_cndmask_b32_e32 v3, v4, v5, vcc
	s_and_b64 s[8:9], vcc, exec
	s_waitcnt lgkmcnt(0)
	v_cmp_gt_f32_e32 vcc, v6, v3
	v_cndmask_b32_e32 v3, v3, v6, vcc
	s_cselect_b32 s3, 1, s3
	s_and_b64 s[8:9], vcc, exec
	v_cmp_ngt_f32_e32 vcc, v7, v3
	s_cselect_b32 s3, 2, s3
	s_and_b64 s[8:9], vcc, exec
	s_cselect_b32 s3, s3, 3
	s_lshl_b32 s3, s3, 2
	s_add_i32 s3, s28, s3
	s_add_i32 s14, s14, -1
	v_mov_b32_e32 v3, s3
	s_cmp_lg_u32 s14, 0
	ds_write_b32 v3, v2
	s_cbranch_scc1 .LBB29_14
.LBB29_15:
	v_lshlrev_b32_e32 v6, 2, v0
	s_and_saveexec_b64 s[2:3], s[0:1]
	s_cbranch_execz .LBB29_20
; %bb.16:
	s_abs_i32 s12, s7
	v_cvt_f32_u32_e32 v2, s12
	s_load_dword s10, s[4:5], 0x4c
	s_sub_i32 s11, 0, s12
	s_ashr_i32 s14, s7, 31
	v_rcp_iflag_f32_e32 v2, v2
	v_lshlrev_b32_e32 v1, 2, v0
	s_waitcnt lgkmcnt(0)
	s_and_b32 s15, s10, 0xffff
	v_lshl_add_u32 v7, v0, 4, 0
	v_mul_f32_e32 v2, 0x4f7ffffe, v2
	v_cvt_u32_f32_e32 v2, v2
	s_mov_b64 s[8:9], 0
	s_lshl_b32 s22, s15, 2
	s_lshl_b32 s23, s15, 4
	v_mul_lo_u32 v3, s11, v2
	v_mul_hi_u32 v3, v2, v3
	v_add_u32_e32 v9, v2, v3
	s_mov_b32 s24, 0xff800000
	v_mov_b32_e32 v2, 0xff800000
	v_mov_b32_e32 v10, v0
	s_branch .LBB29_18
.LBB29_17:                              ;   in Loop: Header=BB29_18 Depth=1
	s_or_b64 exec, exec, s[10:11]
	v_add_u32_e32 v10, s15, v10
	v_cmp_le_i32_e32 vcc, s7, v10
	v_add_u32_e32 v1, s22, v1
	s_or_b64 s[8:9], vcc, s[8:9]
	v_add_u32_e32 v7, s23, v7
	s_andn2_b64 exec, exec, s[8:9]
	s_cbranch_execz .LBB29_20
.LBB29_18:                              ; =>This Inner Loop Header: Depth=1
	v_mul_hi_u32 v3, v1, v9
	v_mul_lo_u32 v4, v3, s12
	v_sub_u32_e32 v4, v1, v4
	v_add_u32_e32 v5, 1, v3
	v_cmp_le_u32_e32 vcc, s12, v4
	v_cndmask_b32_e32 v3, v3, v5, vcc
	v_subrev_u32_e32 v5, s12, v4
	v_cndmask_b32_e32 v4, v4, v5, vcc
	v_add_u32_e32 v5, 1, v3
	v_cmp_le_u32_e32 vcc, s12, v4
	v_cndmask_b32_e32 v3, v3, v5, vcc
	v_xor_b32_e32 v3, s14, v3
	v_subrev_u32_e32 v3, s14, v3
	v_lshl_add_u32 v3, v3, 2, s28
	ds_read_b32 v3, v3
	s_waitcnt lgkmcnt(0)
	v_cmp_neq_f32_e32 vcc, s24, v3
	s_and_saveexec_b64 s[10:11], vcc
	s_cbranch_execz .LBB29_17
; %bb.19:                               ;   in Loop: Header=BB29_18 Depth=1
	v_mov_b32_e32 v3, v2
	v_mov_b32_e32 v4, v2
	;; [unrolled: 1-line block ×3, first 2 shown]
	ds_write_b128 v7, v[2:5]
	s_branch .LBB29_17
.LBB29_20:
	s_or_b64 exec, exec, s[2:3]
	s_cmp_lt_i32 s13, 1
	s_waitcnt lgkmcnt(0)
	s_barrier
	s_cbranch_scc1 .LBB29_27
; %bb.21:
	s_add_u32 s2, s4, 64
	s_addc_u32 s3, s5, 0
	s_mov_b32 s12, 0
	v_mov_b32_e32 v4, 0
	v_mov_b32_e32 v5, 0xff800000
	;; [unrolled: 1-line block ×3, first 2 shown]
                                        ; implicit-def: $vgpr2
                                        ; implicit-def: $vgpr1
	s_branch .LBB29_23
.LBB29_22:                              ;   in Loop: Header=BB29_23 Depth=1
	s_or_b64 exec, exec, s[8:9]
	v_mov_b32_dpp v11, v9 quad_perm:[1,0,3,2] row_mask:0xf bank_mask:0xf
	v_cmp_lt_f32_e32 vcc, v9, v11
	v_cndmask_b32_e32 v9, v9, v11, vcc
	v_mov_b32_dpp v10, v7 quad_perm:[1,0,3,2] row_mask:0xf bank_mask:0xf
	v_cndmask_b32_e32 v7, v7, v10, vcc
	v_mov_b32_dpp v11, v9 quad_perm:[2,3,0,1] row_mask:0xf bank_mask:0xf
	v_cmp_gt_f32_e32 vcc, v11, v9
	v_cndmask_b32_e32 v9, v9, v11, vcc
	v_mov_b32_dpp v10, v7 quad_perm:[2,3,0,1] row_mask:0xf bank_mask:0xf
	v_cndmask_b32_e32 v7, v7, v10, vcc
	v_mov_b32_dpp v11, v9 row_half_mirror row_mask:0xf bank_mask:0xf
	v_cmp_gt_f32_e32 vcc, v11, v9
	v_cndmask_b32_e32 v9, v9, v11, vcc
	v_mov_b32_dpp v10, v7 row_half_mirror row_mask:0xf bank_mask:0xf
	v_cndmask_b32_e32 v7, v7, v10, vcc
	v_mov_b32_dpp v11, v9 row_mirror row_mask:0xf bank_mask:0xf
	v_cmp_gt_f32_e32 vcc, v11, v9
	v_cndmask_b32_e32 v9, v9, v11, vcc
	v_mov_b32_dpp v10, v7 row_mirror row_mask:0xf bank_mask:0xf
	v_cndmask_b32_e32 v7, v7, v10, vcc
	v_mov_b32_dpp v11, v9 row_bcast:15 row_mask:0xf bank_mask:0xf
	v_cmp_gt_f32_e32 vcc, v11, v9
	v_mov_b32_dpp v10, v7 row_bcast:15 row_mask:0xf bank_mask:0xf
	v_cndmask_b32_e32 v9, v9, v11, vcc
	v_cndmask_b32_e32 v7, v7, v10, vcc
	s_nop 0
	v_mov_b32_dpp v11, v9 row_bcast:31 row_mask:0xf bank_mask:0xf
	v_mov_b32_dpp v10, v7 row_bcast:31 row_mask:0xf bank_mask:0xf
	v_cmp_gt_f32_e32 vcc, v11, v9
	v_cndmask_b32_e32 v7, v7, v10, vcc
	v_readlane_b32 s8, v7, 63
	s_ashr_i32 s9, s8, 31
	s_lshl_b64 s[10:11], s[8:9], 1
	s_add_u32 s10, s16, s10
	s_addc_u32 s11, s17, s11
	global_load_ushort v7, v4, s[10:11]
	v_cndmask_b32_e32 v9, v9, v11, vcc
	v_readlane_b32 s9, v9, 63
	v_mov_b32_e32 v9, s8
	s_lshl_b32 s8, s8, 2
	v_cmp_eq_u32_e32 vcc, s12, v0
	s_add_i32 s12, s12, 1
	s_add_i32 s8, s8, 0
	v_cndmask_b32_e32 v1, v1, v9, vcc
	v_mov_b32_e32 v9, s8
	s_cmp_eq_u32 s12, s13
	ds_write_b32 v9, v5
	s_waitcnt vmcnt(0)
	v_cvt_f32_f16_e32 v7, v7
	v_sub_f32_e32 v7, s9, v7
	v_cndmask_b32_e32 v2, v2, v7, vcc
	v_add_f32_e32 v3, v3, v7
	s_cbranch_scc1 .LBB29_28
.LBB29_23:                              ; =>This Loop Header: Depth=1
                                        ;     Child Loop BB29_25 Depth 2
	v_mov_b32_e32 v7, s12
	v_mov_b32_e32 v9, 0xff800000
	s_and_saveexec_b64 s[8:9], s[0:1]
	s_cbranch_execz .LBB29_22
; %bb.24:                               ;   in Loop: Header=BB29_23 Depth=1
	s_load_dword s14, s[2:3], 0xc
	s_mov_b64 s[10:11], 0
	v_mov_b32_e32 v7, s12
	v_mov_b32_e32 v9, 0xff800000
	;; [unrolled: 1-line block ×3, first 2 shown]
	s_waitcnt lgkmcnt(0)
	s_and_b32 s14, s14, 0xffff
	s_lshl_b32 s15, s14, 2
	s_lshl_b32 s22, s14, 4
	v_mov_b32_e32 v11, v6
	v_mov_b32_e32 v12, v0
.LBB29_25:                              ;   Parent Loop BB29_23 Depth=1
                                        ; =>  This Inner Loop Header: Depth=2
	ds_read_b128 v[14:17], v10
	v_add_u32_e32 v12, s14, v12
	v_cmp_le_i32_e32 vcc, s7, v12
	s_or_b64 s[10:11], vcc, s[10:11]
	v_add_u32_e32 v13, 1, v11
	s_waitcnt lgkmcnt(0)
	v_cmp_gt_f32_e32 vcc, v14, v9
	v_cndmask_b32_e32 v9, v9, v14, vcc
	v_cndmask_b32_e32 v7, v7, v11, vcc
	v_cmp_gt_f32_e32 vcc, v15, v9
	v_cndmask_b32_e32 v9, v9, v15, vcc
	v_cndmask_b32_e32 v7, v7, v13, vcc
	v_cmp_gt_f32_e32 vcc, v16, v9
	v_add_u32_e32 v18, 2, v11
	v_cndmask_b32_e32 v9, v9, v16, vcc
	v_add_u32_e32 v19, 3, v11
	v_cndmask_b32_e32 v7, v7, v18, vcc
	v_cmp_gt_f32_e32 vcc, v17, v9
	v_add_u32_e32 v10, s22, v10
	v_add_u32_e32 v11, s15, v11
	v_cndmask_b32_e32 v9, v9, v17, vcc
	v_cndmask_b32_e32 v7, v7, v19, vcc
	s_andn2_b64 exec, exec, s[10:11]
	s_cbranch_execnz .LBB29_25
; %bb.26:                               ;   in Loop: Header=BB29_23 Depth=1
	s_or_b64 exec, exec, s[10:11]
	s_branch .LBB29_22
.LBB29_27:
	v_mov_b32_e32 v3, 0
                                        ; implicit-def: $vgpr2
                                        ; implicit-def: $vgpr1
.LBB29_28:
	v_cmp_gt_i32_e32 vcc, s13, v0
	s_and_saveexec_b64 s[0:1], vcc
	s_cbranch_execz .LBB29_31
; %bb.29:
	s_load_dword s7, s[4:5], 0x38
	s_load_dwordx2 s[0:1], s[4:5], 0x20
	s_load_dword s8, s[4:5], 0x4c
	s_waitcnt lgkmcnt(0)
	v_div_scale_f32 v4, s[2:3], v3, v3, s7
	v_rcp_f32_e32 v5, v4
	v_div_scale_f32 v6, vcc, s7, v3, s7
	s_ashr_i32 s2, s6, 31
	v_fma_f32 v7, -v4, v5, 1.0
	v_fmac_f32_e32 v5, v7, v5
	v_mul_f32_e32 v7, v6, v5
	v_fma_f32 v8, -v4, v7, v6
	v_fmac_f32_e32 v7, v8, v5
	v_fma_f32 v4, -v4, v7, v6
	s_mul_i32 s1, s6, s1
	s_mul_hi_u32 s3, s6, s0
	v_div_fmas_f32 v4, v4, v5, v7
	s_add_i32 s1, s3, s1
	s_mul_i32 s2, s2, s0
	v_div_fixup_f32 v3, v4, v3, s7
	s_add_i32 s4, s1, s2
	v_mul_f32_e32 v2, v3, v2
	s_mul_i32 s2, s6, s0
	s_and_b32 s3, s8, 0xffff
	s_mov_b64 s[0:1], 0
	v_mov_b32_e32 v3, s4
	v_mov_b32_e32 v4, s19
	;; [unrolled: 1-line block ×3, first 2 shown]
.LBB29_30:                              ; =>This Inner Loop Header: Depth=1
	v_ashrrev_i32_e32 v7, 31, v0
	v_add_co_u32_e32 v6, vcc, s2, v0
	v_addc_co_u32_e32 v7, vcc, v3, v7, vcc
	v_add_u32_e32 v0, s3, v0
	v_cmp_le_i32_e32 vcc, s13, v0
	v_lshlrev_b64 v[6:7], 2, v[6:7]
	s_or_b64 s[0:1], vcc, s[0:1]
	v_add_co_u32_e32 v8, vcc, s18, v6
	v_addc_co_u32_e32 v9, vcc, v4, v7, vcc
	v_add_co_u32_e32 v6, vcc, s20, v6
	v_addc_co_u32_e32 v7, vcc, v5, v7, vcc
	global_store_dword v[8:9], v2, off
	global_store_dword v[6:7], v1, off
	s_andn2_b64 exec, exec, s[0:1]
	s_cbranch_execnz .LBB29_30
.LBB29_31:
	s_endpgm
	.section	.rodata,"a",@progbits
	.p2align	6, 0x0
	.amdhsa_kernel _ZN5aiter19grouped_topk_kernelIN3c104HalfEDv4_fLi4ELb1ELb1ELb0EEEvPT_PKS4_PfPimiiiif
		.amdhsa_group_segment_fixed_size 0
		.amdhsa_private_segment_fixed_size 0
		.amdhsa_kernarg_size 320
		.amdhsa_user_sgpr_count 6
		.amdhsa_user_sgpr_private_segment_buffer 1
		.amdhsa_user_sgpr_dispatch_ptr 0
		.amdhsa_user_sgpr_queue_ptr 0
		.amdhsa_user_sgpr_kernarg_segment_ptr 1
		.amdhsa_user_sgpr_dispatch_id 0
		.amdhsa_user_sgpr_flat_scratch_init 0
		.amdhsa_user_sgpr_kernarg_preload_length 0
		.amdhsa_user_sgpr_kernarg_preload_offset 0
		.amdhsa_user_sgpr_private_segment_size 0
		.amdhsa_uses_dynamic_stack 0
		.amdhsa_system_sgpr_private_segment_wavefront_offset 0
		.amdhsa_system_sgpr_workgroup_id_x 1
		.amdhsa_system_sgpr_workgroup_id_y 0
		.amdhsa_system_sgpr_workgroup_id_z 0
		.amdhsa_system_sgpr_workgroup_info 0
		.amdhsa_system_vgpr_workitem_id 0
		.amdhsa_next_free_vgpr 38
		.amdhsa_next_free_sgpr 35
		.amdhsa_accum_offset 40
		.amdhsa_reserve_vcc 1
		.amdhsa_reserve_flat_scratch 0
		.amdhsa_float_round_mode_32 0
		.amdhsa_float_round_mode_16_64 0
		.amdhsa_float_denorm_mode_32 3
		.amdhsa_float_denorm_mode_16_64 3
		.amdhsa_dx10_clamp 1
		.amdhsa_ieee_mode 1
		.amdhsa_fp16_overflow 0
		.amdhsa_tg_split 0
		.amdhsa_exception_fp_ieee_invalid_op 0
		.amdhsa_exception_fp_denorm_src 0
		.amdhsa_exception_fp_ieee_div_zero 0
		.amdhsa_exception_fp_ieee_overflow 0
		.amdhsa_exception_fp_ieee_underflow 0
		.amdhsa_exception_fp_ieee_inexact 0
		.amdhsa_exception_int_div_zero 0
	.end_amdhsa_kernel
	.section	.text._ZN5aiter19grouped_topk_kernelIN3c104HalfEDv4_fLi4ELb1ELb1ELb0EEEvPT_PKS4_PfPimiiiif,"axG",@progbits,_ZN5aiter19grouped_topk_kernelIN3c104HalfEDv4_fLi4ELb1ELb1ELb0EEEvPT_PKS4_PfPimiiiif,comdat
.Lfunc_end29:
	.size	_ZN5aiter19grouped_topk_kernelIN3c104HalfEDv4_fLi4ELb1ELb1ELb0EEEvPT_PKS4_PfPimiiiif, .Lfunc_end29-_ZN5aiter19grouped_topk_kernelIN3c104HalfEDv4_fLi4ELb1ELb1ELb0EEEvPT_PKS4_PfPimiiiif
                                        ; -- End function
	.section	.AMDGPU.csdata,"",@progbits
; Kernel info:
; codeLenInByte = 2620
; NumSgprs: 39
; NumVgprs: 38
; NumAgprs: 0
; TotalNumVgprs: 38
; ScratchSize: 0
; MemoryBound: 0
; FloatMode: 240
; IeeeMode: 1
; LDSByteSize: 0 bytes/workgroup (compile time only)
; SGPRBlocks: 4
; VGPRBlocks: 4
; NumSGPRsForWavesPerEU: 39
; NumVGPRsForWavesPerEU: 38
; AccumOffset: 40
; Occupancy: 8
; WaveLimiterHint : 0
; COMPUTE_PGM_RSRC2:SCRATCH_EN: 0
; COMPUTE_PGM_RSRC2:USER_SGPR: 6
; COMPUTE_PGM_RSRC2:TRAP_HANDLER: 0
; COMPUTE_PGM_RSRC2:TGID_X_EN: 1
; COMPUTE_PGM_RSRC2:TGID_Y_EN: 0
; COMPUTE_PGM_RSRC2:TGID_Z_EN: 0
; COMPUTE_PGM_RSRC2:TIDIG_COMP_CNT: 0
; COMPUTE_PGM_RSRC3_GFX90A:ACCUM_OFFSET: 9
; COMPUTE_PGM_RSRC3_GFX90A:TG_SPLIT: 0
	.section	.text._ZN5aiter19grouped_topk_kernelIN3c108BFloat16EDv4_fLi4ELb1ELb1ELb0EEEvPT_PKS4_PfPimiiiif,"axG",@progbits,_ZN5aiter19grouped_topk_kernelIN3c108BFloat16EDv4_fLi4ELb1ELb1ELb0EEEvPT_PKS4_PfPimiiiif,comdat
	.protected	_ZN5aiter19grouped_topk_kernelIN3c108BFloat16EDv4_fLi4ELb1ELb1ELb0EEEvPT_PKS4_PfPimiiiif ; -- Begin function _ZN5aiter19grouped_topk_kernelIN3c108BFloat16EDv4_fLi4ELb1ELb1ELb0EEEvPT_PKS4_PfPimiiiif
	.globl	_ZN5aiter19grouped_topk_kernelIN3c108BFloat16EDv4_fLi4ELb1ELb1ELb0EEEvPT_PKS4_PfPimiiiif
	.p2align	8
	.type	_ZN5aiter19grouped_topk_kernelIN3c108BFloat16EDv4_fLi4ELb1ELb1ELb0EEEvPT_PKS4_PfPimiiiif,@function
_ZN5aiter19grouped_topk_kernelIN3c108BFloat16EDv4_fLi4ELb1ELb1ELb0EEEvPT_PKS4_PfPimiiiif: ; @_ZN5aiter19grouped_topk_kernelIN3c108BFloat16EDv4_fLi4ELb1ELb1ELb0EEEvPT_PKS4_PfPimiiiif
; %bb.0:
	s_load_dwordx4 s[12:15], s[4:5], 0x28
	s_load_dwordx4 s[16:19], s[4:5], 0x8
	s_load_dwordx2 s[20:21], s[4:5], 0x18
	v_lshl_add_u32 v8, v0, 4, 0
	s_waitcnt lgkmcnt(0)
	s_ashr_i32 s15, s12, 31
	s_lshr_b32 s0, s15, 30
	s_add_i32 s0, s12, s0
	s_ashr_i32 s7, s0, 2
	v_cmp_gt_i32_e64 s[0:1], s7, v0
	s_and_saveexec_b64 s[22:23], s[0:1]
	s_cbranch_execz .LBB30_3
; %bb.1:
	s_load_dwordx2 s[2:3], s[4:5], 0x0
	s_load_dword s10, s[4:5], 0x4c
	s_mul_i32 s8, s6, s12
	s_ashr_i32 s9, s8, 31
	s_lshl_b64 s[8:9], s[8:9], 1
	s_waitcnt lgkmcnt(0)
	s_add_u32 s26, s2, s8
	s_addc_u32 s2, s3, s9
	s_and_b32 s27, s10, 0xffff
	s_mov_b32 s3, 0
	v_lshlrev_b32_e32 v2, 3, v0
	v_mov_b32_e32 v1, 0
	s_lshl_b32 s28, s27, 3
	v_lshl_add_u32 v3, v0, 4, 0
	s_lshl_b32 s29, s27, 4
	s_mov_b64 s[24:25], 0
	v_mov_b32_e32 v9, s2
	v_mov_b32_e32 v10, s17
	s_mov_b32 s30, 0xbfb8aa3b
	s_mov_b32 s31, 0x42ce8ed0
	;; [unrolled: 1-line block ×3, first 2 shown]
	v_mov_b32_e32 v11, 0x7f800000
	v_mov_b32_e32 v12, s3
	;; [unrolled: 1-line block ×3, first 2 shown]
.LBB30_2:                               ; =>This Inner Loop Header: Depth=1
	v_add_co_u32_e32 v4, vcc, s26, v2
	v_addc_co_u32_e32 v5, vcc, v9, v1, vcc
	v_add_co_u32_e32 v6, vcc, s16, v2
	v_addc_co_u32_e32 v7, vcc, v10, v1, vcc
	global_load_dwordx2 v[14:15], v[4:5], off
	global_load_dwordx2 v[16:17], v[6:7], off
	v_add_co_u32_e32 v2, vcc, s28, v2
	v_add_u32_e32 v13, s27, v13
	v_addc_co_u32_e32 v1, vcc, v1, v12, vcc
	v_cmp_le_i32_e32 vcc, s7, v13
	s_or_b64 s[24:25], vcc, s[24:25]
	s_waitcnt vmcnt(1)
	v_cvt_f32_u32_sdwa v18, v14 dst_sel:DWORD dst_unused:UNUSED_PAD src0_sel:WORD_0
	v_cvt_f32_u32_sdwa v14, v14 dst_sel:DWORD dst_unused:UNUSED_PAD src0_sel:WORD_1
	s_waitcnt vmcnt(0)
	v_cvt_f32_u32_sdwa v5, v16 dst_sel:DWORD dst_unused:UNUSED_PAD src0_sel:WORD_1
	v_cvt_f32_u32_sdwa v4, v16 dst_sel:DWORD dst_unused:UNUSED_PAD src0_sel:WORD_0
	v_cvt_f32_u32_sdwa v16, v15 dst_sel:DWORD dst_unused:UNUSED_PAD src0_sel:WORD_0
	v_cvt_f32_u32_sdwa v15, v15 dst_sel:DWORD dst_unused:UNUSED_PAD src0_sel:WORD_1
	v_cvt_f32_u32_sdwa v7, v17 dst_sel:DWORD dst_unused:UNUSED_PAD src0_sel:WORD_1
	v_cvt_f32_u32_sdwa v6, v17 dst_sel:DWORD dst_unused:UNUSED_PAD src0_sel:WORD_0
	v_mul_f32_e32 v17, 0xbfb8aa3b, v14
	v_mul_f32_e32 v19, 0xbfb8aa3b, v18
	;; [unrolled: 1-line block ×3, first 2 shown]
	v_fma_f32 v22, v14, s30, -v17
	v_rndne_f32_e32 v23, v17
	v_fma_f32 v24, v18, s30, -v19
	v_rndne_f32_e32 v25, v19
	v_mul_f32_e32 v21, 0xbfb8aa3b, v16
	v_fma_f32 v26, v15, s30, -v20
	v_rndne_f32_e32 v27, v20
	v_fmac_f32_e32 v22, 0xb2a5705f, v14
	v_sub_f32_e32 v17, v17, v23
	v_fmac_f32_e32 v24, 0xb2a5705f, v18
	v_sub_f32_e32 v19, v19, v25
	v_fma_f32 v28, v16, s30, -v21
	v_rndne_f32_e32 v29, v21
	v_fmac_f32_e32 v26, 0xb2a5705f, v15
	v_sub_f32_e32 v20, v20, v27
	v_add_f32_e32 v17, v17, v22
	v_add_f32_e32 v19, v19, v24
	v_cvt_i32_f32_e32 v23, v23
	v_cvt_i32_f32_e32 v25, v25
	v_fmac_f32_e32 v28, 0xb2a5705f, v16
	v_sub_f32_e32 v21, v21, v29
	v_add_f32_e32 v20, v20, v26
	v_exp_f32_e32 v17, v17
	v_exp_f32_e32 v19, v19
	v_cvt_i32_f32_e32 v27, v27
	v_add_f32_e32 v21, v21, v28
	v_exp_f32_e32 v20, v20
	v_cvt_i32_f32_e32 v29, v29
	v_exp_f32_e32 v21, v21
	v_ldexp_f32 v17, v17, v23
	v_ldexp_f32 v19, v19, v25
	v_cmp_nlt_f32_e32 vcc, s31, v18
	v_cmp_nlt_f32_e64 s[10:11], s31, v14
	v_ldexp_f32 v20, v20, v27
	v_cmp_nlt_f32_e64 s[2:3], s31, v15
	v_cndmask_b32_e64 v17, 0, v17, s[10:11]
	v_cndmask_b32_e32 v19, 0, v19, vcc
	v_cmp_ngt_f32_e32 vcc, s33, v18
	v_cmp_ngt_f32_e64 s[10:11], s33, v14
	v_ldexp_f32 v21, v21, v29
	v_cmp_nlt_f32_e64 s[8:9], s31, v16
	v_cndmask_b32_e64 v18, 0, v20, s[2:3]
	v_cmp_ngt_f32_e64 s[2:3], s33, v15
	v_cndmask_b32_e64 v15, v11, v17, s[10:11]
	v_cndmask_b32_e32 v14, v11, v19, vcc
	v_cndmask_b32_e64 v20, 0, v21, s[8:9]
	v_cmp_ngt_f32_e64 s[8:9], s33, v16
	v_pk_add_f32 v[14:15], v[14:15], 1.0 op_sel_hi:[1,0]
	v_cndmask_b32_e64 v17, v11, v18, s[2:3]
	v_cndmask_b32_e64 v16, v11, v20, s[8:9]
	v_div_scale_f32 v18, s[2:3], v15, v15, 1.0
	v_pk_add_f32 v[16:17], v[16:17], 1.0 op_sel_hi:[1,0]
	v_div_scale_f32 v20, s[2:3], v14, v14, 1.0
	v_rcp_f32_e32 v26, v18
	v_div_scale_f32 v22, s[8:9], v17, v17, 1.0
	v_rcp_f32_e32 v27, v20
	;; [unrolled: 2-line block ×3, first 2 shown]
	v_rcp_f32_e32 v29, v24
	v_fma_f32 v30, -v18, v26, 1.0
	v_div_scale_f32 v19, vcc, 1.0, v15, 1.0
	v_fma_f32 v31, -v20, v27, 1.0
	v_fmac_f32_e32 v26, v30, v26
	v_div_scale_f32 v21, s[2:3], 1.0, v14, 1.0
	v_fma_f32 v32, -v22, v28, 1.0
	v_fmac_f32_e32 v27, v31, v27
	v_mul_f32_e32 v30, v19, v26
	v_div_scale_f32 v23, s[8:9], 1.0, v17, 1.0
	v_fma_f32 v33, -v24, v29, 1.0
	v_fmac_f32_e32 v28, v32, v28
	v_mul_f32_e32 v31, v21, v27
	v_fma_f32 v34, -v18, v30, v19
	v_div_scale_f32 v25, s[10:11], 1.0, v16, 1.0
	v_fmac_f32_e32 v29, v33, v29
	v_mul_f32_e32 v32, v23, v28
	v_fma_f32 v35, -v20, v31, v21
	v_fmac_f32_e32 v30, v34, v26
	v_mul_f32_e32 v33, v25, v29
	v_fma_f32 v36, -v22, v32, v23
	v_fmac_f32_e32 v31, v35, v27
	v_fma_f32 v18, -v18, v30, v19
	v_fma_f32 v37, -v24, v33, v25
	v_fmac_f32_e32 v32, v36, v28
	v_fma_f32 v19, -v20, v31, v21
	v_div_fmas_f32 v18, v18, v26, v30
	s_mov_b64 vcc, s[2:3]
	v_fmac_f32_e32 v33, v37, v29
	v_fma_f32 v20, -v22, v32, v23
	v_div_fixup_f32 v15, v18, v15, 1.0
	v_div_fmas_f32 v18, v19, v27, v31
	s_mov_b64 vcc, s[8:9]
	v_fma_f32 v21, -v24, v33, v25
	v_div_fixup_f32 v14, v18, v14, 1.0
	v_div_fmas_f32 v18, v20, v28, v32
	s_mov_b64 vcc, s[10:11]
	v_div_fixup_f32 v17, v18, v17, 1.0
	v_div_fmas_f32 v18, v21, v29, v33
	v_div_fixup_f32 v16, v18, v16, 1.0
	v_pk_add_f32 v[4:5], v[14:15], v[4:5]
	v_pk_add_f32 v[6:7], v[16:17], v[6:7]
	ds_write_b128 v3, v[4:7]
	v_add_u32_e32 v3, s29, v3
	s_andn2_b64 exec, exec, s[24:25]
	s_cbranch_execnz .LBB30_2
.LBB30_3:
	s_or_b64 exec, exec, s[22:23]
	s_lshl_b32 s2, s12, 2
	s_add_i32 s28, s2, 0
	v_cmp_gt_u32_e32 vcc, 64, v0
	s_waitcnt lgkmcnt(0)
	s_barrier
	s_and_saveexec_b64 s[10:11], vcc
	s_cbranch_execz .LBB30_12
; %bb.4:
	s_load_dword s8, s[4:5], 0x4c
	v_lshrrev_b32_e32 v2, 4, v0
	s_lshr_b32 s2, s15, 28
	v_and_b32_e32 v1, 15, v0
	s_add_i32 s2, s12, s2
	s_waitcnt lgkmcnt(0)
	s_bfe_u32 s15, s8, 0xc0004
	v_mul_lo_u32 v3, s7, v2
	s_ashr_i32 s12, s2, 4
	v_lshlrev_b32_e32 v3, 2, v3
	v_lshlrev_b32_e32 v4, 4, v1
	s_mul_i32 s8, s7, s15
	v_cmp_gt_i32_e32 vcc, s12, v1
	v_cmp_eq_u32_e64 s[2:3], 0, v1
	v_add3_u32 v3, v3, v4, 0
	s_lshl_b32 s29, s8, 2
	s_mov_b64 s[22:23], 0
	s_branch .LBB30_6
.LBB30_5:                               ;   in Loop: Header=BB30_6 Depth=1
	s_or_b64 exec, exec, s[8:9]
	v_add_u32_e32 v2, s15, v2
	v_cmp_lt_u32_e64 s[8:9], 3, v2
	s_or_b64 s[22:23], s[8:9], s[22:23]
	v_add_u32_e32 v3, s29, v3
	s_andn2_b64 exec, exec, s[22:23]
	s_cbranch_execz .LBB30_12
.LBB30_6:                               ; =>This Loop Header: Depth=1
                                        ;     Child Loop BB30_8 Depth 2
	v_mov_b32_e32 v4, 0xff800000
	v_mov_b32_e32 v7, 0xff800000
	s_and_saveexec_b64 s[24:25], vcc
	s_cbranch_execz .LBB30_10
; %bb.7:                                ;   in Loop: Header=BB30_6 Depth=1
	s_mov_b64 s[26:27], 0
	v_mov_b32_e32 v4, 0xff800000
	v_mov_b32_e32 v5, v3
	;; [unrolled: 1-line block ×4, first 2 shown]
.LBB30_8:                               ;   Parent Loop BB30_6 Depth=1
                                        ; =>  This Inner Loop Header: Depth=2
	ds_read_b128 v[10:13], v5
	v_add_u32_e32 v6, 16, v6
	v_max_f32_e32 v7, v7, v7
	v_cmp_le_i32_e64 s[8:9], s12, v6
	s_or_b64 s[26:27], s[8:9], s[26:27]
	s_waitcnt lgkmcnt(0)
	v_max_f32_e32 v14, v10, v10
	v_max_f32_e32 v7, v14, v7
	v_cmp_gt_f32_e64 s[8:9], v10, v4
	v_max_f32_e32 v9, v4, v4
	v_cndmask_b32_e64 v4, v7, v4, s[8:9]
	v_max_f32_e32 v15, v11, v11
	v_max_f32_e32 v9, v14, v9
	v_max_f32_e32 v4, v4, v4
	v_max_f32_e32 v14, v15, v4
	v_cmp_gt_f32_e64 s[8:9], v11, v9
	v_max_f32_e32 v16, v12, v12
	v_max_f32_e32 v7, v15, v9
	v_cndmask_b32_e64 v9, v14, v9, s[8:9]
	v_max_f32_e32 v9, v16, v9
	v_cmp_gt_f32_e64 s[8:9], v12, v7
	v_max_f32_e32 v17, v13, v13
	v_max_f32_e32 v10, v16, v7
	v_cndmask_b32_e64 v7, v9, v7, s[8:9]
	v_max_f32_e32 v7, v17, v7
	v_cmp_gt_f32_e64 s[8:9], v13, v10
	v_add_u32_e32 v5, 0x100, v5
	v_max_f32_e32 v4, v17, v10
	v_cndmask_b32_e64 v7, v7, v10, s[8:9]
	s_andn2_b64 exec, exec, s[26:27]
	s_cbranch_execnz .LBB30_8
; %bb.9:                                ;   in Loop: Header=BB30_6 Depth=1
	s_or_b64 exec, exec, s[26:27]
.LBB30_10:                              ;   in Loop: Header=BB30_6 Depth=1
	s_or_b64 exec, exec, s[24:25]
	s_and_saveexec_b64 s[8:9], s[2:3]
	s_cbranch_execz .LBB30_5
; %bb.11:                               ;   in Loop: Header=BB30_6 Depth=1
	v_lshl_add_u32 v5, v2, 2, s28
	v_add_f32_e32 v4, v7, v4
	ds_write_b32 v5, v4
	s_branch .LBB30_5
.LBB30_12:
	s_or_b64 exec, exec, s[10:11]
	s_cmp_lt_i32 s14, 1
	s_waitcnt lgkmcnt(0)
	s_barrier
	s_cbranch_scc1 .LBB30_15
; %bb.13:
	v_mov_b32_e32 v1, s28
	s_mov_b32 s2, 0xff800000
	v_mov_b32_e32 v2, 0xff800000
.LBB30_14:                              ; =>This Inner Loop Header: Depth=1
	ds_read2_b32 v[4:5], v1 offset1:1
	ds_read2_b32 v[6:7], v1 offset0:2 offset1:3
	s_waitcnt lgkmcnt(1)
	v_cmp_nlg_f32_e32 vcc, s2, v4
	v_cndmask_b32_e64 v3, 0, 1, vcc
	v_cmp_lg_f32_e32 vcc, s2, v4
	v_cndmask_b32_e32 v4, v2, v4, vcc
	v_readfirstlane_b32 s3, v3
	v_cmp_gt_f32_e32 vcc, v5, v4
	s_lshl_b32 s3, s3, 2
	v_cndmask_b32_e32 v3, v4, v5, vcc
	s_and_b64 s[8:9], vcc, exec
	s_waitcnt lgkmcnt(0)
	v_cmp_gt_f32_e32 vcc, v6, v3
	v_cndmask_b32_e32 v3, v3, v6, vcc
	s_cselect_b32 s3, 1, s3
	s_and_b64 s[8:9], vcc, exec
	v_cmp_ngt_f32_e32 vcc, v7, v3
	s_cselect_b32 s3, 2, s3
	s_and_b64 s[8:9], vcc, exec
	s_cselect_b32 s3, s3, 3
	s_lshl_b32 s3, s3, 2
	s_add_i32 s3, s28, s3
	s_add_i32 s14, s14, -1
	v_mov_b32_e32 v3, s3
	s_cmp_lg_u32 s14, 0
	ds_write_b32 v3, v2
	s_cbranch_scc1 .LBB30_14
.LBB30_15:
	v_lshlrev_b32_e32 v6, 2, v0
	s_and_saveexec_b64 s[2:3], s[0:1]
	s_cbranch_execz .LBB30_20
; %bb.16:
	s_abs_i32 s12, s7
	v_cvt_f32_u32_e32 v2, s12
	s_load_dword s10, s[4:5], 0x4c
	s_sub_i32 s11, 0, s12
	s_ashr_i32 s14, s7, 31
	v_rcp_iflag_f32_e32 v2, v2
	v_lshlrev_b32_e32 v1, 2, v0
	s_waitcnt lgkmcnt(0)
	s_and_b32 s15, s10, 0xffff
	v_lshl_add_u32 v7, v0, 4, 0
	v_mul_f32_e32 v2, 0x4f7ffffe, v2
	v_cvt_u32_f32_e32 v2, v2
	s_mov_b64 s[8:9], 0
	s_lshl_b32 s22, s15, 2
	s_lshl_b32 s23, s15, 4
	v_mul_lo_u32 v3, s11, v2
	v_mul_hi_u32 v3, v2, v3
	v_add_u32_e32 v9, v2, v3
	s_mov_b32 s24, 0xff800000
	v_mov_b32_e32 v2, 0xff800000
	v_mov_b32_e32 v10, v0
	s_branch .LBB30_18
.LBB30_17:                              ;   in Loop: Header=BB30_18 Depth=1
	s_or_b64 exec, exec, s[10:11]
	v_add_u32_e32 v10, s15, v10
	v_cmp_le_i32_e32 vcc, s7, v10
	v_add_u32_e32 v1, s22, v1
	s_or_b64 s[8:9], vcc, s[8:9]
	v_add_u32_e32 v7, s23, v7
	s_andn2_b64 exec, exec, s[8:9]
	s_cbranch_execz .LBB30_20
.LBB30_18:                              ; =>This Inner Loop Header: Depth=1
	v_mul_hi_u32 v3, v1, v9
	v_mul_lo_u32 v4, v3, s12
	v_sub_u32_e32 v4, v1, v4
	v_add_u32_e32 v5, 1, v3
	v_cmp_le_u32_e32 vcc, s12, v4
	v_cndmask_b32_e32 v3, v3, v5, vcc
	v_subrev_u32_e32 v5, s12, v4
	v_cndmask_b32_e32 v4, v4, v5, vcc
	v_add_u32_e32 v5, 1, v3
	v_cmp_le_u32_e32 vcc, s12, v4
	v_cndmask_b32_e32 v3, v3, v5, vcc
	v_xor_b32_e32 v3, s14, v3
	v_subrev_u32_e32 v3, s14, v3
	v_lshl_add_u32 v3, v3, 2, s28
	ds_read_b32 v3, v3
	s_waitcnt lgkmcnt(0)
	v_cmp_neq_f32_e32 vcc, s24, v3
	s_and_saveexec_b64 s[10:11], vcc
	s_cbranch_execz .LBB30_17
; %bb.19:                               ;   in Loop: Header=BB30_18 Depth=1
	v_mov_b32_e32 v3, v2
	v_mov_b32_e32 v4, v2
	;; [unrolled: 1-line block ×3, first 2 shown]
	ds_write_b128 v7, v[2:5]
	s_branch .LBB30_17
.LBB30_20:
	s_or_b64 exec, exec, s[2:3]
	s_cmp_lt_i32 s13, 1
	s_waitcnt lgkmcnt(0)
	s_barrier
	s_cbranch_scc1 .LBB30_27
; %bb.21:
	s_add_u32 s2, s4, 64
	s_addc_u32 s3, s5, 0
	s_mov_b32 s12, 0
	v_mov_b32_e32 v4, 0
	v_mov_b32_e32 v5, 0xff800000
	;; [unrolled: 1-line block ×3, first 2 shown]
                                        ; implicit-def: $vgpr2
                                        ; implicit-def: $vgpr1
	s_branch .LBB30_23
.LBB30_22:                              ;   in Loop: Header=BB30_23 Depth=1
	s_or_b64 exec, exec, s[8:9]
	v_mov_b32_dpp v11, v9 quad_perm:[1,0,3,2] row_mask:0xf bank_mask:0xf
	v_cmp_lt_f32_e32 vcc, v9, v11
	v_cndmask_b32_e32 v9, v9, v11, vcc
	v_mov_b32_dpp v10, v7 quad_perm:[1,0,3,2] row_mask:0xf bank_mask:0xf
	v_cndmask_b32_e32 v7, v7, v10, vcc
	v_mov_b32_dpp v11, v9 quad_perm:[2,3,0,1] row_mask:0xf bank_mask:0xf
	v_cmp_gt_f32_e32 vcc, v11, v9
	v_cndmask_b32_e32 v9, v9, v11, vcc
	v_mov_b32_dpp v10, v7 quad_perm:[2,3,0,1] row_mask:0xf bank_mask:0xf
	v_cndmask_b32_e32 v7, v7, v10, vcc
	v_mov_b32_dpp v11, v9 row_half_mirror row_mask:0xf bank_mask:0xf
	v_cmp_gt_f32_e32 vcc, v11, v9
	v_cndmask_b32_e32 v9, v9, v11, vcc
	v_mov_b32_dpp v10, v7 row_half_mirror row_mask:0xf bank_mask:0xf
	v_cndmask_b32_e32 v7, v7, v10, vcc
	v_mov_b32_dpp v11, v9 row_mirror row_mask:0xf bank_mask:0xf
	v_cmp_gt_f32_e32 vcc, v11, v9
	v_cndmask_b32_e32 v9, v9, v11, vcc
	v_mov_b32_dpp v10, v7 row_mirror row_mask:0xf bank_mask:0xf
	v_cndmask_b32_e32 v7, v7, v10, vcc
	v_mov_b32_dpp v11, v9 row_bcast:15 row_mask:0xf bank_mask:0xf
	v_cmp_gt_f32_e32 vcc, v11, v9
	v_mov_b32_dpp v10, v7 row_bcast:15 row_mask:0xf bank_mask:0xf
	v_cndmask_b32_e32 v9, v9, v11, vcc
	v_cndmask_b32_e32 v7, v7, v10, vcc
	s_nop 0
	v_mov_b32_dpp v11, v9 row_bcast:31 row_mask:0xf bank_mask:0xf
	v_mov_b32_dpp v10, v7 row_bcast:31 row_mask:0xf bank_mask:0xf
	v_cmp_gt_f32_e32 vcc, v11, v9
	v_cndmask_b32_e32 v7, v7, v10, vcc
	v_readlane_b32 s8, v7, 63
	s_ashr_i32 s9, s8, 31
	s_lshl_b64 s[10:11], s[8:9], 1
	s_add_u32 s10, s16, s10
	s_addc_u32 s11, s17, s11
	global_load_ushort v7, v4, s[10:11]
	v_cndmask_b32_e32 v9, v9, v11, vcc
	v_readlane_b32 s9, v9, 63
	v_mov_b32_e32 v9, s8
	s_lshl_b32 s8, s8, 2
	v_cmp_eq_u32_e32 vcc, s12, v0
	s_add_i32 s8, s8, 0
	v_cndmask_b32_e32 v1, v1, v9, vcc
	v_mov_b32_e32 v9, s8
	ds_write_b32 v9, v5
	s_add_i32 s12, s12, 1
	s_cmp_eq_u32 s12, s13
	s_waitcnt vmcnt(0)
	v_and_b32_e32 v9, 0xff, v7
	v_lshlrev_b32_e32 v7, 16, v7
	v_lshlrev_b32_e32 v9, 16, v9
	v_and_b32_e32 v7, 0xff000000, v7
	v_or_b32_e32 v7, v9, v7
	v_sub_f32_e32 v7, s9, v7
	v_cndmask_b32_e32 v2, v2, v7, vcc
	v_add_f32_e32 v3, v3, v7
	s_cbranch_scc1 .LBB30_28
.LBB30_23:                              ; =>This Loop Header: Depth=1
                                        ;     Child Loop BB30_25 Depth 2
	v_mov_b32_e32 v7, s12
	v_mov_b32_e32 v9, 0xff800000
	s_and_saveexec_b64 s[8:9], s[0:1]
	s_cbranch_execz .LBB30_22
; %bb.24:                               ;   in Loop: Header=BB30_23 Depth=1
	s_load_dword s14, s[2:3], 0xc
	s_mov_b64 s[10:11], 0
	v_mov_b32_e32 v7, s12
	v_mov_b32_e32 v9, 0xff800000
	;; [unrolled: 1-line block ×3, first 2 shown]
	s_waitcnt lgkmcnt(0)
	s_and_b32 s14, s14, 0xffff
	s_lshl_b32 s15, s14, 2
	s_lshl_b32 s22, s14, 4
	v_mov_b32_e32 v11, v6
	v_mov_b32_e32 v12, v0
.LBB30_25:                              ;   Parent Loop BB30_23 Depth=1
                                        ; =>  This Inner Loop Header: Depth=2
	ds_read_b128 v[14:17], v10
	v_add_u32_e32 v12, s14, v12
	v_cmp_le_i32_e32 vcc, s7, v12
	s_or_b64 s[10:11], vcc, s[10:11]
	v_add_u32_e32 v13, 1, v11
	s_waitcnt lgkmcnt(0)
	v_cmp_gt_f32_e32 vcc, v14, v9
	v_cndmask_b32_e32 v9, v9, v14, vcc
	v_cndmask_b32_e32 v7, v7, v11, vcc
	v_cmp_gt_f32_e32 vcc, v15, v9
	v_cndmask_b32_e32 v9, v9, v15, vcc
	v_cndmask_b32_e32 v7, v7, v13, vcc
	v_cmp_gt_f32_e32 vcc, v16, v9
	v_add_u32_e32 v18, 2, v11
	v_cndmask_b32_e32 v9, v9, v16, vcc
	v_add_u32_e32 v19, 3, v11
	v_cndmask_b32_e32 v7, v7, v18, vcc
	v_cmp_gt_f32_e32 vcc, v17, v9
	v_add_u32_e32 v10, s22, v10
	v_add_u32_e32 v11, s15, v11
	v_cndmask_b32_e32 v9, v9, v17, vcc
	v_cndmask_b32_e32 v7, v7, v19, vcc
	s_andn2_b64 exec, exec, s[10:11]
	s_cbranch_execnz .LBB30_25
; %bb.26:                               ;   in Loop: Header=BB30_23 Depth=1
	s_or_b64 exec, exec, s[10:11]
	s_branch .LBB30_22
.LBB30_27:
	v_mov_b32_e32 v3, 0
                                        ; implicit-def: $vgpr2
                                        ; implicit-def: $vgpr1
.LBB30_28:
	v_cmp_gt_i32_e32 vcc, s13, v0
	s_and_saveexec_b64 s[0:1], vcc
	s_cbranch_execz .LBB30_31
; %bb.29:
	s_load_dword s7, s[4:5], 0x38
	s_load_dwordx2 s[0:1], s[4:5], 0x20
	s_load_dword s8, s[4:5], 0x4c
	s_waitcnt lgkmcnt(0)
	v_div_scale_f32 v4, s[2:3], v3, v3, s7
	v_rcp_f32_e32 v5, v4
	v_div_scale_f32 v6, vcc, s7, v3, s7
	s_ashr_i32 s2, s6, 31
	v_fma_f32 v7, -v4, v5, 1.0
	v_fmac_f32_e32 v5, v7, v5
	v_mul_f32_e32 v7, v6, v5
	v_fma_f32 v8, -v4, v7, v6
	v_fmac_f32_e32 v7, v8, v5
	v_fma_f32 v4, -v4, v7, v6
	s_mul_i32 s1, s6, s1
	s_mul_hi_u32 s3, s6, s0
	v_div_fmas_f32 v4, v4, v5, v7
	s_add_i32 s1, s3, s1
	s_mul_i32 s2, s2, s0
	v_div_fixup_f32 v3, v4, v3, s7
	s_add_i32 s4, s1, s2
	v_mul_f32_e32 v2, v3, v2
	s_mul_i32 s2, s6, s0
	s_and_b32 s3, s8, 0xffff
	s_mov_b64 s[0:1], 0
	v_mov_b32_e32 v3, s4
	v_mov_b32_e32 v4, s19
	;; [unrolled: 1-line block ×3, first 2 shown]
.LBB30_30:                              ; =>This Inner Loop Header: Depth=1
	v_ashrrev_i32_e32 v7, 31, v0
	v_add_co_u32_e32 v6, vcc, s2, v0
	v_addc_co_u32_e32 v7, vcc, v3, v7, vcc
	v_add_u32_e32 v0, s3, v0
	v_cmp_le_i32_e32 vcc, s13, v0
	v_lshlrev_b64 v[6:7], 2, v[6:7]
	s_or_b64 s[0:1], vcc, s[0:1]
	v_add_co_u32_e32 v8, vcc, s18, v6
	v_addc_co_u32_e32 v9, vcc, v4, v7, vcc
	v_add_co_u32_e32 v6, vcc, s20, v6
	v_addc_co_u32_e32 v7, vcc, v5, v7, vcc
	global_store_dword v[8:9], v2, off
	global_store_dword v[6:7], v1, off
	s_andn2_b64 exec, exec, s[0:1]
	s_cbranch_execnz .LBB30_30
.LBB30_31:
	s_endpgm
	.section	.rodata,"a",@progbits
	.p2align	6, 0x0
	.amdhsa_kernel _ZN5aiter19grouped_topk_kernelIN3c108BFloat16EDv4_fLi4ELb1ELb1ELb0EEEvPT_PKS4_PfPimiiiif
		.amdhsa_group_segment_fixed_size 0
		.amdhsa_private_segment_fixed_size 0
		.amdhsa_kernarg_size 320
		.amdhsa_user_sgpr_count 6
		.amdhsa_user_sgpr_private_segment_buffer 1
		.amdhsa_user_sgpr_dispatch_ptr 0
		.amdhsa_user_sgpr_queue_ptr 0
		.amdhsa_user_sgpr_kernarg_segment_ptr 1
		.amdhsa_user_sgpr_dispatch_id 0
		.amdhsa_user_sgpr_flat_scratch_init 0
		.amdhsa_user_sgpr_kernarg_preload_length 0
		.amdhsa_user_sgpr_kernarg_preload_offset 0
		.amdhsa_user_sgpr_private_segment_size 0
		.amdhsa_uses_dynamic_stack 0
		.amdhsa_system_sgpr_private_segment_wavefront_offset 0
		.amdhsa_system_sgpr_workgroup_id_x 1
		.amdhsa_system_sgpr_workgroup_id_y 0
		.amdhsa_system_sgpr_workgroup_id_z 0
		.amdhsa_system_sgpr_workgroup_info 0
		.amdhsa_system_vgpr_workitem_id 0
		.amdhsa_next_free_vgpr 38
		.amdhsa_next_free_sgpr 34
		.amdhsa_accum_offset 40
		.amdhsa_reserve_vcc 1
		.amdhsa_reserve_flat_scratch 0
		.amdhsa_float_round_mode_32 0
		.amdhsa_float_round_mode_16_64 0
		.amdhsa_float_denorm_mode_32 3
		.amdhsa_float_denorm_mode_16_64 3
		.amdhsa_dx10_clamp 1
		.amdhsa_ieee_mode 1
		.amdhsa_fp16_overflow 0
		.amdhsa_tg_split 0
		.amdhsa_exception_fp_ieee_invalid_op 0
		.amdhsa_exception_fp_denorm_src 0
		.amdhsa_exception_fp_ieee_div_zero 0
		.amdhsa_exception_fp_ieee_overflow 0
		.amdhsa_exception_fp_ieee_underflow 0
		.amdhsa_exception_fp_ieee_inexact 0
		.amdhsa_exception_int_div_zero 0
	.end_amdhsa_kernel
	.section	.text._ZN5aiter19grouped_topk_kernelIN3c108BFloat16EDv4_fLi4ELb1ELb1ELb0EEEvPT_PKS4_PfPimiiiif,"axG",@progbits,_ZN5aiter19grouped_topk_kernelIN3c108BFloat16EDv4_fLi4ELb1ELb1ELb0EEEvPT_PKS4_PfPimiiiif,comdat
.Lfunc_end30:
	.size	_ZN5aiter19grouped_topk_kernelIN3c108BFloat16EDv4_fLi4ELb1ELb1ELb0EEEvPT_PKS4_PfPimiiiif, .Lfunc_end30-_ZN5aiter19grouped_topk_kernelIN3c108BFloat16EDv4_fLi4ELb1ELb1ELb0EEEvPT_PKS4_PfPimiiiif
                                        ; -- End function
	.section	.AMDGPU.csdata,"",@progbits
; Kernel info:
; codeLenInByte = 2644
; NumSgprs: 38
; NumVgprs: 38
; NumAgprs: 0
; TotalNumVgprs: 38
; ScratchSize: 0
; MemoryBound: 0
; FloatMode: 240
; IeeeMode: 1
; LDSByteSize: 0 bytes/workgroup (compile time only)
; SGPRBlocks: 4
; VGPRBlocks: 4
; NumSGPRsForWavesPerEU: 38
; NumVGPRsForWavesPerEU: 38
; AccumOffset: 40
; Occupancy: 8
; WaveLimiterHint : 0
; COMPUTE_PGM_RSRC2:SCRATCH_EN: 0
; COMPUTE_PGM_RSRC2:USER_SGPR: 6
; COMPUTE_PGM_RSRC2:TRAP_HANDLER: 0
; COMPUTE_PGM_RSRC2:TGID_X_EN: 1
; COMPUTE_PGM_RSRC2:TGID_Y_EN: 0
; COMPUTE_PGM_RSRC2:TGID_Z_EN: 0
; COMPUTE_PGM_RSRC2:TIDIG_COMP_CNT: 0
; COMPUTE_PGM_RSRC3_GFX90A:ACCUM_OFFSET: 9
; COMPUTE_PGM_RSRC3_GFX90A:TG_SPLIT: 0
	.section	.text._ZN5aiter19grouped_topk_kernelIfDv4_fLi4ELb1ELb0ELb1EEEvPT_PKS2_PfPimiiiif,"axG",@progbits,_ZN5aiter19grouped_topk_kernelIfDv4_fLi4ELb1ELb0ELb1EEEvPT_PKS2_PfPimiiiif,comdat
	.protected	_ZN5aiter19grouped_topk_kernelIfDv4_fLi4ELb1ELb0ELb1EEEvPT_PKS2_PfPimiiiif ; -- Begin function _ZN5aiter19grouped_topk_kernelIfDv4_fLi4ELb1ELb0ELb1EEEvPT_PKS2_PfPimiiiif
	.globl	_ZN5aiter19grouped_topk_kernelIfDv4_fLi4ELb1ELb0ELb1EEEvPT_PKS2_PfPimiiiif
	.p2align	8
	.type	_ZN5aiter19grouped_topk_kernelIfDv4_fLi4ELb1ELb0ELb1EEEvPT_PKS2_PfPimiiiif,@function
_ZN5aiter19grouped_topk_kernelIfDv4_fLi4ELb1ELb0ELb1EEEvPT_PKS2_PfPimiiiif: ; @_ZN5aiter19grouped_topk_kernelIfDv4_fLi4ELb1ELb0ELb1EEEvPT_PKS2_PfPimiiiif
; %bb.0:
	s_load_dwordx4 s[8:11], s[4:5], 0x28
	s_load_dwordx4 s[12:15], s[4:5], 0x10
	v_mov_b32_e32 v1, 0xff800000
	s_waitcnt lgkmcnt(0)
	v_cmp_gt_i32_e32 vcc, s8, v0
	s_and_saveexec_b64 s[2:3], vcc
	s_cbranch_execz .LBB31_4
; %bb.1:
	s_load_dword s0, s[4:5], 0x4c
	s_load_dwordx2 s[16:17], s[4:5], 0x0
	s_mul_i32 s7, s6, s8
	v_lshl_add_u32 v2, v0, 2, 0
	s_mov_b64 s[18:19], 0
	s_waitcnt lgkmcnt(0)
	s_and_b32 s11, s0, 0xffff
	s_lshl_b32 s20, s11, 2
	v_mov_b32_e32 v1, 0xff800000
	v_mov_b32_e32 v3, s17
	;; [unrolled: 1-line block ×3, first 2 shown]
.LBB31_2:                               ; =>This Inner Loop Header: Depth=1
	v_add_u32_e32 v6, s7, v4
	v_ashrrev_i32_e32 v7, 31, v6
	v_lshlrev_b64 v[6:7], 2, v[6:7]
	v_add_co_u32_e64 v6, s[0:1], s16, v6
	v_addc_co_u32_e64 v7, s[0:1], v3, v7, s[0:1]
	global_load_dword v5, v[6:7], off
	v_add_u32_e32 v4, s11, v4
	v_cmp_le_i32_e64 s[0:1], s8, v4
	s_or_b64 s[18:19], s[0:1], s[18:19]
	s_waitcnt vmcnt(0)
	v_cmp_gt_f32_e64 s[0:1], v5, v1
	ds_write_b32 v2, v5
	v_cndmask_b32_e64 v1, v1, v5, s[0:1]
	v_add_u32_e32 v2, s20, v2
	s_andn2_b64 exec, exec, s[18:19]
	s_cbranch_execnz .LBB31_2
; %bb.3:
	s_or_b64 exec, exec, s[18:19]
.LBB31_4:
	s_or_b64 exec, exec, s[2:3]
	v_mov_b32_dpp v2, v1 quad_perm:[1,0,3,2] row_mask:0xf bank_mask:0xf
	v_cmp_lt_f32_e64 s[0:1], v1, v2
	v_cndmask_b32_e64 v1, v1, v2, s[0:1]
	v_bfrev_b32_e32 v3, 0.5
	s_waitcnt lgkmcnt(0)
	v_mov_b32_dpp v2, v1 quad_perm:[2,3,0,1] row_mask:0xf bank_mask:0xf
	v_cmp_lt_f32_e64 s[0:1], v1, v2
	v_cndmask_b32_e64 v1, v1, v2, s[0:1]
	s_barrier
	s_nop 0
	v_mov_b32_dpp v2, v1 row_half_mirror row_mask:0xf bank_mask:0xf
	v_cmp_lt_f32_e64 s[0:1], v1, v2
	v_cndmask_b32_e64 v1, v1, v2, s[0:1]
	s_nop 1
	v_mov_b32_dpp v2, v1 row_mirror row_mask:0xf bank_mask:0xf
	v_cmp_lt_f32_e64 s[0:1], v1, v2
	v_cndmask_b32_e64 v1, v1, v2, s[0:1]
	s_nop 1
	v_mov_b32_dpp v2, v1 row_bcast:15 row_mask:0xf bank_mask:0xf
	v_cmp_lt_f32_e64 s[0:1], v1, v2
	v_cndmask_b32_e64 v1, v1, v2, s[0:1]
	s_nop 1
	v_mov_b32_dpp v2, v1 row_bcast:31 row_mask:0xf bank_mask:0xf
	v_cmp_lt_f32_e64 s[0:1], v1, v2
	v_cndmask_b32_e64 v2, v1, v2, s[0:1]
	v_mbcnt_lo_u32_b32 v1, -1, 0
	v_mbcnt_hi_u32_b32 v1, -1, v1
	v_lshl_or_b32 v1, v1, 2, v3
	ds_bpermute_b32 v3, v1, v2
	v_mov_b32_e32 v2, 0
	s_and_saveexec_b64 s[2:3], vcc
	s_cbranch_execz .LBB31_8
; %bb.5:
	s_load_dword s0, s[4:5], 0x4c
	v_lshl_add_u32 v4, v0, 2, 0
	s_mov_b64 s[16:17], 0
	v_mov_b32_e32 v2, 0
	s_mov_b32 s7, 0x3fb8aa3b
	s_waitcnt lgkmcnt(0)
	s_and_b32 s11, s0, 0xffff
	s_lshl_b32 s18, s11, 2
	s_mov_b32 s19, 0xc2ce8ed0
	s_mov_b32 s20, 0x42b17218
	v_mov_b32_e32 v5, 0x7f800000
	v_mov_b32_e32 v6, v0
.LBB31_6:                               ; =>This Inner Loop Header: Depth=1
	ds_read_b32 v7, v4
	v_add_u32_e32 v6, s11, v6
	s_waitcnt lgkmcnt(0)
	v_sub_f32_e32 v7, v7, v3
	v_mul_f32_e32 v8, 0x3fb8aa3b, v7
	v_fma_f32 v9, v7, s7, -v8
	v_rndne_f32_e32 v10, v8
	v_fmac_f32_e32 v9, 0x32a5705f, v7
	v_sub_f32_e32 v8, v8, v10
	v_add_f32_e32 v8, v8, v9
	v_cvt_i32_f32_e32 v10, v10
	v_exp_f32_e32 v8, v8
	v_cmp_ngt_f32_e64 s[0:1], s19, v7
	v_ldexp_f32 v8, v8, v10
	v_cndmask_b32_e64 v8, 0, v8, s[0:1]
	v_cmp_nlt_f32_e64 s[0:1], s20, v7
	v_cndmask_b32_e64 v7, v5, v8, s[0:1]
	v_cmp_le_i32_e64 s[0:1], s8, v6
	ds_write_b32 v4, v7
	v_add_f32_e32 v2, v2, v7
	s_or_b64 s[16:17], s[0:1], s[16:17]
	v_add_u32_e32 v4, s18, v4
	s_andn2_b64 exec, exec, s[16:17]
	s_cbranch_execnz .LBB31_6
; %bb.7:
	s_or_b64 exec, exec, s[16:17]
.LBB31_8:
	s_or_b64 exec, exec, s[2:3]
	s_waitcnt lgkmcnt(0)
	v_mov_b32_dpp v3, v2 quad_perm:[1,0,3,2] row_mask:0xf bank_mask:0xf
	v_add_f32_e32 v2, v2, v3
	s_barrier
	s_nop 0
	v_mov_b32_dpp v3, v2 quad_perm:[2,3,0,1] row_mask:0xf bank_mask:0xf
	v_add_f32_e32 v2, v2, v3
	s_nop 1
	v_mov_b32_dpp v3, v2 row_half_mirror row_mask:0xf bank_mask:0xf
	v_add_f32_e32 v2, v2, v3
	s_nop 1
	v_mov_b32_dpp v3, v2 row_mirror row_mask:0xf bank_mask:0xf
	v_add_f32_e32 v2, v2, v3
	s_nop 1
	v_mov_b32_dpp v3, v2 row_bcast:15 row_mask:0xf bank_mask:0xf
	v_add_f32_e32 v2, v2, v3
	s_nop 1
	v_mov_b32_dpp v3, v2 row_bcast:31 row_mask:0xf bank_mask:0xf
	v_add_f32_e32 v2, v2, v3
	ds_bpermute_b32 v1, v1, v2
	s_and_saveexec_b64 s[0:1], vcc
	s_cbranch_execz .LBB31_11
; %bb.9:
	s_load_dword s7, s[4:5], 0x4c
	v_lshl_add_u32 v2, v0, 2, 0
	s_mov_b64 s[2:3], 0
	v_mov_b32_e32 v3, v0
	s_waitcnt lgkmcnt(0)
	s_and_b32 s7, s7, 0xffff
	s_lshl_b32 s11, s7, 2
.LBB31_10:                              ; =>This Inner Loop Header: Depth=1
	ds_read_b32 v4, v2
	v_add_u32_e32 v3, s7, v3
	v_cmp_le_i32_e32 vcc, s8, v3
	s_or_b64 s[2:3], vcc, s[2:3]
	s_waitcnt lgkmcnt(0)
	v_div_scale_f32 v5, s[16:17], v1, v1, v4
	v_rcp_f32_e32 v6, v5
	v_div_scale_f32 v7, vcc, v4, v1, v4
	v_fma_f32 v8, -v5, v6, 1.0
	v_fmac_f32_e32 v6, v8, v6
	v_mul_f32_e32 v8, v7, v6
	v_fma_f32 v9, -v5, v8, v7
	v_fmac_f32_e32 v8, v9, v6
	v_fma_f32 v5, -v5, v8, v7
	v_div_fmas_f32 v5, v5, v6, v8
	v_div_fixup_f32 v4, v5, v1, v4
	ds_write_b32 v2, v4
	v_add_u32_e32 v2, s11, v2
	s_andn2_b64 exec, exec, s[2:3]
	s_cbranch_execnz .LBB31_10
.LBB31_11:
	s_or_b64 exec, exec, s[0:1]
	s_ashr_i32 s0, s8, 31
	s_lshr_b32 s0, s0, 30
	s_add_i32 s0, s8, s0
	s_ashr_i32 s7, s0, 2
	s_lshl_b32 s0, s8, 2
	s_add_i32 s20, s0, 0
	v_cmp_gt_u32_e32 vcc, 4, v0
	s_waitcnt lgkmcnt(0)
	s_barrier
	s_and_saveexec_b64 s[2:3], vcc
	s_cbranch_execz .LBB31_18
; %bb.12:
	s_load_dword s0, s[4:5], 0x4c
	v_mul_lo_u32 v1, v0, s7
	v_lshl_add_u32 v1, v1, 2, 0
	s_mov_b64 s[16:17], 0
	s_waitcnt lgkmcnt(0)
	s_and_b32 s11, s0, 0xffff
	s_cmp_gt_i32 s8, 3
	s_cselect_b64 s[0:1], -1, 0
	s_mul_i32 s8, s7, s11
	v_cndmask_b32_e64 v2, 0, 1, s[0:1]
	s_lshl_b32 s8, s8, 2
	v_cmp_ne_u32_e64 s[0:1], 1, v2
	v_mov_b32_e32 v2, v0
	s_branch .LBB31_14
.LBB31_13:                              ;   in Loop: Header=BB31_14 Depth=1
	v_lshl_add_u32 v4, v2, 2, s20
	v_add_u32_e32 v2, s11, v2
	v_cmp_lt_u32_e32 vcc, 3, v2
	s_or_b64 s[16:17], vcc, s[16:17]
	v_add_u32_e32 v1, s8, v1
	ds_write_b32 v4, v3
	s_andn2_b64 exec, exec, s[16:17]
	s_cbranch_execz .LBB31_18
.LBB31_14:                              ; =>This Loop Header: Depth=1
                                        ;     Child Loop BB31_16 Depth 2
	s_and_b64 vcc, exec, s[0:1]
	v_mov_b32_e32 v3, 0xff800000
	s_cbranch_vccnz .LBB31_13
; %bb.15:                               ;   in Loop: Header=BB31_14 Depth=1
	v_mul_lo_u32 v4, v2, s7
	v_add_u32_e32 v5, s7, v4
	s_mov_b64 s[18:19], 0
	v_mov_b32_e32 v3, 0xff800000
	v_mov_b32_e32 v6, v1
.LBB31_16:                              ;   Parent Loop BB31_14 Depth=1
                                        ; =>  This Inner Loop Header: Depth=2
	ds_read_b32 v7, v6
	v_add_u32_e32 v4, 1, v4
	v_cmp_ge_i32_e32 vcc, v4, v5
	s_or_b64 s[18:19], vcc, s[18:19]
	v_add_u32_e32 v6, 4, v6
	s_waitcnt lgkmcnt(0)
	v_cmp_gt_f32_e32 vcc, v7, v3
	v_cndmask_b32_e32 v3, v3, v7, vcc
	s_andn2_b64 exec, exec, s[18:19]
	s_cbranch_execnz .LBB31_16
; %bb.17:                               ;   in Loop: Header=BB31_14 Depth=1
	s_or_b64 exec, exec, s[18:19]
	s_branch .LBB31_13
.LBB31_18:
	s_or_b64 exec, exec, s[2:3]
	s_cmp_lt_i32 s10, 1
	s_waitcnt lgkmcnt(0)
	s_barrier
	s_cbranch_scc1 .LBB31_21
; %bb.19:
	v_mov_b32_e32 v1, s20
	s_mov_b32 s0, 0xff800000
	v_mov_b32_e32 v2, 0xff800000
.LBB31_20:                              ; =>This Inner Loop Header: Depth=1
	ds_read2_b32 v[4:5], v1 offset1:1
	ds_read2_b32 v[6:7], v1 offset0:2 offset1:3
	s_waitcnt lgkmcnt(1)
	v_cmp_nlg_f32_e32 vcc, s0, v4
	v_cndmask_b32_e64 v3, 0, 1, vcc
	v_cmp_lg_f32_e32 vcc, s0, v4
	v_cndmask_b32_e32 v4, v2, v4, vcc
	v_readfirstlane_b32 s1, v3
	v_cmp_gt_f32_e32 vcc, v5, v4
	s_lshl_b32 s1, s1, 2
	v_cndmask_b32_e32 v3, v4, v5, vcc
	s_and_b64 s[2:3], vcc, exec
	s_waitcnt lgkmcnt(0)
	v_cmp_gt_f32_e32 vcc, v6, v3
	v_cndmask_b32_e32 v3, v3, v6, vcc
	s_cselect_b32 s1, 1, s1
	s_and_b64 s[2:3], vcc, exec
	v_cmp_ngt_f32_e32 vcc, v7, v3
	s_cselect_b32 s1, 2, s1
	s_and_b64 s[2:3], vcc, exec
	s_cselect_b32 s1, s1, 3
	s_lshl_b32 s1, s1, 2
	s_add_i32 s1, s20, s1
	s_add_i32 s10, s10, -1
	v_mov_b32_e32 v3, s1
	s_cmp_lg_u32 s10, 0
	ds_write_b32 v3, v2
	s_cbranch_scc1 .LBB31_20
.LBB31_21:
	v_cmp_gt_i32_e32 vcc, s7, v0
	v_lshlrev_b32_e32 v1, 2, v0
	v_lshl_add_u32 v6, v0, 4, 0
	s_and_saveexec_b64 s[2:3], vcc
	s_cbranch_execz .LBB31_26
; %bb.22:
	s_abs_i32 s8, s7
	v_cvt_f32_u32_e32 v2, s8
	s_load_dword s0, s[4:5], 0x4c
	s_sub_i32 s1, 0, s8
	s_ashr_i32 s18, s7, 31
	v_rcp_iflag_f32_e32 v2, v2
	v_lshlrev_b32_e32 v7, 2, v0
	s_waitcnt lgkmcnt(0)
	s_and_b32 s19, s0, 0xffff
	v_lshl_add_u32 v8, v0, 4, 0
	v_mul_f32_e32 v2, 0x4f7ffffe, v2
	v_cvt_u32_f32_e32 v2, v2
	s_mov_b64 s[10:11], 0
	s_lshl_b32 s21, s19, 2
	s_lshl_b32 s22, s19, 4
	v_mul_lo_u32 v3, s1, v2
	v_mul_hi_u32 v3, v2, v3
	v_add_u32_e32 v9, v2, v3
	s_mov_b32 s23, 0xff800000
	v_mov_b32_e32 v2, 0xff800000
	v_mov_b32_e32 v10, v0
	s_branch .LBB31_24
.LBB31_23:                              ;   in Loop: Header=BB31_24 Depth=1
	s_or_b64 exec, exec, s[16:17]
	v_add_u32_e32 v10, s19, v10
	v_cmp_le_i32_e64 s[0:1], s7, v10
	v_add_u32_e32 v7, s21, v7
	s_or_b64 s[10:11], s[0:1], s[10:11]
	v_add_u32_e32 v8, s22, v8
	s_andn2_b64 exec, exec, s[10:11]
	s_cbranch_execz .LBB31_26
.LBB31_24:                              ; =>This Inner Loop Header: Depth=1
	v_mul_hi_u32 v3, v7, v9
	v_mul_lo_u32 v4, v3, s8
	v_sub_u32_e32 v4, v7, v4
	v_add_u32_e32 v5, 1, v3
	v_cmp_le_u32_e64 s[0:1], s8, v4
	v_cndmask_b32_e64 v3, v3, v5, s[0:1]
	v_subrev_u32_e32 v5, s8, v4
	v_cndmask_b32_e64 v4, v4, v5, s[0:1]
	v_add_u32_e32 v5, 1, v3
	v_cmp_le_u32_e64 s[0:1], s8, v4
	v_cndmask_b32_e64 v3, v3, v5, s[0:1]
	v_xor_b32_e32 v3, s18, v3
	v_subrev_u32_e32 v3, s18, v3
	v_lshl_add_u32 v3, v3, 2, s20
	ds_read_b32 v3, v3
	s_waitcnt lgkmcnt(0)
	v_cmp_neq_f32_e64 s[0:1], s23, v3
	s_and_saveexec_b64 s[16:17], s[0:1]
	s_cbranch_execz .LBB31_23
; %bb.25:                               ;   in Loop: Header=BB31_24 Depth=1
	v_mov_b32_e32 v3, v2
	v_mov_b32_e32 v4, v2
	;; [unrolled: 1-line block ×3, first 2 shown]
	ds_write_b128 v8, v[2:5]
	s_branch .LBB31_23
.LBB31_26:
	s_or_b64 exec, exec, s[2:3]
	s_cmp_lt_i32 s9, 1
	s_waitcnt lgkmcnt(0)
	s_barrier
	s_cbranch_scc1 .LBB31_33
; %bb.27:
	s_add_u32 s2, s4, 64
	s_addc_u32 s3, s5, 0
	s_mov_b32 s8, 0
	v_mov_b32_e32 v3, 0
	v_mov_b32_e32 v5, 0xff800000
                                        ; implicit-def: $vgpr4
                                        ; implicit-def: $vgpr2
	s_branch .LBB31_29
.LBB31_28:                              ;   in Loop: Header=BB31_29 Depth=1
	s_or_b64 exec, exec, s[10:11]
	v_mov_b32_dpp v10, v8 quad_perm:[1,0,3,2] row_mask:0xf bank_mask:0xf
	v_cmp_lt_f32_e64 s[0:1], v8, v10
	v_cndmask_b32_e64 v8, v8, v10, s[0:1]
	v_mov_b32_dpp v9, v7 quad_perm:[1,0,3,2] row_mask:0xf bank_mask:0xf
	v_cndmask_b32_e64 v7, v7, v9, s[0:1]
	v_mov_b32_dpp v10, v8 quad_perm:[2,3,0,1] row_mask:0xf bank_mask:0xf
	v_cmp_gt_f32_e64 s[0:1], v10, v8
	v_cndmask_b32_e64 v8, v8, v10, s[0:1]
	v_mov_b32_dpp v9, v7 quad_perm:[2,3,0,1] row_mask:0xf bank_mask:0xf
	v_cndmask_b32_e64 v7, v7, v9, s[0:1]
	v_mov_b32_dpp v10, v8 row_half_mirror row_mask:0xf bank_mask:0xf
	v_cmp_gt_f32_e64 s[0:1], v10, v8
	v_cndmask_b32_e64 v8, v8, v10, s[0:1]
	v_mov_b32_dpp v9, v7 row_half_mirror row_mask:0xf bank_mask:0xf
	v_cndmask_b32_e64 v7, v7, v9, s[0:1]
	v_mov_b32_dpp v10, v8 row_mirror row_mask:0xf bank_mask:0xf
	v_cmp_gt_f32_e64 s[0:1], v10, v8
	v_cndmask_b32_e64 v8, v8, v10, s[0:1]
	v_mov_b32_dpp v9, v7 row_mirror row_mask:0xf bank_mask:0xf
	v_cndmask_b32_e64 v7, v7, v9, s[0:1]
	v_mov_b32_dpp v10, v8 row_bcast:15 row_mask:0xf bank_mask:0xf
	v_cmp_gt_f32_e64 s[0:1], v10, v8
	v_mov_b32_dpp v9, v7 row_bcast:15 row_mask:0xf bank_mask:0xf
	v_cndmask_b32_e64 v8, v8, v10, s[0:1]
	v_cndmask_b32_e64 v7, v7, v9, s[0:1]
	s_nop 0
	v_mov_b32_dpp v10, v8 row_bcast:31 row_mask:0xf bank_mask:0xf
	v_mov_b32_dpp v9, v7 row_bcast:31 row_mask:0xf bank_mask:0xf
	v_cmp_gt_f32_e64 s[0:1], v10, v8
	v_cndmask_b32_e64 v7, v7, v9, s[0:1]
	v_cndmask_b32_e64 v8, v8, v10, s[0:1]
	v_readlane_b32 s0, v7, 63
	s_lshl_b32 s1, s0, 2
	s_add_i32 s1, s1, 0
	v_mov_b32_e32 v7, s1
	v_readlane_b32 s10, v8, 63
	ds_write_b32 v7, v5
	v_mov_b32_e32 v7, s0
	v_cmp_eq_u32_e64 s[0:1], s8, v0
	v_cndmask_b32_e64 v2, v2, v7, s[0:1]
	v_mov_b32_e32 v7, s10
	s_add_i32 s8, s8, 1
	v_cndmask_b32_e64 v4, v4, v7, s[0:1]
	s_cmp_eq_u32 s8, s9
	v_add_f32_e32 v3, s10, v3
	s_cbranch_scc1 .LBB31_34
.LBB31_29:                              ; =>This Loop Header: Depth=1
                                        ;     Child Loop BB31_31 Depth 2
	v_mov_b32_e32 v7, s8
	v_mov_b32_e32 v8, 0xff800000
	s_and_saveexec_b64 s[10:11], vcc
	s_cbranch_execz .LBB31_28
; %bb.30:                               ;   in Loop: Header=BB31_29 Depth=1
	s_load_dword s0, s[2:3], 0xc
	s_mov_b64 s[16:17], 0
	v_mov_b32_e32 v7, s8
	v_mov_b32_e32 v8, 0xff800000
	;; [unrolled: 1-line block ×3, first 2 shown]
	s_waitcnt lgkmcnt(0)
	s_and_b32 s18, s0, 0xffff
	s_lshl_b32 s19, s18, 2
	s_lshl_b32 s20, s18, 4
	v_mov_b32_e32 v10, v1
	v_mov_b32_e32 v11, v0
.LBB31_31:                              ;   Parent Loop BB31_29 Depth=1
                                        ; =>  This Inner Loop Header: Depth=2
	ds_read_b128 v[12:15], v9
	v_add_u32_e32 v11, s18, v11
	v_cmp_le_i32_e64 s[0:1], s7, v11
	s_or_b64 s[16:17], s[0:1], s[16:17]
	v_add_u32_e32 v16, 1, v10
	s_waitcnt lgkmcnt(0)
	v_cmp_gt_f32_e64 s[0:1], v12, v8
	v_cndmask_b32_e64 v8, v8, v12, s[0:1]
	v_cndmask_b32_e64 v7, v7, v10, s[0:1]
	v_cmp_gt_f32_e64 s[0:1], v13, v8
	v_cndmask_b32_e64 v8, v8, v13, s[0:1]
	v_cndmask_b32_e64 v7, v7, v16, s[0:1]
	v_cmp_gt_f32_e64 s[0:1], v14, v8
	v_add_u32_e32 v17, 2, v10
	v_cndmask_b32_e64 v8, v8, v14, s[0:1]
	v_add_u32_e32 v18, 3, v10
	v_cndmask_b32_e64 v7, v7, v17, s[0:1]
	v_cmp_gt_f32_e64 s[0:1], v15, v8
	v_add_u32_e32 v9, s20, v9
	v_add_u32_e32 v10, s19, v10
	v_cndmask_b32_e64 v8, v8, v15, s[0:1]
	v_cndmask_b32_e64 v7, v7, v18, s[0:1]
	s_andn2_b64 exec, exec, s[16:17]
	s_cbranch_execnz .LBB31_31
; %bb.32:                               ;   in Loop: Header=BB31_29 Depth=1
	s_or_b64 exec, exec, s[16:17]
	s_branch .LBB31_28
.LBB31_33:
	v_mov_b32_e32 v3, 0
                                        ; implicit-def: $vgpr4
                                        ; implicit-def: $vgpr2
.LBB31_34:
	v_cmp_gt_i32_e32 vcc, s9, v0
	s_and_saveexec_b64 s[0:1], vcc
	s_cbranch_execz .LBB31_37
; %bb.35:
	s_load_dword s7, s[4:5], 0x38
	s_load_dwordx2 s[0:1], s[4:5], 0x20
	s_load_dword s8, s[4:5], 0x4c
	s_waitcnt lgkmcnt(0)
	v_div_scale_f32 v1, s[2:3], v3, v3, s7
	v_rcp_f32_e32 v5, v1
	v_div_scale_f32 v6, vcc, s7, v3, s7
	s_ashr_i32 s2, s6, 31
	v_fma_f32 v7, -v1, v5, 1.0
	v_fmac_f32_e32 v5, v7, v5
	v_mul_f32_e32 v7, v6, v5
	v_fma_f32 v8, -v1, v7, v6
	v_fmac_f32_e32 v7, v8, v5
	v_fma_f32 v1, -v1, v7, v6
	s_mul_i32 s1, s6, s1
	s_mul_hi_u32 s3, s6, s0
	v_div_fmas_f32 v1, v1, v5, v7
	s_add_i32 s1, s3, s1
	s_mul_i32 s2, s2, s0
	v_div_fixup_f32 v1, v1, v3, s7
	s_add_i32 s4, s1, s2
	v_mul_f32_e32 v1, v1, v4
	s_mul_i32 s2, s6, s0
	s_and_b32 s3, s8, 0xffff
	s_mov_b64 s[0:1], 0
	v_mov_b32_e32 v3, s4
	v_mov_b32_e32 v4, s13
	;; [unrolled: 1-line block ×3, first 2 shown]
.LBB31_36:                              ; =>This Inner Loop Header: Depth=1
	v_ashrrev_i32_e32 v7, 31, v0
	v_add_co_u32_e32 v6, vcc, s2, v0
	v_addc_co_u32_e32 v7, vcc, v3, v7, vcc
	v_add_u32_e32 v0, s3, v0
	v_cmp_le_i32_e32 vcc, s9, v0
	v_lshlrev_b64 v[6:7], 2, v[6:7]
	s_or_b64 s[0:1], vcc, s[0:1]
	v_add_co_u32_e32 v8, vcc, s12, v6
	v_addc_co_u32_e32 v9, vcc, v4, v7, vcc
	v_add_co_u32_e32 v6, vcc, s14, v6
	v_addc_co_u32_e32 v7, vcc, v5, v7, vcc
	global_store_dword v[8:9], v1, off
	global_store_dword v[6:7], v2, off
	s_andn2_b64 exec, exec, s[0:1]
	s_cbranch_execnz .LBB31_36
.LBB31_37:
	s_endpgm
	.section	.rodata,"a",@progbits
	.p2align	6, 0x0
	.amdhsa_kernel _ZN5aiter19grouped_topk_kernelIfDv4_fLi4ELb1ELb0ELb1EEEvPT_PKS2_PfPimiiiif
		.amdhsa_group_segment_fixed_size 0
		.amdhsa_private_segment_fixed_size 0
		.amdhsa_kernarg_size 320
		.amdhsa_user_sgpr_count 6
		.amdhsa_user_sgpr_private_segment_buffer 1
		.amdhsa_user_sgpr_dispatch_ptr 0
		.amdhsa_user_sgpr_queue_ptr 0
		.amdhsa_user_sgpr_kernarg_segment_ptr 1
		.amdhsa_user_sgpr_dispatch_id 0
		.amdhsa_user_sgpr_flat_scratch_init 0
		.amdhsa_user_sgpr_kernarg_preload_length 0
		.amdhsa_user_sgpr_kernarg_preload_offset 0
		.amdhsa_user_sgpr_private_segment_size 0
		.amdhsa_uses_dynamic_stack 0
		.amdhsa_system_sgpr_private_segment_wavefront_offset 0
		.amdhsa_system_sgpr_workgroup_id_x 1
		.amdhsa_system_sgpr_workgroup_id_y 0
		.amdhsa_system_sgpr_workgroup_id_z 0
		.amdhsa_system_sgpr_workgroup_info 0
		.amdhsa_system_vgpr_workitem_id 0
		.amdhsa_next_free_vgpr 19
		.amdhsa_next_free_sgpr 24
		.amdhsa_accum_offset 20
		.amdhsa_reserve_vcc 1
		.amdhsa_reserve_flat_scratch 0
		.amdhsa_float_round_mode_32 0
		.amdhsa_float_round_mode_16_64 0
		.amdhsa_float_denorm_mode_32 3
		.amdhsa_float_denorm_mode_16_64 3
		.amdhsa_dx10_clamp 1
		.amdhsa_ieee_mode 1
		.amdhsa_fp16_overflow 0
		.amdhsa_tg_split 0
		.amdhsa_exception_fp_ieee_invalid_op 0
		.amdhsa_exception_fp_denorm_src 0
		.amdhsa_exception_fp_ieee_div_zero 0
		.amdhsa_exception_fp_ieee_overflow 0
		.amdhsa_exception_fp_ieee_underflow 0
		.amdhsa_exception_fp_ieee_inexact 0
		.amdhsa_exception_int_div_zero 0
	.end_amdhsa_kernel
	.section	.text._ZN5aiter19grouped_topk_kernelIfDv4_fLi4ELb1ELb0ELb1EEEvPT_PKS2_PfPimiiiif,"axG",@progbits,_ZN5aiter19grouped_topk_kernelIfDv4_fLi4ELb1ELb0ELb1EEEvPT_PKS2_PfPimiiiif,comdat
.Lfunc_end31:
	.size	_ZN5aiter19grouped_topk_kernelIfDv4_fLi4ELb1ELb0ELb1EEEvPT_PKS2_PfPimiiiif, .Lfunc_end31-_ZN5aiter19grouped_topk_kernelIfDv4_fLi4ELb1ELb0ELb1EEEvPT_PKS2_PfPimiiiif
                                        ; -- End function
	.section	.AMDGPU.csdata,"",@progbits
; Kernel info:
; codeLenInByte = 2536
; NumSgprs: 28
; NumVgprs: 19
; NumAgprs: 0
; TotalNumVgprs: 19
; ScratchSize: 0
; MemoryBound: 0
; FloatMode: 240
; IeeeMode: 1
; LDSByteSize: 0 bytes/workgroup (compile time only)
; SGPRBlocks: 3
; VGPRBlocks: 2
; NumSGPRsForWavesPerEU: 28
; NumVGPRsForWavesPerEU: 19
; AccumOffset: 20
; Occupancy: 8
; WaveLimiterHint : 0
; COMPUTE_PGM_RSRC2:SCRATCH_EN: 0
; COMPUTE_PGM_RSRC2:USER_SGPR: 6
; COMPUTE_PGM_RSRC2:TRAP_HANDLER: 0
; COMPUTE_PGM_RSRC2:TGID_X_EN: 1
; COMPUTE_PGM_RSRC2:TGID_Y_EN: 0
; COMPUTE_PGM_RSRC2:TGID_Z_EN: 0
; COMPUTE_PGM_RSRC2:TIDIG_COMP_CNT: 0
; COMPUTE_PGM_RSRC3_GFX90A:ACCUM_OFFSET: 4
; COMPUTE_PGM_RSRC3_GFX90A:TG_SPLIT: 0
	.section	.text._ZN5aiter19grouped_topk_kernelIN3c104HalfEDv4_fLi4ELb1ELb0ELb1EEEvPT_PKS4_PfPimiiiif,"axG",@progbits,_ZN5aiter19grouped_topk_kernelIN3c104HalfEDv4_fLi4ELb1ELb0ELb1EEEvPT_PKS4_PfPimiiiif,comdat
	.protected	_ZN5aiter19grouped_topk_kernelIN3c104HalfEDv4_fLi4ELb1ELb0ELb1EEEvPT_PKS4_PfPimiiiif ; -- Begin function _ZN5aiter19grouped_topk_kernelIN3c104HalfEDv4_fLi4ELb1ELb0ELb1EEEvPT_PKS4_PfPimiiiif
	.globl	_ZN5aiter19grouped_topk_kernelIN3c104HalfEDv4_fLi4ELb1ELb0ELb1EEEvPT_PKS4_PfPimiiiif
	.p2align	8
	.type	_ZN5aiter19grouped_topk_kernelIN3c104HalfEDv4_fLi4ELb1ELb0ELb1EEEvPT_PKS4_PfPimiiiif,@function
_ZN5aiter19grouped_topk_kernelIN3c104HalfEDv4_fLi4ELb1ELb0ELb1EEEvPT_PKS4_PfPimiiiif: ; @_ZN5aiter19grouped_topk_kernelIN3c104HalfEDv4_fLi4ELb1ELb0ELb1EEEvPT_PKS4_PfPimiiiif
; %bb.0:
	s_load_dwordx4 s[8:11], s[4:5], 0x28
	s_load_dwordx4 s[12:15], s[4:5], 0x10
	v_mov_b32_e32 v1, 0xff800000
	s_waitcnt lgkmcnt(0)
	v_cmp_gt_i32_e32 vcc, s8, v0
	s_and_saveexec_b64 s[2:3], vcc
	s_cbranch_execz .LBB32_4
; %bb.1:
	s_load_dword s0, s[4:5], 0x4c
	s_load_dwordx2 s[16:17], s[4:5], 0x0
	s_mul_i32 s7, s6, s8
	v_lshl_add_u32 v2, v0, 2, 0
	s_mov_b64 s[18:19], 0
	s_waitcnt lgkmcnt(0)
	s_and_b32 s11, s0, 0xffff
	s_lshl_b32 s20, s11, 2
	v_mov_b32_e32 v1, 0xff800000
	v_mov_b32_e32 v3, s17
	;; [unrolled: 1-line block ×3, first 2 shown]
.LBB32_2:                               ; =>This Inner Loop Header: Depth=1
	v_add_u32_e32 v6, s7, v4
	v_ashrrev_i32_e32 v7, 31, v6
	v_lshlrev_b64 v[6:7], 1, v[6:7]
	v_add_co_u32_e64 v6, s[0:1], s16, v6
	v_addc_co_u32_e64 v7, s[0:1], v3, v7, s[0:1]
	global_load_ushort v5, v[6:7], off
	v_add_u32_e32 v4, s11, v4
	v_cmp_le_i32_e64 s[0:1], s8, v4
	s_or_b64 s[18:19], s[0:1], s[18:19]
	s_waitcnt vmcnt(0)
	v_cvt_f32_f16_e32 v5, v5
	v_cmp_lt_f32_e64 s[0:1], v1, v5
	ds_write_b32 v2, v5
	v_cndmask_b32_e64 v1, v1, v5, s[0:1]
	v_add_u32_e32 v2, s20, v2
	s_andn2_b64 exec, exec, s[18:19]
	s_cbranch_execnz .LBB32_2
; %bb.3:
	s_or_b64 exec, exec, s[18:19]
.LBB32_4:
	s_or_b64 exec, exec, s[2:3]
	v_mov_b32_dpp v2, v1 quad_perm:[1,0,3,2] row_mask:0xf bank_mask:0xf
	v_cmp_lt_f32_e64 s[0:1], v1, v2
	v_cndmask_b32_e64 v1, v1, v2, s[0:1]
	v_bfrev_b32_e32 v3, 0.5
	s_waitcnt lgkmcnt(0)
	v_mov_b32_dpp v2, v1 quad_perm:[2,3,0,1] row_mask:0xf bank_mask:0xf
	v_cmp_lt_f32_e64 s[0:1], v1, v2
	v_cndmask_b32_e64 v1, v1, v2, s[0:1]
	s_barrier
	s_nop 0
	v_mov_b32_dpp v2, v1 row_half_mirror row_mask:0xf bank_mask:0xf
	v_cmp_lt_f32_e64 s[0:1], v1, v2
	v_cndmask_b32_e64 v1, v1, v2, s[0:1]
	s_nop 1
	v_mov_b32_dpp v2, v1 row_mirror row_mask:0xf bank_mask:0xf
	v_cmp_lt_f32_e64 s[0:1], v1, v2
	v_cndmask_b32_e64 v1, v1, v2, s[0:1]
	s_nop 1
	v_mov_b32_dpp v2, v1 row_bcast:15 row_mask:0xf bank_mask:0xf
	v_cmp_lt_f32_e64 s[0:1], v1, v2
	v_cndmask_b32_e64 v1, v1, v2, s[0:1]
	s_nop 1
	v_mov_b32_dpp v2, v1 row_bcast:31 row_mask:0xf bank_mask:0xf
	v_cmp_lt_f32_e64 s[0:1], v1, v2
	v_cndmask_b32_e64 v2, v1, v2, s[0:1]
	v_mbcnt_lo_u32_b32 v1, -1, 0
	v_mbcnt_hi_u32_b32 v1, -1, v1
	v_lshl_or_b32 v1, v1, 2, v3
	ds_bpermute_b32 v3, v1, v2
	v_mov_b32_e32 v2, 0
	s_and_saveexec_b64 s[2:3], vcc
	s_cbranch_execz .LBB32_8
; %bb.5:
	s_load_dword s0, s[4:5], 0x4c
	v_lshl_add_u32 v4, v0, 2, 0
	s_mov_b64 s[16:17], 0
	v_mov_b32_e32 v2, 0
	s_mov_b32 s7, 0x3fb8aa3b
	s_waitcnt lgkmcnt(0)
	s_and_b32 s11, s0, 0xffff
	s_lshl_b32 s18, s11, 2
	s_mov_b32 s19, 0xc2ce8ed0
	s_mov_b32 s20, 0x42b17218
	v_mov_b32_e32 v5, 0x7f800000
	v_mov_b32_e32 v6, v0
.LBB32_6:                               ; =>This Inner Loop Header: Depth=1
	ds_read_b32 v7, v4
	v_add_u32_e32 v6, s11, v6
	s_waitcnt lgkmcnt(0)
	v_sub_f32_e32 v7, v7, v3
	v_mul_f32_e32 v8, 0x3fb8aa3b, v7
	v_fma_f32 v9, v7, s7, -v8
	v_rndne_f32_e32 v10, v8
	v_fmac_f32_e32 v9, 0x32a5705f, v7
	v_sub_f32_e32 v8, v8, v10
	v_add_f32_e32 v8, v8, v9
	v_cvt_i32_f32_e32 v10, v10
	v_exp_f32_e32 v8, v8
	v_cmp_ngt_f32_e64 s[0:1], s19, v7
	v_ldexp_f32 v8, v8, v10
	v_cndmask_b32_e64 v8, 0, v8, s[0:1]
	v_cmp_nlt_f32_e64 s[0:1], s20, v7
	v_cndmask_b32_e64 v7, v5, v8, s[0:1]
	v_cmp_le_i32_e64 s[0:1], s8, v6
	ds_write_b32 v4, v7
	v_add_f32_e32 v2, v2, v7
	s_or_b64 s[16:17], s[0:1], s[16:17]
	v_add_u32_e32 v4, s18, v4
	s_andn2_b64 exec, exec, s[16:17]
	s_cbranch_execnz .LBB32_6
; %bb.7:
	s_or_b64 exec, exec, s[16:17]
.LBB32_8:
	s_or_b64 exec, exec, s[2:3]
	s_waitcnt lgkmcnt(0)
	v_mov_b32_dpp v3, v2 quad_perm:[1,0,3,2] row_mask:0xf bank_mask:0xf
	v_add_f32_e32 v2, v2, v3
	s_barrier
	s_nop 0
	v_mov_b32_dpp v3, v2 quad_perm:[2,3,0,1] row_mask:0xf bank_mask:0xf
	v_add_f32_e32 v2, v2, v3
	s_nop 1
	v_mov_b32_dpp v3, v2 row_half_mirror row_mask:0xf bank_mask:0xf
	v_add_f32_e32 v2, v2, v3
	s_nop 1
	v_mov_b32_dpp v3, v2 row_mirror row_mask:0xf bank_mask:0xf
	v_add_f32_e32 v2, v2, v3
	s_nop 1
	v_mov_b32_dpp v3, v2 row_bcast:15 row_mask:0xf bank_mask:0xf
	v_add_f32_e32 v2, v2, v3
	s_nop 1
	v_mov_b32_dpp v3, v2 row_bcast:31 row_mask:0xf bank_mask:0xf
	v_add_f32_e32 v2, v2, v3
	ds_bpermute_b32 v1, v1, v2
	s_and_saveexec_b64 s[0:1], vcc
	s_cbranch_execz .LBB32_11
; %bb.9:
	s_load_dword s7, s[4:5], 0x4c
	v_lshl_add_u32 v2, v0, 2, 0
	s_mov_b64 s[2:3], 0
	v_mov_b32_e32 v3, v0
	s_waitcnt lgkmcnt(0)
	s_and_b32 s7, s7, 0xffff
	s_lshl_b32 s11, s7, 2
.LBB32_10:                              ; =>This Inner Loop Header: Depth=1
	ds_read_b32 v4, v2
	v_add_u32_e32 v3, s7, v3
	v_cmp_le_i32_e32 vcc, s8, v3
	s_or_b64 s[2:3], vcc, s[2:3]
	s_waitcnt lgkmcnt(0)
	v_div_scale_f32 v5, s[16:17], v1, v1, v4
	v_rcp_f32_e32 v6, v5
	v_div_scale_f32 v7, vcc, v4, v1, v4
	v_fma_f32 v8, -v5, v6, 1.0
	v_fmac_f32_e32 v6, v8, v6
	v_mul_f32_e32 v8, v7, v6
	v_fma_f32 v9, -v5, v8, v7
	v_fmac_f32_e32 v8, v9, v6
	v_fma_f32 v5, -v5, v8, v7
	v_div_fmas_f32 v5, v5, v6, v8
	v_div_fixup_f32 v4, v5, v1, v4
	ds_write_b32 v2, v4
	v_add_u32_e32 v2, s11, v2
	s_andn2_b64 exec, exec, s[2:3]
	s_cbranch_execnz .LBB32_10
.LBB32_11:
	s_or_b64 exec, exec, s[0:1]
	s_ashr_i32 s0, s8, 31
	s_lshr_b32 s0, s0, 30
	s_add_i32 s0, s8, s0
	s_ashr_i32 s7, s0, 2
	s_lshl_b32 s0, s8, 2
	s_add_i32 s20, s0, 0
	v_cmp_gt_u32_e32 vcc, 4, v0
	s_waitcnt lgkmcnt(0)
	s_barrier
	s_and_saveexec_b64 s[2:3], vcc
	s_cbranch_execz .LBB32_18
; %bb.12:
	s_load_dword s0, s[4:5], 0x4c
	v_mul_lo_u32 v1, v0, s7
	v_lshl_add_u32 v1, v1, 2, 0
	s_mov_b64 s[16:17], 0
	s_waitcnt lgkmcnt(0)
	s_and_b32 s11, s0, 0xffff
	s_cmp_gt_i32 s8, 3
	s_cselect_b64 s[0:1], -1, 0
	s_mul_i32 s8, s7, s11
	v_cndmask_b32_e64 v2, 0, 1, s[0:1]
	s_lshl_b32 s8, s8, 2
	v_cmp_ne_u32_e64 s[0:1], 1, v2
	v_mov_b32_e32 v2, v0
	s_branch .LBB32_14
.LBB32_13:                              ;   in Loop: Header=BB32_14 Depth=1
	v_lshl_add_u32 v4, v2, 2, s20
	v_add_u32_e32 v2, s11, v2
	v_cmp_lt_u32_e32 vcc, 3, v2
	s_or_b64 s[16:17], vcc, s[16:17]
	v_add_u32_e32 v1, s8, v1
	ds_write_b32 v4, v3
	s_andn2_b64 exec, exec, s[16:17]
	s_cbranch_execz .LBB32_18
.LBB32_14:                              ; =>This Loop Header: Depth=1
                                        ;     Child Loop BB32_16 Depth 2
	s_and_b64 vcc, exec, s[0:1]
	v_mov_b32_e32 v3, 0xff800000
	s_cbranch_vccnz .LBB32_13
; %bb.15:                               ;   in Loop: Header=BB32_14 Depth=1
	v_mul_lo_u32 v4, v2, s7
	v_add_u32_e32 v5, s7, v4
	s_mov_b64 s[18:19], 0
	v_mov_b32_e32 v3, 0xff800000
	v_mov_b32_e32 v6, v1
.LBB32_16:                              ;   Parent Loop BB32_14 Depth=1
                                        ; =>  This Inner Loop Header: Depth=2
	ds_read_b32 v7, v6
	v_add_u32_e32 v4, 1, v4
	v_cmp_ge_i32_e32 vcc, v4, v5
	s_or_b64 s[18:19], vcc, s[18:19]
	v_add_u32_e32 v6, 4, v6
	s_waitcnt lgkmcnt(0)
	v_cmp_gt_f32_e32 vcc, v7, v3
	v_cndmask_b32_e32 v3, v3, v7, vcc
	s_andn2_b64 exec, exec, s[18:19]
	s_cbranch_execnz .LBB32_16
; %bb.17:                               ;   in Loop: Header=BB32_14 Depth=1
	s_or_b64 exec, exec, s[18:19]
	s_branch .LBB32_13
.LBB32_18:
	s_or_b64 exec, exec, s[2:3]
	s_cmp_lt_i32 s10, 1
	s_waitcnt lgkmcnt(0)
	s_barrier
	s_cbranch_scc1 .LBB32_21
; %bb.19:
	v_mov_b32_e32 v1, s20
	s_mov_b32 s0, 0xff800000
	v_mov_b32_e32 v2, 0xff800000
.LBB32_20:                              ; =>This Inner Loop Header: Depth=1
	ds_read2_b32 v[4:5], v1 offset1:1
	ds_read2_b32 v[6:7], v1 offset0:2 offset1:3
	s_waitcnt lgkmcnt(1)
	v_cmp_nlg_f32_e32 vcc, s0, v4
	v_cndmask_b32_e64 v3, 0, 1, vcc
	v_cmp_lg_f32_e32 vcc, s0, v4
	v_cndmask_b32_e32 v4, v2, v4, vcc
	v_readfirstlane_b32 s1, v3
	v_cmp_gt_f32_e32 vcc, v5, v4
	s_lshl_b32 s1, s1, 2
	v_cndmask_b32_e32 v3, v4, v5, vcc
	s_and_b64 s[2:3], vcc, exec
	s_waitcnt lgkmcnt(0)
	v_cmp_gt_f32_e32 vcc, v6, v3
	v_cndmask_b32_e32 v3, v3, v6, vcc
	s_cselect_b32 s1, 1, s1
	s_and_b64 s[2:3], vcc, exec
	v_cmp_ngt_f32_e32 vcc, v7, v3
	s_cselect_b32 s1, 2, s1
	s_and_b64 s[2:3], vcc, exec
	s_cselect_b32 s1, s1, 3
	s_lshl_b32 s1, s1, 2
	s_add_i32 s1, s20, s1
	s_add_i32 s10, s10, -1
	v_mov_b32_e32 v3, s1
	s_cmp_lg_u32 s10, 0
	ds_write_b32 v3, v2
	s_cbranch_scc1 .LBB32_20
.LBB32_21:
	v_cmp_gt_i32_e32 vcc, s7, v0
	v_lshlrev_b32_e32 v1, 2, v0
	v_lshl_add_u32 v6, v0, 4, 0
	s_and_saveexec_b64 s[2:3], vcc
	s_cbranch_execz .LBB32_26
; %bb.22:
	s_abs_i32 s8, s7
	v_cvt_f32_u32_e32 v2, s8
	s_load_dword s0, s[4:5], 0x4c
	s_sub_i32 s1, 0, s8
	s_ashr_i32 s18, s7, 31
	v_rcp_iflag_f32_e32 v2, v2
	v_lshlrev_b32_e32 v7, 2, v0
	s_waitcnt lgkmcnt(0)
	s_and_b32 s19, s0, 0xffff
	v_lshl_add_u32 v8, v0, 4, 0
	v_mul_f32_e32 v2, 0x4f7ffffe, v2
	v_cvt_u32_f32_e32 v2, v2
	s_mov_b64 s[10:11], 0
	s_lshl_b32 s21, s19, 2
	s_lshl_b32 s22, s19, 4
	v_mul_lo_u32 v3, s1, v2
	v_mul_hi_u32 v3, v2, v3
	v_add_u32_e32 v9, v2, v3
	s_mov_b32 s23, 0xff800000
	v_mov_b32_e32 v2, 0xff800000
	v_mov_b32_e32 v10, v0
	s_branch .LBB32_24
.LBB32_23:                              ;   in Loop: Header=BB32_24 Depth=1
	s_or_b64 exec, exec, s[16:17]
	v_add_u32_e32 v10, s19, v10
	v_cmp_le_i32_e64 s[0:1], s7, v10
	v_add_u32_e32 v7, s21, v7
	s_or_b64 s[10:11], s[0:1], s[10:11]
	v_add_u32_e32 v8, s22, v8
	s_andn2_b64 exec, exec, s[10:11]
	s_cbranch_execz .LBB32_26
.LBB32_24:                              ; =>This Inner Loop Header: Depth=1
	v_mul_hi_u32 v3, v7, v9
	v_mul_lo_u32 v4, v3, s8
	v_sub_u32_e32 v4, v7, v4
	v_add_u32_e32 v5, 1, v3
	v_cmp_le_u32_e64 s[0:1], s8, v4
	v_cndmask_b32_e64 v3, v3, v5, s[0:1]
	v_subrev_u32_e32 v5, s8, v4
	v_cndmask_b32_e64 v4, v4, v5, s[0:1]
	v_add_u32_e32 v5, 1, v3
	v_cmp_le_u32_e64 s[0:1], s8, v4
	v_cndmask_b32_e64 v3, v3, v5, s[0:1]
	v_xor_b32_e32 v3, s18, v3
	v_subrev_u32_e32 v3, s18, v3
	v_lshl_add_u32 v3, v3, 2, s20
	ds_read_b32 v3, v3
	s_waitcnt lgkmcnt(0)
	v_cmp_neq_f32_e64 s[0:1], s23, v3
	s_and_saveexec_b64 s[16:17], s[0:1]
	s_cbranch_execz .LBB32_23
; %bb.25:                               ;   in Loop: Header=BB32_24 Depth=1
	v_mov_b32_e32 v3, v2
	v_mov_b32_e32 v4, v2
	;; [unrolled: 1-line block ×3, first 2 shown]
	ds_write_b128 v8, v[2:5]
	s_branch .LBB32_23
.LBB32_26:
	s_or_b64 exec, exec, s[2:3]
	s_cmp_lt_i32 s9, 1
	s_waitcnt lgkmcnt(0)
	s_barrier
	s_cbranch_scc1 .LBB32_33
; %bb.27:
	s_add_u32 s2, s4, 64
	s_addc_u32 s3, s5, 0
	s_mov_b32 s8, 0
	v_mov_b32_e32 v3, 0
	v_mov_b32_e32 v5, 0xff800000
                                        ; implicit-def: $vgpr4
                                        ; implicit-def: $vgpr2
	s_branch .LBB32_29
.LBB32_28:                              ;   in Loop: Header=BB32_29 Depth=1
	s_or_b64 exec, exec, s[10:11]
	v_mov_b32_dpp v10, v8 quad_perm:[1,0,3,2] row_mask:0xf bank_mask:0xf
	v_cmp_lt_f32_e64 s[0:1], v8, v10
	v_cndmask_b32_e64 v8, v8, v10, s[0:1]
	v_mov_b32_dpp v9, v7 quad_perm:[1,0,3,2] row_mask:0xf bank_mask:0xf
	v_cndmask_b32_e64 v7, v7, v9, s[0:1]
	v_mov_b32_dpp v10, v8 quad_perm:[2,3,0,1] row_mask:0xf bank_mask:0xf
	v_cmp_gt_f32_e64 s[0:1], v10, v8
	v_cndmask_b32_e64 v8, v8, v10, s[0:1]
	v_mov_b32_dpp v9, v7 quad_perm:[2,3,0,1] row_mask:0xf bank_mask:0xf
	v_cndmask_b32_e64 v7, v7, v9, s[0:1]
	v_mov_b32_dpp v10, v8 row_half_mirror row_mask:0xf bank_mask:0xf
	v_cmp_gt_f32_e64 s[0:1], v10, v8
	v_cndmask_b32_e64 v8, v8, v10, s[0:1]
	v_mov_b32_dpp v9, v7 row_half_mirror row_mask:0xf bank_mask:0xf
	v_cndmask_b32_e64 v7, v7, v9, s[0:1]
	v_mov_b32_dpp v10, v8 row_mirror row_mask:0xf bank_mask:0xf
	v_cmp_gt_f32_e64 s[0:1], v10, v8
	v_cndmask_b32_e64 v8, v8, v10, s[0:1]
	v_mov_b32_dpp v9, v7 row_mirror row_mask:0xf bank_mask:0xf
	v_cndmask_b32_e64 v7, v7, v9, s[0:1]
	v_mov_b32_dpp v10, v8 row_bcast:15 row_mask:0xf bank_mask:0xf
	v_cmp_gt_f32_e64 s[0:1], v10, v8
	v_mov_b32_dpp v9, v7 row_bcast:15 row_mask:0xf bank_mask:0xf
	v_cndmask_b32_e64 v8, v8, v10, s[0:1]
	v_cndmask_b32_e64 v7, v7, v9, s[0:1]
	s_nop 0
	v_mov_b32_dpp v10, v8 row_bcast:31 row_mask:0xf bank_mask:0xf
	v_mov_b32_dpp v9, v7 row_bcast:31 row_mask:0xf bank_mask:0xf
	v_cmp_gt_f32_e64 s[0:1], v10, v8
	v_cndmask_b32_e64 v7, v7, v9, s[0:1]
	v_cndmask_b32_e64 v8, v8, v10, s[0:1]
	v_readlane_b32 s0, v7, 63
	s_lshl_b32 s1, s0, 2
	s_add_i32 s1, s1, 0
	v_mov_b32_e32 v7, s1
	v_readlane_b32 s10, v8, 63
	ds_write_b32 v7, v5
	v_mov_b32_e32 v7, s0
	v_cmp_eq_u32_e64 s[0:1], s8, v0
	v_cndmask_b32_e64 v2, v2, v7, s[0:1]
	v_mov_b32_e32 v7, s10
	s_add_i32 s8, s8, 1
	v_cndmask_b32_e64 v4, v4, v7, s[0:1]
	s_cmp_eq_u32 s8, s9
	v_add_f32_e32 v3, s10, v3
	s_cbranch_scc1 .LBB32_34
.LBB32_29:                              ; =>This Loop Header: Depth=1
                                        ;     Child Loop BB32_31 Depth 2
	v_mov_b32_e32 v7, s8
	v_mov_b32_e32 v8, 0xff800000
	s_and_saveexec_b64 s[10:11], vcc
	s_cbranch_execz .LBB32_28
; %bb.30:                               ;   in Loop: Header=BB32_29 Depth=1
	s_load_dword s0, s[2:3], 0xc
	s_mov_b64 s[16:17], 0
	v_mov_b32_e32 v7, s8
	v_mov_b32_e32 v8, 0xff800000
	;; [unrolled: 1-line block ×3, first 2 shown]
	s_waitcnt lgkmcnt(0)
	s_and_b32 s18, s0, 0xffff
	s_lshl_b32 s19, s18, 2
	s_lshl_b32 s20, s18, 4
	v_mov_b32_e32 v10, v1
	v_mov_b32_e32 v11, v0
.LBB32_31:                              ;   Parent Loop BB32_29 Depth=1
                                        ; =>  This Inner Loop Header: Depth=2
	ds_read_b128 v[12:15], v9
	v_add_u32_e32 v11, s18, v11
	v_cmp_le_i32_e64 s[0:1], s7, v11
	s_or_b64 s[16:17], s[0:1], s[16:17]
	v_add_u32_e32 v16, 1, v10
	s_waitcnt lgkmcnt(0)
	v_cmp_gt_f32_e64 s[0:1], v12, v8
	v_cndmask_b32_e64 v8, v8, v12, s[0:1]
	v_cndmask_b32_e64 v7, v7, v10, s[0:1]
	v_cmp_gt_f32_e64 s[0:1], v13, v8
	v_cndmask_b32_e64 v8, v8, v13, s[0:1]
	v_cndmask_b32_e64 v7, v7, v16, s[0:1]
	v_cmp_gt_f32_e64 s[0:1], v14, v8
	v_add_u32_e32 v17, 2, v10
	v_cndmask_b32_e64 v8, v8, v14, s[0:1]
	v_add_u32_e32 v18, 3, v10
	v_cndmask_b32_e64 v7, v7, v17, s[0:1]
	v_cmp_gt_f32_e64 s[0:1], v15, v8
	v_add_u32_e32 v9, s20, v9
	v_add_u32_e32 v10, s19, v10
	v_cndmask_b32_e64 v8, v8, v15, s[0:1]
	v_cndmask_b32_e64 v7, v7, v18, s[0:1]
	s_andn2_b64 exec, exec, s[16:17]
	s_cbranch_execnz .LBB32_31
; %bb.32:                               ;   in Loop: Header=BB32_29 Depth=1
	s_or_b64 exec, exec, s[16:17]
	s_branch .LBB32_28
.LBB32_33:
	v_mov_b32_e32 v3, 0
                                        ; implicit-def: $vgpr4
                                        ; implicit-def: $vgpr2
.LBB32_34:
	v_cmp_gt_i32_e32 vcc, s9, v0
	s_and_saveexec_b64 s[0:1], vcc
	s_cbranch_execz .LBB32_37
; %bb.35:
	s_load_dword s7, s[4:5], 0x38
	s_load_dwordx2 s[0:1], s[4:5], 0x20
	s_load_dword s8, s[4:5], 0x4c
	s_waitcnt lgkmcnt(0)
	v_div_scale_f32 v1, s[2:3], v3, v3, s7
	v_rcp_f32_e32 v5, v1
	v_div_scale_f32 v6, vcc, s7, v3, s7
	s_ashr_i32 s2, s6, 31
	v_fma_f32 v7, -v1, v5, 1.0
	v_fmac_f32_e32 v5, v7, v5
	v_mul_f32_e32 v7, v6, v5
	v_fma_f32 v8, -v1, v7, v6
	v_fmac_f32_e32 v7, v8, v5
	v_fma_f32 v1, -v1, v7, v6
	s_mul_i32 s1, s6, s1
	s_mul_hi_u32 s3, s6, s0
	v_div_fmas_f32 v1, v1, v5, v7
	s_add_i32 s1, s3, s1
	s_mul_i32 s2, s2, s0
	v_div_fixup_f32 v1, v1, v3, s7
	s_add_i32 s4, s1, s2
	v_mul_f32_e32 v1, v1, v4
	s_mul_i32 s2, s6, s0
	s_and_b32 s3, s8, 0xffff
	s_mov_b64 s[0:1], 0
	v_mov_b32_e32 v3, s4
	v_mov_b32_e32 v4, s13
	;; [unrolled: 1-line block ×3, first 2 shown]
.LBB32_36:                              ; =>This Inner Loop Header: Depth=1
	v_ashrrev_i32_e32 v7, 31, v0
	v_add_co_u32_e32 v6, vcc, s2, v0
	v_addc_co_u32_e32 v7, vcc, v3, v7, vcc
	v_add_u32_e32 v0, s3, v0
	v_cmp_le_i32_e32 vcc, s9, v0
	v_lshlrev_b64 v[6:7], 2, v[6:7]
	s_or_b64 s[0:1], vcc, s[0:1]
	v_add_co_u32_e32 v8, vcc, s12, v6
	v_addc_co_u32_e32 v9, vcc, v4, v7, vcc
	v_add_co_u32_e32 v6, vcc, s14, v6
	v_addc_co_u32_e32 v7, vcc, v5, v7, vcc
	global_store_dword v[8:9], v1, off
	global_store_dword v[6:7], v2, off
	s_andn2_b64 exec, exec, s[0:1]
	s_cbranch_execnz .LBB32_36
.LBB32_37:
	s_endpgm
	.section	.rodata,"a",@progbits
	.p2align	6, 0x0
	.amdhsa_kernel _ZN5aiter19grouped_topk_kernelIN3c104HalfEDv4_fLi4ELb1ELb0ELb1EEEvPT_PKS4_PfPimiiiif
		.amdhsa_group_segment_fixed_size 0
		.amdhsa_private_segment_fixed_size 0
		.amdhsa_kernarg_size 320
		.amdhsa_user_sgpr_count 6
		.amdhsa_user_sgpr_private_segment_buffer 1
		.amdhsa_user_sgpr_dispatch_ptr 0
		.amdhsa_user_sgpr_queue_ptr 0
		.amdhsa_user_sgpr_kernarg_segment_ptr 1
		.amdhsa_user_sgpr_dispatch_id 0
		.amdhsa_user_sgpr_flat_scratch_init 0
		.amdhsa_user_sgpr_kernarg_preload_length 0
		.amdhsa_user_sgpr_kernarg_preload_offset 0
		.amdhsa_user_sgpr_private_segment_size 0
		.amdhsa_uses_dynamic_stack 0
		.amdhsa_system_sgpr_private_segment_wavefront_offset 0
		.amdhsa_system_sgpr_workgroup_id_x 1
		.amdhsa_system_sgpr_workgroup_id_y 0
		.amdhsa_system_sgpr_workgroup_id_z 0
		.amdhsa_system_sgpr_workgroup_info 0
		.amdhsa_system_vgpr_workitem_id 0
		.amdhsa_next_free_vgpr 19
		.amdhsa_next_free_sgpr 24
		.amdhsa_accum_offset 20
		.amdhsa_reserve_vcc 1
		.amdhsa_reserve_flat_scratch 0
		.amdhsa_float_round_mode_32 0
		.amdhsa_float_round_mode_16_64 0
		.amdhsa_float_denorm_mode_32 3
		.amdhsa_float_denorm_mode_16_64 3
		.amdhsa_dx10_clamp 1
		.amdhsa_ieee_mode 1
		.amdhsa_fp16_overflow 0
		.amdhsa_tg_split 0
		.amdhsa_exception_fp_ieee_invalid_op 0
		.amdhsa_exception_fp_denorm_src 0
		.amdhsa_exception_fp_ieee_div_zero 0
		.amdhsa_exception_fp_ieee_overflow 0
		.amdhsa_exception_fp_ieee_underflow 0
		.amdhsa_exception_fp_ieee_inexact 0
		.amdhsa_exception_int_div_zero 0
	.end_amdhsa_kernel
	.section	.text._ZN5aiter19grouped_topk_kernelIN3c104HalfEDv4_fLi4ELb1ELb0ELb1EEEvPT_PKS4_PfPimiiiif,"axG",@progbits,_ZN5aiter19grouped_topk_kernelIN3c104HalfEDv4_fLi4ELb1ELb0ELb1EEEvPT_PKS4_PfPimiiiif,comdat
.Lfunc_end32:
	.size	_ZN5aiter19grouped_topk_kernelIN3c104HalfEDv4_fLi4ELb1ELb0ELb1EEEvPT_PKS4_PfPimiiiif, .Lfunc_end32-_ZN5aiter19grouped_topk_kernelIN3c104HalfEDv4_fLi4ELb1ELb0ELb1EEEvPT_PKS4_PfPimiiiif
                                        ; -- End function
	.section	.AMDGPU.csdata,"",@progbits
; Kernel info:
; codeLenInByte = 2540
; NumSgprs: 28
; NumVgprs: 19
; NumAgprs: 0
; TotalNumVgprs: 19
; ScratchSize: 0
; MemoryBound: 0
; FloatMode: 240
; IeeeMode: 1
; LDSByteSize: 0 bytes/workgroup (compile time only)
; SGPRBlocks: 3
; VGPRBlocks: 2
; NumSGPRsForWavesPerEU: 28
; NumVGPRsForWavesPerEU: 19
; AccumOffset: 20
; Occupancy: 8
; WaveLimiterHint : 0
; COMPUTE_PGM_RSRC2:SCRATCH_EN: 0
; COMPUTE_PGM_RSRC2:USER_SGPR: 6
; COMPUTE_PGM_RSRC2:TRAP_HANDLER: 0
; COMPUTE_PGM_RSRC2:TGID_X_EN: 1
; COMPUTE_PGM_RSRC2:TGID_Y_EN: 0
; COMPUTE_PGM_RSRC2:TGID_Z_EN: 0
; COMPUTE_PGM_RSRC2:TIDIG_COMP_CNT: 0
; COMPUTE_PGM_RSRC3_GFX90A:ACCUM_OFFSET: 4
; COMPUTE_PGM_RSRC3_GFX90A:TG_SPLIT: 0
	.section	.text._ZN5aiter19grouped_topk_kernelIN3c108BFloat16EDv4_fLi4ELb1ELb0ELb1EEEvPT_PKS4_PfPimiiiif,"axG",@progbits,_ZN5aiter19grouped_topk_kernelIN3c108BFloat16EDv4_fLi4ELb1ELb0ELb1EEEvPT_PKS4_PfPimiiiif,comdat
	.protected	_ZN5aiter19grouped_topk_kernelIN3c108BFloat16EDv4_fLi4ELb1ELb0ELb1EEEvPT_PKS4_PfPimiiiif ; -- Begin function _ZN5aiter19grouped_topk_kernelIN3c108BFloat16EDv4_fLi4ELb1ELb0ELb1EEEvPT_PKS4_PfPimiiiif
	.globl	_ZN5aiter19grouped_topk_kernelIN3c108BFloat16EDv4_fLi4ELb1ELb0ELb1EEEvPT_PKS4_PfPimiiiif
	.p2align	8
	.type	_ZN5aiter19grouped_topk_kernelIN3c108BFloat16EDv4_fLi4ELb1ELb0ELb1EEEvPT_PKS4_PfPimiiiif,@function
_ZN5aiter19grouped_topk_kernelIN3c108BFloat16EDv4_fLi4ELb1ELb0ELb1EEEvPT_PKS4_PfPimiiiif: ; @_ZN5aiter19grouped_topk_kernelIN3c108BFloat16EDv4_fLi4ELb1ELb0ELb1EEEvPT_PKS4_PfPimiiiif
; %bb.0:
	s_load_dwordx4 s[8:11], s[4:5], 0x28
	s_load_dwordx4 s[12:15], s[4:5], 0x10
	v_mov_b32_e32 v1, 0xff800000
	s_waitcnt lgkmcnt(0)
	v_cmp_gt_i32_e32 vcc, s8, v0
	s_and_saveexec_b64 s[2:3], vcc
	s_cbranch_execz .LBB33_4
; %bb.1:
	s_load_dword s0, s[4:5], 0x4c
	s_load_dwordx2 s[16:17], s[4:5], 0x0
	s_mul_i32 s7, s6, s8
	v_lshl_add_u32 v2, v0, 2, 0
	s_mov_b64 s[18:19], 0
	s_waitcnt lgkmcnt(0)
	s_and_b32 s11, s0, 0xffff
	s_lshl_b32 s20, s11, 2
	v_mov_b32_e32 v1, 0xff800000
	v_mov_b32_e32 v3, s17
	v_mov_b32_e32 v4, v0
.LBB33_2:                               ; =>This Inner Loop Header: Depth=1
	v_add_u32_e32 v6, s7, v4
	v_ashrrev_i32_e32 v7, 31, v6
	v_lshlrev_b64 v[6:7], 1, v[6:7]
	v_add_co_u32_e64 v6, s[0:1], s16, v6
	v_addc_co_u32_e64 v7, s[0:1], v3, v7, s[0:1]
	global_load_ushort v5, v[6:7], off
	v_add_u32_e32 v4, s11, v4
	v_cmp_le_i32_e64 s[0:1], s8, v4
	s_or_b64 s[18:19], s[0:1], s[18:19]
	s_waitcnt vmcnt(0)
	v_lshrrev_b16_e32 v6, 8, v5
	v_and_b32_e32 v5, 0xff, v5
	v_lshlrev_b32_e32 v5, 16, v5
	v_lshl_or_b32 v5, v6, 24, v5
	v_cmp_lt_f32_e64 s[0:1], v1, v5
	ds_write_b32 v2, v5
	v_cndmask_b32_e64 v1, v1, v5, s[0:1]
	v_add_u32_e32 v2, s20, v2
	s_andn2_b64 exec, exec, s[18:19]
	s_cbranch_execnz .LBB33_2
; %bb.3:
	s_or_b64 exec, exec, s[18:19]
.LBB33_4:
	s_or_b64 exec, exec, s[2:3]
	v_mov_b32_dpp v2, v1 quad_perm:[1,0,3,2] row_mask:0xf bank_mask:0xf
	v_cmp_lt_f32_e64 s[0:1], v1, v2
	v_cndmask_b32_e64 v1, v1, v2, s[0:1]
	v_bfrev_b32_e32 v3, 0.5
	s_waitcnt lgkmcnt(0)
	v_mov_b32_dpp v2, v1 quad_perm:[2,3,0,1] row_mask:0xf bank_mask:0xf
	v_cmp_lt_f32_e64 s[0:1], v1, v2
	v_cndmask_b32_e64 v1, v1, v2, s[0:1]
	s_barrier
	s_nop 0
	v_mov_b32_dpp v2, v1 row_half_mirror row_mask:0xf bank_mask:0xf
	v_cmp_lt_f32_e64 s[0:1], v1, v2
	v_cndmask_b32_e64 v1, v1, v2, s[0:1]
	s_nop 1
	v_mov_b32_dpp v2, v1 row_mirror row_mask:0xf bank_mask:0xf
	v_cmp_lt_f32_e64 s[0:1], v1, v2
	v_cndmask_b32_e64 v1, v1, v2, s[0:1]
	s_nop 1
	v_mov_b32_dpp v2, v1 row_bcast:15 row_mask:0xf bank_mask:0xf
	v_cmp_lt_f32_e64 s[0:1], v1, v2
	v_cndmask_b32_e64 v1, v1, v2, s[0:1]
	s_nop 1
	v_mov_b32_dpp v2, v1 row_bcast:31 row_mask:0xf bank_mask:0xf
	v_cmp_lt_f32_e64 s[0:1], v1, v2
	v_cndmask_b32_e64 v2, v1, v2, s[0:1]
	v_mbcnt_lo_u32_b32 v1, -1, 0
	v_mbcnt_hi_u32_b32 v1, -1, v1
	v_lshl_or_b32 v1, v1, 2, v3
	ds_bpermute_b32 v3, v1, v2
	v_mov_b32_e32 v2, 0
	s_and_saveexec_b64 s[2:3], vcc
	s_cbranch_execz .LBB33_8
; %bb.5:
	s_load_dword s0, s[4:5], 0x4c
	v_lshl_add_u32 v4, v0, 2, 0
	s_mov_b64 s[16:17], 0
	v_mov_b32_e32 v2, 0
	s_mov_b32 s7, 0x3fb8aa3b
	s_waitcnt lgkmcnt(0)
	s_and_b32 s11, s0, 0xffff
	s_lshl_b32 s18, s11, 2
	s_mov_b32 s19, 0xc2ce8ed0
	s_mov_b32 s20, 0x42b17218
	v_mov_b32_e32 v5, 0x7f800000
	v_mov_b32_e32 v6, v0
.LBB33_6:                               ; =>This Inner Loop Header: Depth=1
	ds_read_b32 v7, v4
	v_add_u32_e32 v6, s11, v6
	s_waitcnt lgkmcnt(0)
	v_sub_f32_e32 v7, v7, v3
	v_mul_f32_e32 v8, 0x3fb8aa3b, v7
	v_fma_f32 v9, v7, s7, -v8
	v_rndne_f32_e32 v10, v8
	v_fmac_f32_e32 v9, 0x32a5705f, v7
	v_sub_f32_e32 v8, v8, v10
	v_add_f32_e32 v8, v8, v9
	v_cvt_i32_f32_e32 v10, v10
	v_exp_f32_e32 v8, v8
	v_cmp_ngt_f32_e64 s[0:1], s19, v7
	v_ldexp_f32 v8, v8, v10
	v_cndmask_b32_e64 v8, 0, v8, s[0:1]
	v_cmp_nlt_f32_e64 s[0:1], s20, v7
	v_cndmask_b32_e64 v7, v5, v8, s[0:1]
	v_cmp_le_i32_e64 s[0:1], s8, v6
	ds_write_b32 v4, v7
	v_add_f32_e32 v2, v2, v7
	s_or_b64 s[16:17], s[0:1], s[16:17]
	v_add_u32_e32 v4, s18, v4
	s_andn2_b64 exec, exec, s[16:17]
	s_cbranch_execnz .LBB33_6
; %bb.7:
	s_or_b64 exec, exec, s[16:17]
.LBB33_8:
	s_or_b64 exec, exec, s[2:3]
	s_waitcnt lgkmcnt(0)
	v_mov_b32_dpp v3, v2 quad_perm:[1,0,3,2] row_mask:0xf bank_mask:0xf
	v_add_f32_e32 v2, v2, v3
	s_barrier
	s_nop 0
	v_mov_b32_dpp v3, v2 quad_perm:[2,3,0,1] row_mask:0xf bank_mask:0xf
	v_add_f32_e32 v2, v2, v3
	s_nop 1
	v_mov_b32_dpp v3, v2 row_half_mirror row_mask:0xf bank_mask:0xf
	v_add_f32_e32 v2, v2, v3
	s_nop 1
	v_mov_b32_dpp v3, v2 row_mirror row_mask:0xf bank_mask:0xf
	v_add_f32_e32 v2, v2, v3
	s_nop 1
	v_mov_b32_dpp v3, v2 row_bcast:15 row_mask:0xf bank_mask:0xf
	v_add_f32_e32 v2, v2, v3
	s_nop 1
	v_mov_b32_dpp v3, v2 row_bcast:31 row_mask:0xf bank_mask:0xf
	v_add_f32_e32 v2, v2, v3
	ds_bpermute_b32 v1, v1, v2
	s_and_saveexec_b64 s[0:1], vcc
	s_cbranch_execz .LBB33_11
; %bb.9:
	s_load_dword s7, s[4:5], 0x4c
	v_lshl_add_u32 v2, v0, 2, 0
	s_mov_b64 s[2:3], 0
	v_mov_b32_e32 v3, v0
	s_waitcnt lgkmcnt(0)
	s_and_b32 s7, s7, 0xffff
	s_lshl_b32 s11, s7, 2
.LBB33_10:                              ; =>This Inner Loop Header: Depth=1
	ds_read_b32 v4, v2
	v_add_u32_e32 v3, s7, v3
	v_cmp_le_i32_e32 vcc, s8, v3
	s_or_b64 s[2:3], vcc, s[2:3]
	s_waitcnt lgkmcnt(0)
	v_div_scale_f32 v5, s[16:17], v1, v1, v4
	v_rcp_f32_e32 v6, v5
	v_div_scale_f32 v7, vcc, v4, v1, v4
	v_fma_f32 v8, -v5, v6, 1.0
	v_fmac_f32_e32 v6, v8, v6
	v_mul_f32_e32 v8, v7, v6
	v_fma_f32 v9, -v5, v8, v7
	v_fmac_f32_e32 v8, v9, v6
	v_fma_f32 v5, -v5, v8, v7
	v_div_fmas_f32 v5, v5, v6, v8
	v_div_fixup_f32 v4, v5, v1, v4
	ds_write_b32 v2, v4
	v_add_u32_e32 v2, s11, v2
	s_andn2_b64 exec, exec, s[2:3]
	s_cbranch_execnz .LBB33_10
.LBB33_11:
	s_or_b64 exec, exec, s[0:1]
	s_ashr_i32 s0, s8, 31
	s_lshr_b32 s0, s0, 30
	s_add_i32 s0, s8, s0
	s_ashr_i32 s7, s0, 2
	s_lshl_b32 s0, s8, 2
	s_add_i32 s20, s0, 0
	v_cmp_gt_u32_e32 vcc, 4, v0
	s_waitcnt lgkmcnt(0)
	s_barrier
	s_and_saveexec_b64 s[2:3], vcc
	s_cbranch_execz .LBB33_18
; %bb.12:
	s_load_dword s0, s[4:5], 0x4c
	v_mul_lo_u32 v1, v0, s7
	v_lshl_add_u32 v1, v1, 2, 0
	s_mov_b64 s[16:17], 0
	s_waitcnt lgkmcnt(0)
	s_and_b32 s11, s0, 0xffff
	s_cmp_gt_i32 s8, 3
	s_cselect_b64 s[0:1], -1, 0
	s_mul_i32 s8, s7, s11
	v_cndmask_b32_e64 v2, 0, 1, s[0:1]
	s_lshl_b32 s8, s8, 2
	v_cmp_ne_u32_e64 s[0:1], 1, v2
	v_mov_b32_e32 v2, v0
	s_branch .LBB33_14
.LBB33_13:                              ;   in Loop: Header=BB33_14 Depth=1
	v_lshl_add_u32 v4, v2, 2, s20
	v_add_u32_e32 v2, s11, v2
	v_cmp_lt_u32_e32 vcc, 3, v2
	s_or_b64 s[16:17], vcc, s[16:17]
	v_add_u32_e32 v1, s8, v1
	ds_write_b32 v4, v3
	s_andn2_b64 exec, exec, s[16:17]
	s_cbranch_execz .LBB33_18
.LBB33_14:                              ; =>This Loop Header: Depth=1
                                        ;     Child Loop BB33_16 Depth 2
	s_and_b64 vcc, exec, s[0:1]
	v_mov_b32_e32 v3, 0xff800000
	s_cbranch_vccnz .LBB33_13
; %bb.15:                               ;   in Loop: Header=BB33_14 Depth=1
	v_mul_lo_u32 v4, v2, s7
	v_add_u32_e32 v5, s7, v4
	s_mov_b64 s[18:19], 0
	v_mov_b32_e32 v3, 0xff800000
	v_mov_b32_e32 v6, v1
.LBB33_16:                              ;   Parent Loop BB33_14 Depth=1
                                        ; =>  This Inner Loop Header: Depth=2
	ds_read_b32 v7, v6
	v_add_u32_e32 v4, 1, v4
	v_cmp_ge_i32_e32 vcc, v4, v5
	s_or_b64 s[18:19], vcc, s[18:19]
	v_add_u32_e32 v6, 4, v6
	s_waitcnt lgkmcnt(0)
	v_cmp_gt_f32_e32 vcc, v7, v3
	v_cndmask_b32_e32 v3, v3, v7, vcc
	s_andn2_b64 exec, exec, s[18:19]
	s_cbranch_execnz .LBB33_16
; %bb.17:                               ;   in Loop: Header=BB33_14 Depth=1
	s_or_b64 exec, exec, s[18:19]
	s_branch .LBB33_13
.LBB33_18:
	s_or_b64 exec, exec, s[2:3]
	s_cmp_lt_i32 s10, 1
	s_waitcnt lgkmcnt(0)
	s_barrier
	s_cbranch_scc1 .LBB33_21
; %bb.19:
	v_mov_b32_e32 v1, s20
	s_mov_b32 s0, 0xff800000
	v_mov_b32_e32 v2, 0xff800000
.LBB33_20:                              ; =>This Inner Loop Header: Depth=1
	ds_read2_b32 v[4:5], v1 offset1:1
	ds_read2_b32 v[6:7], v1 offset0:2 offset1:3
	s_waitcnt lgkmcnt(1)
	v_cmp_nlg_f32_e32 vcc, s0, v4
	v_cndmask_b32_e64 v3, 0, 1, vcc
	v_cmp_lg_f32_e32 vcc, s0, v4
	v_cndmask_b32_e32 v4, v2, v4, vcc
	v_readfirstlane_b32 s1, v3
	v_cmp_gt_f32_e32 vcc, v5, v4
	s_lshl_b32 s1, s1, 2
	v_cndmask_b32_e32 v3, v4, v5, vcc
	s_and_b64 s[2:3], vcc, exec
	s_waitcnt lgkmcnt(0)
	v_cmp_gt_f32_e32 vcc, v6, v3
	v_cndmask_b32_e32 v3, v3, v6, vcc
	s_cselect_b32 s1, 1, s1
	s_and_b64 s[2:3], vcc, exec
	v_cmp_ngt_f32_e32 vcc, v7, v3
	s_cselect_b32 s1, 2, s1
	s_and_b64 s[2:3], vcc, exec
	s_cselect_b32 s1, s1, 3
	s_lshl_b32 s1, s1, 2
	s_add_i32 s1, s20, s1
	s_add_i32 s10, s10, -1
	v_mov_b32_e32 v3, s1
	s_cmp_lg_u32 s10, 0
	ds_write_b32 v3, v2
	s_cbranch_scc1 .LBB33_20
.LBB33_21:
	v_cmp_gt_i32_e32 vcc, s7, v0
	v_lshlrev_b32_e32 v1, 2, v0
	v_lshl_add_u32 v6, v0, 4, 0
	s_and_saveexec_b64 s[2:3], vcc
	s_cbranch_execz .LBB33_26
; %bb.22:
	s_abs_i32 s8, s7
	v_cvt_f32_u32_e32 v2, s8
	s_load_dword s0, s[4:5], 0x4c
	s_sub_i32 s1, 0, s8
	s_ashr_i32 s18, s7, 31
	v_rcp_iflag_f32_e32 v2, v2
	v_lshlrev_b32_e32 v7, 2, v0
	s_waitcnt lgkmcnt(0)
	s_and_b32 s19, s0, 0xffff
	v_lshl_add_u32 v8, v0, 4, 0
	v_mul_f32_e32 v2, 0x4f7ffffe, v2
	v_cvt_u32_f32_e32 v2, v2
	s_mov_b64 s[10:11], 0
	s_lshl_b32 s21, s19, 2
	s_lshl_b32 s22, s19, 4
	v_mul_lo_u32 v3, s1, v2
	v_mul_hi_u32 v3, v2, v3
	v_add_u32_e32 v9, v2, v3
	s_mov_b32 s23, 0xff800000
	v_mov_b32_e32 v2, 0xff800000
	v_mov_b32_e32 v10, v0
	s_branch .LBB33_24
.LBB33_23:                              ;   in Loop: Header=BB33_24 Depth=1
	s_or_b64 exec, exec, s[16:17]
	v_add_u32_e32 v10, s19, v10
	v_cmp_le_i32_e64 s[0:1], s7, v10
	v_add_u32_e32 v7, s21, v7
	s_or_b64 s[10:11], s[0:1], s[10:11]
	v_add_u32_e32 v8, s22, v8
	s_andn2_b64 exec, exec, s[10:11]
	s_cbranch_execz .LBB33_26
.LBB33_24:                              ; =>This Inner Loop Header: Depth=1
	v_mul_hi_u32 v3, v7, v9
	v_mul_lo_u32 v4, v3, s8
	v_sub_u32_e32 v4, v7, v4
	v_add_u32_e32 v5, 1, v3
	v_cmp_le_u32_e64 s[0:1], s8, v4
	v_cndmask_b32_e64 v3, v3, v5, s[0:1]
	v_subrev_u32_e32 v5, s8, v4
	v_cndmask_b32_e64 v4, v4, v5, s[0:1]
	v_add_u32_e32 v5, 1, v3
	v_cmp_le_u32_e64 s[0:1], s8, v4
	v_cndmask_b32_e64 v3, v3, v5, s[0:1]
	v_xor_b32_e32 v3, s18, v3
	v_subrev_u32_e32 v3, s18, v3
	v_lshl_add_u32 v3, v3, 2, s20
	ds_read_b32 v3, v3
	s_waitcnt lgkmcnt(0)
	v_cmp_neq_f32_e64 s[0:1], s23, v3
	s_and_saveexec_b64 s[16:17], s[0:1]
	s_cbranch_execz .LBB33_23
; %bb.25:                               ;   in Loop: Header=BB33_24 Depth=1
	v_mov_b32_e32 v3, v2
	v_mov_b32_e32 v4, v2
	;; [unrolled: 1-line block ×3, first 2 shown]
	ds_write_b128 v8, v[2:5]
	s_branch .LBB33_23
.LBB33_26:
	s_or_b64 exec, exec, s[2:3]
	s_cmp_lt_i32 s9, 1
	s_waitcnt lgkmcnt(0)
	s_barrier
	s_cbranch_scc1 .LBB33_33
; %bb.27:
	s_add_u32 s2, s4, 64
	s_addc_u32 s3, s5, 0
	s_mov_b32 s8, 0
	v_mov_b32_e32 v3, 0
	v_mov_b32_e32 v5, 0xff800000
                                        ; implicit-def: $vgpr4
                                        ; implicit-def: $vgpr2
	s_branch .LBB33_29
.LBB33_28:                              ;   in Loop: Header=BB33_29 Depth=1
	s_or_b64 exec, exec, s[10:11]
	v_mov_b32_dpp v10, v8 quad_perm:[1,0,3,2] row_mask:0xf bank_mask:0xf
	v_cmp_lt_f32_e64 s[0:1], v8, v10
	v_cndmask_b32_e64 v8, v8, v10, s[0:1]
	v_mov_b32_dpp v9, v7 quad_perm:[1,0,3,2] row_mask:0xf bank_mask:0xf
	v_cndmask_b32_e64 v7, v7, v9, s[0:1]
	v_mov_b32_dpp v10, v8 quad_perm:[2,3,0,1] row_mask:0xf bank_mask:0xf
	v_cmp_gt_f32_e64 s[0:1], v10, v8
	v_cndmask_b32_e64 v8, v8, v10, s[0:1]
	v_mov_b32_dpp v9, v7 quad_perm:[2,3,0,1] row_mask:0xf bank_mask:0xf
	v_cndmask_b32_e64 v7, v7, v9, s[0:1]
	v_mov_b32_dpp v10, v8 row_half_mirror row_mask:0xf bank_mask:0xf
	v_cmp_gt_f32_e64 s[0:1], v10, v8
	v_cndmask_b32_e64 v8, v8, v10, s[0:1]
	v_mov_b32_dpp v9, v7 row_half_mirror row_mask:0xf bank_mask:0xf
	v_cndmask_b32_e64 v7, v7, v9, s[0:1]
	v_mov_b32_dpp v10, v8 row_mirror row_mask:0xf bank_mask:0xf
	v_cmp_gt_f32_e64 s[0:1], v10, v8
	v_cndmask_b32_e64 v8, v8, v10, s[0:1]
	v_mov_b32_dpp v9, v7 row_mirror row_mask:0xf bank_mask:0xf
	v_cndmask_b32_e64 v7, v7, v9, s[0:1]
	v_mov_b32_dpp v10, v8 row_bcast:15 row_mask:0xf bank_mask:0xf
	v_cmp_gt_f32_e64 s[0:1], v10, v8
	v_mov_b32_dpp v9, v7 row_bcast:15 row_mask:0xf bank_mask:0xf
	v_cndmask_b32_e64 v8, v8, v10, s[0:1]
	v_cndmask_b32_e64 v7, v7, v9, s[0:1]
	s_nop 0
	v_mov_b32_dpp v10, v8 row_bcast:31 row_mask:0xf bank_mask:0xf
	v_mov_b32_dpp v9, v7 row_bcast:31 row_mask:0xf bank_mask:0xf
	v_cmp_gt_f32_e64 s[0:1], v10, v8
	v_cndmask_b32_e64 v7, v7, v9, s[0:1]
	v_cndmask_b32_e64 v8, v8, v10, s[0:1]
	v_readlane_b32 s0, v7, 63
	s_lshl_b32 s1, s0, 2
	s_add_i32 s1, s1, 0
	v_mov_b32_e32 v7, s1
	v_readlane_b32 s10, v8, 63
	ds_write_b32 v7, v5
	v_mov_b32_e32 v7, s0
	v_cmp_eq_u32_e64 s[0:1], s8, v0
	v_cndmask_b32_e64 v2, v2, v7, s[0:1]
	v_mov_b32_e32 v7, s10
	s_add_i32 s8, s8, 1
	v_cndmask_b32_e64 v4, v4, v7, s[0:1]
	s_cmp_eq_u32 s8, s9
	v_add_f32_e32 v3, s10, v3
	s_cbranch_scc1 .LBB33_34
.LBB33_29:                              ; =>This Loop Header: Depth=1
                                        ;     Child Loop BB33_31 Depth 2
	v_mov_b32_e32 v7, s8
	v_mov_b32_e32 v8, 0xff800000
	s_and_saveexec_b64 s[10:11], vcc
	s_cbranch_execz .LBB33_28
; %bb.30:                               ;   in Loop: Header=BB33_29 Depth=1
	s_load_dword s0, s[2:3], 0xc
	s_mov_b64 s[16:17], 0
	v_mov_b32_e32 v7, s8
	v_mov_b32_e32 v8, 0xff800000
	v_mov_b32_e32 v9, v6
	s_waitcnt lgkmcnt(0)
	s_and_b32 s18, s0, 0xffff
	s_lshl_b32 s19, s18, 2
	s_lshl_b32 s20, s18, 4
	v_mov_b32_e32 v10, v1
	v_mov_b32_e32 v11, v0
.LBB33_31:                              ;   Parent Loop BB33_29 Depth=1
                                        ; =>  This Inner Loop Header: Depth=2
	ds_read_b128 v[12:15], v9
	v_add_u32_e32 v11, s18, v11
	v_cmp_le_i32_e64 s[0:1], s7, v11
	s_or_b64 s[16:17], s[0:1], s[16:17]
	v_add_u32_e32 v16, 1, v10
	s_waitcnt lgkmcnt(0)
	v_cmp_gt_f32_e64 s[0:1], v12, v8
	v_cndmask_b32_e64 v8, v8, v12, s[0:1]
	v_cndmask_b32_e64 v7, v7, v10, s[0:1]
	v_cmp_gt_f32_e64 s[0:1], v13, v8
	v_cndmask_b32_e64 v8, v8, v13, s[0:1]
	v_cndmask_b32_e64 v7, v7, v16, s[0:1]
	v_cmp_gt_f32_e64 s[0:1], v14, v8
	v_add_u32_e32 v17, 2, v10
	v_cndmask_b32_e64 v8, v8, v14, s[0:1]
	v_add_u32_e32 v18, 3, v10
	v_cndmask_b32_e64 v7, v7, v17, s[0:1]
	v_cmp_gt_f32_e64 s[0:1], v15, v8
	v_add_u32_e32 v9, s20, v9
	v_add_u32_e32 v10, s19, v10
	v_cndmask_b32_e64 v8, v8, v15, s[0:1]
	v_cndmask_b32_e64 v7, v7, v18, s[0:1]
	s_andn2_b64 exec, exec, s[16:17]
	s_cbranch_execnz .LBB33_31
; %bb.32:                               ;   in Loop: Header=BB33_29 Depth=1
	s_or_b64 exec, exec, s[16:17]
	s_branch .LBB33_28
.LBB33_33:
	v_mov_b32_e32 v3, 0
                                        ; implicit-def: $vgpr4
                                        ; implicit-def: $vgpr2
.LBB33_34:
	v_cmp_gt_i32_e32 vcc, s9, v0
	s_and_saveexec_b64 s[0:1], vcc
	s_cbranch_execz .LBB33_37
; %bb.35:
	s_load_dword s7, s[4:5], 0x38
	s_load_dwordx2 s[0:1], s[4:5], 0x20
	s_load_dword s8, s[4:5], 0x4c
	s_waitcnt lgkmcnt(0)
	v_div_scale_f32 v1, s[2:3], v3, v3, s7
	v_rcp_f32_e32 v5, v1
	v_div_scale_f32 v6, vcc, s7, v3, s7
	s_ashr_i32 s2, s6, 31
	v_fma_f32 v7, -v1, v5, 1.0
	v_fmac_f32_e32 v5, v7, v5
	v_mul_f32_e32 v7, v6, v5
	v_fma_f32 v8, -v1, v7, v6
	v_fmac_f32_e32 v7, v8, v5
	v_fma_f32 v1, -v1, v7, v6
	s_mul_i32 s1, s6, s1
	s_mul_hi_u32 s3, s6, s0
	v_div_fmas_f32 v1, v1, v5, v7
	s_add_i32 s1, s3, s1
	s_mul_i32 s2, s2, s0
	v_div_fixup_f32 v1, v1, v3, s7
	s_add_i32 s4, s1, s2
	v_mul_f32_e32 v1, v1, v4
	s_mul_i32 s2, s6, s0
	s_and_b32 s3, s8, 0xffff
	s_mov_b64 s[0:1], 0
	v_mov_b32_e32 v3, s4
	v_mov_b32_e32 v4, s13
	;; [unrolled: 1-line block ×3, first 2 shown]
.LBB33_36:                              ; =>This Inner Loop Header: Depth=1
	v_ashrrev_i32_e32 v7, 31, v0
	v_add_co_u32_e32 v6, vcc, s2, v0
	v_addc_co_u32_e32 v7, vcc, v3, v7, vcc
	v_add_u32_e32 v0, s3, v0
	v_cmp_le_i32_e32 vcc, s9, v0
	v_lshlrev_b64 v[6:7], 2, v[6:7]
	s_or_b64 s[0:1], vcc, s[0:1]
	v_add_co_u32_e32 v8, vcc, s12, v6
	v_addc_co_u32_e32 v9, vcc, v4, v7, vcc
	v_add_co_u32_e32 v6, vcc, s14, v6
	v_addc_co_u32_e32 v7, vcc, v5, v7, vcc
	global_store_dword v[8:9], v1, off
	global_store_dword v[6:7], v2, off
	s_andn2_b64 exec, exec, s[0:1]
	s_cbranch_execnz .LBB33_36
.LBB33_37:
	s_endpgm
	.section	.rodata,"a",@progbits
	.p2align	6, 0x0
	.amdhsa_kernel _ZN5aiter19grouped_topk_kernelIN3c108BFloat16EDv4_fLi4ELb1ELb0ELb1EEEvPT_PKS4_PfPimiiiif
		.amdhsa_group_segment_fixed_size 0
		.amdhsa_private_segment_fixed_size 0
		.amdhsa_kernarg_size 320
		.amdhsa_user_sgpr_count 6
		.amdhsa_user_sgpr_private_segment_buffer 1
		.amdhsa_user_sgpr_dispatch_ptr 0
		.amdhsa_user_sgpr_queue_ptr 0
		.amdhsa_user_sgpr_kernarg_segment_ptr 1
		.amdhsa_user_sgpr_dispatch_id 0
		.amdhsa_user_sgpr_flat_scratch_init 0
		.amdhsa_user_sgpr_kernarg_preload_length 0
		.amdhsa_user_sgpr_kernarg_preload_offset 0
		.amdhsa_user_sgpr_private_segment_size 0
		.amdhsa_uses_dynamic_stack 0
		.amdhsa_system_sgpr_private_segment_wavefront_offset 0
		.amdhsa_system_sgpr_workgroup_id_x 1
		.amdhsa_system_sgpr_workgroup_id_y 0
		.amdhsa_system_sgpr_workgroup_id_z 0
		.amdhsa_system_sgpr_workgroup_info 0
		.amdhsa_system_vgpr_workitem_id 0
		.amdhsa_next_free_vgpr 19
		.amdhsa_next_free_sgpr 24
		.amdhsa_accum_offset 20
		.amdhsa_reserve_vcc 1
		.amdhsa_reserve_flat_scratch 0
		.amdhsa_float_round_mode_32 0
		.amdhsa_float_round_mode_16_64 0
		.amdhsa_float_denorm_mode_32 3
		.amdhsa_float_denorm_mode_16_64 3
		.amdhsa_dx10_clamp 1
		.amdhsa_ieee_mode 1
		.amdhsa_fp16_overflow 0
		.amdhsa_tg_split 0
		.amdhsa_exception_fp_ieee_invalid_op 0
		.amdhsa_exception_fp_denorm_src 0
		.amdhsa_exception_fp_ieee_div_zero 0
		.amdhsa_exception_fp_ieee_overflow 0
		.amdhsa_exception_fp_ieee_underflow 0
		.amdhsa_exception_fp_ieee_inexact 0
		.amdhsa_exception_int_div_zero 0
	.end_amdhsa_kernel
	.section	.text._ZN5aiter19grouped_topk_kernelIN3c108BFloat16EDv4_fLi4ELb1ELb0ELb1EEEvPT_PKS4_PfPimiiiif,"axG",@progbits,_ZN5aiter19grouped_topk_kernelIN3c108BFloat16EDv4_fLi4ELb1ELb0ELb1EEEvPT_PKS4_PfPimiiiif,comdat
.Lfunc_end33:
	.size	_ZN5aiter19grouped_topk_kernelIN3c108BFloat16EDv4_fLi4ELb1ELb0ELb1EEEvPT_PKS4_PfPimiiiif, .Lfunc_end33-_ZN5aiter19grouped_topk_kernelIN3c108BFloat16EDv4_fLi4ELb1ELb0ELb1EEEvPT_PKS4_PfPimiiiif
                                        ; -- End function
	.section	.AMDGPU.csdata,"",@progbits
; Kernel info:
; codeLenInByte = 2560
; NumSgprs: 28
; NumVgprs: 19
; NumAgprs: 0
; TotalNumVgprs: 19
; ScratchSize: 0
; MemoryBound: 0
; FloatMode: 240
; IeeeMode: 1
; LDSByteSize: 0 bytes/workgroup (compile time only)
; SGPRBlocks: 3
; VGPRBlocks: 2
; NumSGPRsForWavesPerEU: 28
; NumVGPRsForWavesPerEU: 19
; AccumOffset: 20
; Occupancy: 8
; WaveLimiterHint : 0
; COMPUTE_PGM_RSRC2:SCRATCH_EN: 0
; COMPUTE_PGM_RSRC2:USER_SGPR: 6
; COMPUTE_PGM_RSRC2:TRAP_HANDLER: 0
; COMPUTE_PGM_RSRC2:TGID_X_EN: 1
; COMPUTE_PGM_RSRC2:TGID_Y_EN: 0
; COMPUTE_PGM_RSRC2:TGID_Z_EN: 0
; COMPUTE_PGM_RSRC2:TIDIG_COMP_CNT: 0
; COMPUTE_PGM_RSRC3_GFX90A:ACCUM_OFFSET: 4
; COMPUTE_PGM_RSRC3_GFX90A:TG_SPLIT: 0
	.section	.text._ZN5aiter19grouped_topk_kernelIfDv4_fLi4ELb1ELb0ELb0EEEvPT_PKS2_PfPimiiiif,"axG",@progbits,_ZN5aiter19grouped_topk_kernelIfDv4_fLi4ELb1ELb0ELb0EEEvPT_PKS2_PfPimiiiif,comdat
	.protected	_ZN5aiter19grouped_topk_kernelIfDv4_fLi4ELb1ELb0ELb0EEEvPT_PKS2_PfPimiiiif ; -- Begin function _ZN5aiter19grouped_topk_kernelIfDv4_fLi4ELb1ELb0ELb0EEEvPT_PKS2_PfPimiiiif
	.globl	_ZN5aiter19grouped_topk_kernelIfDv4_fLi4ELb1ELb0ELb0EEEvPT_PKS2_PfPimiiiif
	.p2align	8
	.type	_ZN5aiter19grouped_topk_kernelIfDv4_fLi4ELb1ELb0ELb0EEEvPT_PKS2_PfPimiiiif,@function
_ZN5aiter19grouped_topk_kernelIfDv4_fLi4ELb1ELb0ELb0EEEvPT_PKS2_PfPimiiiif: ; @_ZN5aiter19grouped_topk_kernelIfDv4_fLi4ELb1ELb0ELb0EEEvPT_PKS2_PfPimiiiif
; %bb.0:
	s_load_dwordx4 s[12:15], s[4:5], 0x28
	s_load_dwordx4 s[16:19], s[4:5], 0x10
	s_waitcnt lgkmcnt(0)
	s_ashr_i32 s0, s12, 31
	s_lshr_b32 s0, s0, 30
	s_add_i32 s0, s12, s0
	s_ashr_i32 s7, s0, 2
	v_cmp_gt_i32_e64 s[0:1], s7, v0
	s_and_saveexec_b64 s[20:21], s[0:1]
	s_cbranch_execz .LBB34_3
; %bb.1:
	s_load_dword s10, s[4:5], 0x4c
	s_load_dwordx2 s[2:3], s[4:5], 0x0
	s_mul_i32 s8, s6, s12
	s_ashr_i32 s9, s8, 31
	s_lshl_b64 s[8:9], s[8:9], 2
	s_waitcnt lgkmcnt(0)
	s_and_b32 s15, s10, 0xffff
	s_add_u32 s2, s2, s8
	v_lshlrev_b32_e32 v1, 4, v0
	s_addc_u32 s3, s3, s9
	s_mov_b32 s11, 0
	v_mov_b32_e32 v2, s3
	v_add_co_u32_e32 v6, vcc, s2, v1
	v_addc_co_u32_e32 v7, vcc, 0, v2, vcc
	s_lshl_b32 s24, s15, 4
	v_add_u32_e32 v1, 0, v1
	s_mov_b64 s[22:23], 0
	s_mov_b32 s25, 0xbfb8aa3b
	s_mov_b32 s26, 0x42ce8ed0
	;; [unrolled: 1-line block ×3, first 2 shown]
	v_mov_b32_e32 v8, 0x7f800000
	v_mov_b32_e32 v9, s11
	;; [unrolled: 1-line block ×3, first 2 shown]
.LBB34_2:                               ; =>This Inner Loop Header: Depth=1
	global_load_dwordx4 v[2:5], v[6:7], off
	v_add_co_u32_e32 v6, vcc, s24, v6
	v_add_u32_e32 v10, s15, v10
	v_addc_co_u32_e32 v7, vcc, v7, v9, vcc
	v_cmp_le_i32_e32 vcc, s7, v10
	s_or_b64 s[22:23], vcc, s[22:23]
	s_waitcnt vmcnt(0)
	v_mul_f32_e32 v11, 0xbfb8aa3b, v3
	v_mul_f32_e32 v12, 0xbfb8aa3b, v2
	v_rndne_f32_e32 v15, v11
	v_fma_f32 v16, v3, s25, -v11
	v_rndne_f32_e32 v17, v12
	v_fma_f32 v18, v2, s25, -v12
	v_mul_f32_e32 v13, 0xbfb8aa3b, v5
	v_mul_f32_e32 v14, 0xbfb8aa3b, v4
	v_sub_f32_e32 v11, v11, v15
	v_fmac_f32_e32 v16, 0xb2a5705f, v3
	v_sub_f32_e32 v12, v12, v17
	v_fmac_f32_e32 v18, 0xb2a5705f, v2
	v_rndne_f32_e32 v19, v13
	v_fma_f32 v20, v5, s25, -v13
	v_rndne_f32_e32 v21, v14
	v_fma_f32 v22, v4, s25, -v14
	v_add_f32_e32 v11, v11, v16
	v_add_f32_e32 v12, v12, v18
	v_cvt_i32_f32_e32 v15, v15
	v_cvt_i32_f32_e32 v17, v17
	v_sub_f32_e32 v13, v13, v19
	v_fmac_f32_e32 v20, 0xb2a5705f, v5
	v_sub_f32_e32 v14, v14, v21
	v_fmac_f32_e32 v22, 0xb2a5705f, v4
	v_exp_f32_e32 v11, v11
	v_exp_f32_e32 v12, v12
	v_add_f32_e32 v13, v13, v20
	v_add_f32_e32 v14, v14, v22
	v_cvt_i32_f32_e32 v19, v19
	v_cvt_i32_f32_e32 v21, v21
	v_exp_f32_e32 v13, v13
	v_exp_f32_e32 v14, v14
	v_ldexp_f32 v11, v11, v15
	v_ldexp_f32 v12, v12, v17
	v_cmp_nlt_f32_e32 vcc, s26, v2
	v_cmp_nlt_f32_e64 s[10:11], s26, v3
	v_cndmask_b32_e64 v11, 0, v11, s[10:11]
	v_cndmask_b32_e32 v12, 0, v12, vcc
	v_cmp_ngt_f32_e32 vcc, s27, v2
	v_cmp_ngt_f32_e64 s[10:11], s27, v3
	v_ldexp_f32 v13, v13, v19
	v_cmp_nlt_f32_e64 s[2:3], s26, v5
	v_ldexp_f32 v14, v14, v21
	v_cmp_nlt_f32_e64 s[8:9], s26, v4
	v_cndmask_b32_e64 v3, v8, v11, s[10:11]
	v_cndmask_b32_e32 v2, v8, v12, vcc
	v_cndmask_b32_e64 v13, 0, v13, s[2:3]
	v_cmp_ngt_f32_e64 s[2:3], s27, v5
	v_cndmask_b32_e64 v14, 0, v14, s[8:9]
	v_cmp_ngt_f32_e64 s[8:9], s27, v4
	v_pk_add_f32 v[2:3], v[2:3], 1.0 op_sel_hi:[1,0]
	v_cndmask_b32_e64 v5, v8, v13, s[2:3]
	v_cndmask_b32_e64 v4, v8, v14, s[8:9]
	v_div_scale_f32 v11, s[2:3], v3, v3, 1.0
	v_pk_add_f32 v[4:5], v[4:5], 1.0 op_sel_hi:[1,0]
	v_div_scale_f32 v13, s[2:3], v2, v2, 1.0
	v_rcp_f32_e32 v19, v11
	v_div_scale_f32 v15, s[8:9], v5, v5, 1.0
	v_rcp_f32_e32 v20, v13
	;; [unrolled: 2-line block ×3, first 2 shown]
	v_rcp_f32_e32 v22, v17
	v_fma_f32 v23, -v11, v19, 1.0
	v_div_scale_f32 v12, vcc, 1.0, v3, 1.0
	v_fma_f32 v24, -v13, v20, 1.0
	v_fmac_f32_e32 v19, v23, v19
	v_div_scale_f32 v14, s[2:3], 1.0, v2, 1.0
	v_fma_f32 v25, -v15, v21, 1.0
	v_fmac_f32_e32 v20, v24, v20
	v_mul_f32_e32 v23, v12, v19
	v_div_scale_f32 v16, s[8:9], 1.0, v5, 1.0
	v_fma_f32 v26, -v17, v22, 1.0
	v_fmac_f32_e32 v21, v25, v21
	v_mul_f32_e32 v24, v14, v20
	v_fma_f32 v27, -v11, v23, v12
	v_div_scale_f32 v18, s[10:11], 1.0, v4, 1.0
	v_fmac_f32_e32 v22, v26, v22
	v_mul_f32_e32 v25, v16, v21
	v_fma_f32 v28, -v13, v24, v14
	v_fmac_f32_e32 v23, v27, v19
	v_mul_f32_e32 v26, v18, v22
	v_fma_f32 v29, -v15, v25, v16
	v_fmac_f32_e32 v24, v28, v20
	v_fma_f32 v11, -v11, v23, v12
	v_fma_f32 v30, -v17, v26, v18
	v_fmac_f32_e32 v25, v29, v21
	v_fma_f32 v12, -v13, v24, v14
	v_div_fmas_f32 v11, v11, v19, v23
	s_mov_b64 vcc, s[2:3]
	v_fmac_f32_e32 v26, v30, v22
	v_fma_f32 v13, -v15, v25, v16
	v_div_fixup_f32 v3, v11, v3, 1.0
	v_div_fmas_f32 v11, v12, v20, v24
	s_mov_b64 vcc, s[8:9]
	v_fma_f32 v14, -v17, v26, v18
	v_div_fixup_f32 v2, v11, v2, 1.0
	v_div_fmas_f32 v11, v13, v21, v25
	s_mov_b64 vcc, s[10:11]
	v_div_fixup_f32 v5, v11, v5, 1.0
	v_div_fmas_f32 v11, v14, v22, v26
	v_div_fixup_f32 v4, v11, v4, 1.0
	ds_write_b128 v1, v[2:5]
	v_add_u32_e32 v1, s24, v1
	s_andn2_b64 exec, exec, s[22:23]
	s_cbranch_execnz .LBB34_2
.LBB34_3:
	s_or_b64 exec, exec, s[20:21]
	s_lshl_b32 s2, s12, 2
	s_add_i32 s15, s2, 0
	v_cmp_gt_u32_e32 vcc, 4, v0
	s_waitcnt lgkmcnt(0)
	s_barrier
	s_and_saveexec_b64 s[8:9], vcc
	s_cbranch_execz .LBB34_10
; %bb.4:
	s_load_dword s2, s[4:5], 0x4c
	v_mul_lo_u32 v1, v0, s7
	v_lshl_add_u32 v1, v1, 2, 0
	s_waitcnt lgkmcnt(0)
	s_and_b32 s22, s2, 0xffff
	s_cmp_gt_i32 s12, 3
	s_cselect_b64 s[2:3], -1, 0
	s_mul_i32 s10, s7, s22
	v_cndmask_b32_e64 v2, 0, 1, s[2:3]
	s_lshl_b32 s12, s10, 2
	s_mov_b64 s[10:11], 0
	v_cmp_ne_u32_e64 s[2:3], 1, v2
	v_mov_b32_e32 v2, v0
	s_branch .LBB34_6
.LBB34_5:                               ;   in Loop: Header=BB34_6 Depth=1
	v_lshl_add_u32 v4, v2, 2, s15
	v_add_u32_e32 v2, s22, v2
	v_cmp_lt_u32_e32 vcc, 3, v2
	s_or_b64 s[10:11], vcc, s[10:11]
	v_add_u32_e32 v1, s12, v1
	ds_write_b32 v4, v3
	s_andn2_b64 exec, exec, s[10:11]
	s_cbranch_execz .LBB34_10
.LBB34_6:                               ; =>This Loop Header: Depth=1
                                        ;     Child Loop BB34_8 Depth 2
	s_and_b64 vcc, exec, s[2:3]
	v_mov_b32_e32 v3, 0xff800000
	s_cbranch_vccnz .LBB34_5
; %bb.7:                                ;   in Loop: Header=BB34_6 Depth=1
	v_mul_lo_u32 v4, v2, s7
	v_add_u32_e32 v5, s7, v4
	s_mov_b64 s[20:21], 0
	v_mov_b32_e32 v3, 0xff800000
	v_mov_b32_e32 v6, v1
.LBB34_8:                               ;   Parent Loop BB34_6 Depth=1
                                        ; =>  This Inner Loop Header: Depth=2
	ds_read_b32 v7, v6
	v_add_u32_e32 v4, 1, v4
	v_cmp_ge_i32_e32 vcc, v4, v5
	s_or_b64 s[20:21], vcc, s[20:21]
	v_add_u32_e32 v6, 4, v6
	s_waitcnt lgkmcnt(0)
	v_cmp_gt_f32_e32 vcc, v7, v3
	v_cndmask_b32_e32 v3, v3, v7, vcc
	s_andn2_b64 exec, exec, s[20:21]
	s_cbranch_execnz .LBB34_8
; %bb.9:                                ;   in Loop: Header=BB34_6 Depth=1
	s_or_b64 exec, exec, s[20:21]
	s_branch .LBB34_5
.LBB34_10:
	s_or_b64 exec, exec, s[8:9]
	s_cmp_lt_i32 s14, 1
	s_waitcnt lgkmcnt(0)
	s_barrier
	s_cbranch_scc1 .LBB34_13
; %bb.11:
	v_mov_b32_e32 v1, s15
	s_mov_b32 s2, 0xff800000
	v_mov_b32_e32 v2, 0xff800000
.LBB34_12:                              ; =>This Inner Loop Header: Depth=1
	ds_read2_b32 v[4:5], v1 offset1:1
	ds_read2_b32 v[6:7], v1 offset0:2 offset1:3
	s_waitcnt lgkmcnt(1)
	v_cmp_nlg_f32_e32 vcc, s2, v4
	v_cndmask_b32_e64 v3, 0, 1, vcc
	v_cmp_lg_f32_e32 vcc, s2, v4
	v_cndmask_b32_e32 v4, v2, v4, vcc
	v_readfirstlane_b32 s3, v3
	v_cmp_gt_f32_e32 vcc, v5, v4
	s_lshl_b32 s3, s3, 2
	v_cndmask_b32_e32 v3, v4, v5, vcc
	s_and_b64 s[8:9], vcc, exec
	s_waitcnt lgkmcnt(0)
	v_cmp_gt_f32_e32 vcc, v6, v3
	v_cndmask_b32_e32 v3, v3, v6, vcc
	s_cselect_b32 s3, 1, s3
	s_and_b64 s[8:9], vcc, exec
	v_cmp_ngt_f32_e32 vcc, v7, v3
	s_cselect_b32 s3, 2, s3
	s_and_b64 s[8:9], vcc, exec
	s_cselect_b32 s3, s3, 3
	s_lshl_b32 s3, s3, 2
	s_add_i32 s3, s15, s3
	s_add_i32 s14, s14, -1
	v_mov_b32_e32 v3, s3
	s_cmp_lg_u32 s14, 0
	ds_write_b32 v3, v2
	s_cbranch_scc1 .LBB34_12
.LBB34_13:
	v_lshlrev_b32_e32 v1, 2, v0
	v_lshl_add_u32 v6, v0, 4, 0
	s_and_saveexec_b64 s[2:3], s[0:1]
	s_cbranch_execz .LBB34_18
; %bb.14:
	s_abs_i32 s12, s7
	v_cvt_f32_u32_e32 v2, s12
	s_load_dword s10, s[4:5], 0x4c
	s_sub_i32 s11, 0, s12
	s_ashr_i32 s14, s7, 31
	v_rcp_iflag_f32_e32 v2, v2
	v_lshlrev_b32_e32 v7, 2, v0
	s_waitcnt lgkmcnt(0)
	s_and_b32 s20, s10, 0xffff
	v_lshl_add_u32 v8, v0, 4, 0
	v_mul_f32_e32 v2, 0x4f7ffffe, v2
	v_cvt_u32_f32_e32 v2, v2
	s_mov_b64 s[8:9], 0
	s_lshl_b32 s21, s20, 2
	s_lshl_b32 s22, s20, 4
	v_mul_lo_u32 v3, s11, v2
	v_mul_hi_u32 v3, v2, v3
	v_add_u32_e32 v9, v2, v3
	s_mov_b32 s23, 0xff800000
	v_mov_b32_e32 v2, 0xff800000
	v_mov_b32_e32 v10, v0
	s_branch .LBB34_16
.LBB34_15:                              ;   in Loop: Header=BB34_16 Depth=1
	s_or_b64 exec, exec, s[10:11]
	v_add_u32_e32 v10, s20, v10
	v_cmp_le_i32_e32 vcc, s7, v10
	v_add_u32_e32 v7, s21, v7
	s_or_b64 s[8:9], vcc, s[8:9]
	v_add_u32_e32 v8, s22, v8
	s_andn2_b64 exec, exec, s[8:9]
	s_cbranch_execz .LBB34_18
.LBB34_16:                              ; =>This Inner Loop Header: Depth=1
	v_mul_hi_u32 v3, v7, v9
	v_mul_lo_u32 v4, v3, s12
	v_sub_u32_e32 v4, v7, v4
	v_add_u32_e32 v5, 1, v3
	v_cmp_le_u32_e32 vcc, s12, v4
	v_cndmask_b32_e32 v3, v3, v5, vcc
	v_subrev_u32_e32 v5, s12, v4
	v_cndmask_b32_e32 v4, v4, v5, vcc
	v_add_u32_e32 v5, 1, v3
	v_cmp_le_u32_e32 vcc, s12, v4
	v_cndmask_b32_e32 v3, v3, v5, vcc
	v_xor_b32_e32 v3, s14, v3
	v_subrev_u32_e32 v3, s14, v3
	v_lshl_add_u32 v3, v3, 2, s15
	ds_read_b32 v3, v3
	s_waitcnt lgkmcnt(0)
	v_cmp_neq_f32_e32 vcc, s23, v3
	s_and_saveexec_b64 s[10:11], vcc
	s_cbranch_execz .LBB34_15
; %bb.17:                               ;   in Loop: Header=BB34_16 Depth=1
	v_mov_b32_e32 v3, v2
	v_mov_b32_e32 v4, v2
	;; [unrolled: 1-line block ×3, first 2 shown]
	ds_write_b128 v8, v[2:5]
	s_branch .LBB34_15
.LBB34_18:
	s_or_b64 exec, exec, s[2:3]
	s_cmp_lt_i32 s13, 1
	s_waitcnt lgkmcnt(0)
	s_barrier
	s_cbranch_scc1 .LBB34_25
; %bb.19:
	s_add_u32 s2, s4, 64
	s_addc_u32 s3, s5, 0
	s_mov_b32 s12, 0
	v_mov_b32_e32 v3, 0
	v_mov_b32_e32 v5, 0xff800000
                                        ; implicit-def: $vgpr4
                                        ; implicit-def: $vgpr2
	s_branch .LBB34_21
.LBB34_20:                              ;   in Loop: Header=BB34_21 Depth=1
	s_or_b64 exec, exec, s[8:9]
	v_mov_b32_dpp v10, v8 quad_perm:[1,0,3,2] row_mask:0xf bank_mask:0xf
	v_cmp_lt_f32_e32 vcc, v8, v10
	v_cndmask_b32_e32 v8, v8, v10, vcc
	v_mov_b32_dpp v9, v7 quad_perm:[1,0,3,2] row_mask:0xf bank_mask:0xf
	v_cndmask_b32_e32 v7, v7, v9, vcc
	v_mov_b32_dpp v10, v8 quad_perm:[2,3,0,1] row_mask:0xf bank_mask:0xf
	v_cmp_gt_f32_e32 vcc, v10, v8
	v_cndmask_b32_e32 v8, v8, v10, vcc
	v_mov_b32_dpp v9, v7 quad_perm:[2,3,0,1] row_mask:0xf bank_mask:0xf
	v_cndmask_b32_e32 v7, v7, v9, vcc
	v_mov_b32_dpp v10, v8 row_half_mirror row_mask:0xf bank_mask:0xf
	v_cmp_gt_f32_e32 vcc, v10, v8
	v_cndmask_b32_e32 v8, v8, v10, vcc
	v_mov_b32_dpp v9, v7 row_half_mirror row_mask:0xf bank_mask:0xf
	v_cndmask_b32_e32 v7, v7, v9, vcc
	v_mov_b32_dpp v10, v8 row_mirror row_mask:0xf bank_mask:0xf
	v_cmp_gt_f32_e32 vcc, v10, v8
	v_cndmask_b32_e32 v8, v8, v10, vcc
	v_mov_b32_dpp v9, v7 row_mirror row_mask:0xf bank_mask:0xf
	v_cndmask_b32_e32 v7, v7, v9, vcc
	v_mov_b32_dpp v10, v8 row_bcast:15 row_mask:0xf bank_mask:0xf
	v_cmp_gt_f32_e32 vcc, v10, v8
	v_mov_b32_dpp v9, v7 row_bcast:15 row_mask:0xf bank_mask:0xf
	v_cndmask_b32_e32 v8, v8, v10, vcc
	v_cndmask_b32_e32 v7, v7, v9, vcc
	s_nop 0
	v_mov_b32_dpp v10, v8 row_bcast:31 row_mask:0xf bank_mask:0xf
	v_mov_b32_dpp v9, v7 row_bcast:31 row_mask:0xf bank_mask:0xf
	v_cmp_gt_f32_e32 vcc, v10, v8
	v_cndmask_b32_e32 v7, v7, v9, vcc
	v_readlane_b32 s9, v7, 63
	s_lshl_b32 s10, s9, 2
	s_add_i32 s10, s10, 0
	v_cndmask_b32_e32 v8, v8, v10, vcc
	v_mov_b32_e32 v7, s10
	v_readlane_b32 s8, v8, 63
	ds_write_b32 v7, v5
	v_mov_b32_e32 v7, s9
	v_cmp_eq_u32_e32 vcc, s12, v0
	v_cndmask_b32_e32 v2, v2, v7, vcc
	v_mov_b32_e32 v7, s8
	s_add_i32 s12, s12, 1
	v_cndmask_b32_e32 v4, v4, v7, vcc
	s_cmp_eq_u32 s12, s13
	v_add_f32_e32 v3, s8, v3
	s_cbranch_scc1 .LBB34_26
.LBB34_21:                              ; =>This Loop Header: Depth=1
                                        ;     Child Loop BB34_23 Depth 2
	v_mov_b32_e32 v7, s12
	v_mov_b32_e32 v8, 0xff800000
	s_and_saveexec_b64 s[8:9], s[0:1]
	s_cbranch_execz .LBB34_20
; %bb.22:                               ;   in Loop: Header=BB34_21 Depth=1
	s_load_dword s14, s[2:3], 0xc
	s_mov_b64 s[10:11], 0
	v_mov_b32_e32 v7, s12
	v_mov_b32_e32 v8, 0xff800000
	v_mov_b32_e32 v9, v6
	s_waitcnt lgkmcnt(0)
	s_and_b32 s14, s14, 0xffff
	s_lshl_b32 s15, s14, 2
	s_lshl_b32 s20, s14, 4
	v_mov_b32_e32 v10, v1
	v_mov_b32_e32 v11, v0
.LBB34_23:                              ;   Parent Loop BB34_21 Depth=1
                                        ; =>  This Inner Loop Header: Depth=2
	ds_read_b128 v[12:15], v9
	v_add_u32_e32 v11, s14, v11
	v_cmp_le_i32_e32 vcc, s7, v11
	s_or_b64 s[10:11], vcc, s[10:11]
	v_add_u32_e32 v16, 1, v10
	s_waitcnt lgkmcnt(0)
	v_cmp_gt_f32_e32 vcc, v12, v8
	v_cndmask_b32_e32 v8, v8, v12, vcc
	v_cndmask_b32_e32 v7, v7, v10, vcc
	v_cmp_gt_f32_e32 vcc, v13, v8
	v_cndmask_b32_e32 v8, v8, v13, vcc
	v_cndmask_b32_e32 v7, v7, v16, vcc
	v_cmp_gt_f32_e32 vcc, v14, v8
	v_add_u32_e32 v17, 2, v10
	v_cndmask_b32_e32 v8, v8, v14, vcc
	v_add_u32_e32 v18, 3, v10
	v_cndmask_b32_e32 v7, v7, v17, vcc
	v_cmp_gt_f32_e32 vcc, v15, v8
	v_add_u32_e32 v9, s20, v9
	v_add_u32_e32 v10, s15, v10
	v_cndmask_b32_e32 v8, v8, v15, vcc
	v_cndmask_b32_e32 v7, v7, v18, vcc
	s_andn2_b64 exec, exec, s[10:11]
	s_cbranch_execnz .LBB34_23
; %bb.24:                               ;   in Loop: Header=BB34_21 Depth=1
	s_or_b64 exec, exec, s[10:11]
	s_branch .LBB34_20
.LBB34_25:
	v_mov_b32_e32 v3, 0
                                        ; implicit-def: $vgpr4
                                        ; implicit-def: $vgpr2
.LBB34_26:
	v_cmp_gt_i32_e32 vcc, s13, v0
	s_and_saveexec_b64 s[0:1], vcc
	s_cbranch_execz .LBB34_29
; %bb.27:
	s_load_dword s7, s[4:5], 0x38
	s_load_dwordx2 s[0:1], s[4:5], 0x20
	s_load_dword s8, s[4:5], 0x4c
	s_waitcnt lgkmcnt(0)
	v_div_scale_f32 v1, s[2:3], v3, v3, s7
	v_rcp_f32_e32 v5, v1
	v_div_scale_f32 v6, vcc, s7, v3, s7
	s_ashr_i32 s2, s6, 31
	v_fma_f32 v7, -v1, v5, 1.0
	v_fmac_f32_e32 v5, v7, v5
	v_mul_f32_e32 v7, v6, v5
	v_fma_f32 v8, -v1, v7, v6
	v_fmac_f32_e32 v7, v8, v5
	v_fma_f32 v1, -v1, v7, v6
	s_mul_i32 s1, s6, s1
	s_mul_hi_u32 s3, s6, s0
	v_div_fmas_f32 v1, v1, v5, v7
	s_add_i32 s1, s3, s1
	s_mul_i32 s2, s2, s0
	v_div_fixup_f32 v1, v1, v3, s7
	s_add_i32 s4, s1, s2
	v_mul_f32_e32 v1, v1, v4
	s_mul_i32 s2, s6, s0
	s_and_b32 s3, s8, 0xffff
	s_mov_b64 s[0:1], 0
	v_mov_b32_e32 v3, s4
	v_mov_b32_e32 v4, s17
	;; [unrolled: 1-line block ×3, first 2 shown]
.LBB34_28:                              ; =>This Inner Loop Header: Depth=1
	v_ashrrev_i32_e32 v7, 31, v0
	v_add_co_u32_e32 v6, vcc, s2, v0
	v_addc_co_u32_e32 v7, vcc, v3, v7, vcc
	v_add_u32_e32 v0, s3, v0
	v_cmp_le_i32_e32 vcc, s13, v0
	v_lshlrev_b64 v[6:7], 2, v[6:7]
	s_or_b64 s[0:1], vcc, s[0:1]
	v_add_co_u32_e32 v8, vcc, s16, v6
	v_addc_co_u32_e32 v9, vcc, v4, v7, vcc
	v_add_co_u32_e32 v6, vcc, s18, v6
	v_addc_co_u32_e32 v7, vcc, v5, v7, vcc
	global_store_dword v[8:9], v1, off
	global_store_dword v[6:7], v2, off
	s_andn2_b64 exec, exec, s[0:1]
	s_cbranch_execnz .LBB34_28
.LBB34_29:
	s_endpgm
	.section	.rodata,"a",@progbits
	.p2align	6, 0x0
	.amdhsa_kernel _ZN5aiter19grouped_topk_kernelIfDv4_fLi4ELb1ELb0ELb0EEEvPT_PKS2_PfPimiiiif
		.amdhsa_group_segment_fixed_size 0
		.amdhsa_private_segment_fixed_size 0
		.amdhsa_kernarg_size 320
		.amdhsa_user_sgpr_count 6
		.amdhsa_user_sgpr_private_segment_buffer 1
		.amdhsa_user_sgpr_dispatch_ptr 0
		.amdhsa_user_sgpr_queue_ptr 0
		.amdhsa_user_sgpr_kernarg_segment_ptr 1
		.amdhsa_user_sgpr_dispatch_id 0
		.amdhsa_user_sgpr_flat_scratch_init 0
		.amdhsa_user_sgpr_kernarg_preload_length 0
		.amdhsa_user_sgpr_kernarg_preload_offset 0
		.amdhsa_user_sgpr_private_segment_size 0
		.amdhsa_uses_dynamic_stack 0
		.amdhsa_system_sgpr_private_segment_wavefront_offset 0
		.amdhsa_system_sgpr_workgroup_id_x 1
		.amdhsa_system_sgpr_workgroup_id_y 0
		.amdhsa_system_sgpr_workgroup_id_z 0
		.amdhsa_system_sgpr_workgroup_info 0
		.amdhsa_system_vgpr_workitem_id 0
		.amdhsa_next_free_vgpr 31
		.amdhsa_next_free_sgpr 28
		.amdhsa_accum_offset 32
		.amdhsa_reserve_vcc 1
		.amdhsa_reserve_flat_scratch 0
		.amdhsa_float_round_mode_32 0
		.amdhsa_float_round_mode_16_64 0
		.amdhsa_float_denorm_mode_32 3
		.amdhsa_float_denorm_mode_16_64 3
		.amdhsa_dx10_clamp 1
		.amdhsa_ieee_mode 1
		.amdhsa_fp16_overflow 0
		.amdhsa_tg_split 0
		.amdhsa_exception_fp_ieee_invalid_op 0
		.amdhsa_exception_fp_denorm_src 0
		.amdhsa_exception_fp_ieee_div_zero 0
		.amdhsa_exception_fp_ieee_overflow 0
		.amdhsa_exception_fp_ieee_underflow 0
		.amdhsa_exception_fp_ieee_inexact 0
		.amdhsa_exception_int_div_zero 0
	.end_amdhsa_kernel
	.section	.text._ZN5aiter19grouped_topk_kernelIfDv4_fLi4ELb1ELb0ELb0EEEvPT_PKS2_PfPimiiiif,"axG",@progbits,_ZN5aiter19grouped_topk_kernelIfDv4_fLi4ELb1ELb0ELb0EEEvPT_PKS2_PfPimiiiif,comdat
.Lfunc_end34:
	.size	_ZN5aiter19grouped_topk_kernelIfDv4_fLi4ELb1ELb0ELb0EEEvPT_PKS2_PfPimiiiif, .Lfunc_end34-_ZN5aiter19grouped_topk_kernelIfDv4_fLi4ELb1ELb0ELb0EEEvPT_PKS2_PfPimiiiif
                                        ; -- End function
	.section	.AMDGPU.csdata,"",@progbits
; Kernel info:
; codeLenInByte = 2292
; NumSgprs: 32
; NumVgprs: 31
; NumAgprs: 0
; TotalNumVgprs: 31
; ScratchSize: 0
; MemoryBound: 0
; FloatMode: 240
; IeeeMode: 1
; LDSByteSize: 0 bytes/workgroup (compile time only)
; SGPRBlocks: 3
; VGPRBlocks: 3
; NumSGPRsForWavesPerEU: 32
; NumVGPRsForWavesPerEU: 31
; AccumOffset: 32
; Occupancy: 8
; WaveLimiterHint : 0
; COMPUTE_PGM_RSRC2:SCRATCH_EN: 0
; COMPUTE_PGM_RSRC2:USER_SGPR: 6
; COMPUTE_PGM_RSRC2:TRAP_HANDLER: 0
; COMPUTE_PGM_RSRC2:TGID_X_EN: 1
; COMPUTE_PGM_RSRC2:TGID_Y_EN: 0
; COMPUTE_PGM_RSRC2:TGID_Z_EN: 0
; COMPUTE_PGM_RSRC2:TIDIG_COMP_CNT: 0
; COMPUTE_PGM_RSRC3_GFX90A:ACCUM_OFFSET: 7
; COMPUTE_PGM_RSRC3_GFX90A:TG_SPLIT: 0
	.section	.text._ZN5aiter19grouped_topk_kernelIN3c104HalfEDv4_fLi4ELb1ELb0ELb0EEEvPT_PKS4_PfPimiiiif,"axG",@progbits,_ZN5aiter19grouped_topk_kernelIN3c104HalfEDv4_fLi4ELb1ELb0ELb0EEEvPT_PKS4_PfPimiiiif,comdat
	.protected	_ZN5aiter19grouped_topk_kernelIN3c104HalfEDv4_fLi4ELb1ELb0ELb0EEEvPT_PKS4_PfPimiiiif ; -- Begin function _ZN5aiter19grouped_topk_kernelIN3c104HalfEDv4_fLi4ELb1ELb0ELb0EEEvPT_PKS4_PfPimiiiif
	.globl	_ZN5aiter19grouped_topk_kernelIN3c104HalfEDv4_fLi4ELb1ELb0ELb0EEEvPT_PKS4_PfPimiiiif
	.p2align	8
	.type	_ZN5aiter19grouped_topk_kernelIN3c104HalfEDv4_fLi4ELb1ELb0ELb0EEEvPT_PKS4_PfPimiiiif,@function
_ZN5aiter19grouped_topk_kernelIN3c104HalfEDv4_fLi4ELb1ELb0ELb0EEEvPT_PKS4_PfPimiiiif: ; @_ZN5aiter19grouped_topk_kernelIN3c104HalfEDv4_fLi4ELb1ELb0ELb0EEEvPT_PKS4_PfPimiiiif
; %bb.0:
	s_load_dwordx4 s[12:15], s[4:5], 0x28
	s_load_dwordx4 s[16:19], s[4:5], 0x10
	v_lshl_add_u32 v1, v0, 4, 0
	s_waitcnt lgkmcnt(0)
	s_ashr_i32 s0, s12, 31
	s_lshr_b32 s0, s0, 30
	s_add_i32 s0, s12, s0
	s_ashr_i32 s7, s0, 2
	v_cmp_gt_i32_e64 s[0:1], s7, v0
	s_and_saveexec_b64 s[20:21], s[0:1]
	s_cbranch_execz .LBB35_3
; %bb.1:
	s_load_dword s10, s[4:5], 0x4c
	s_load_dwordx2 s[2:3], s[4:5], 0x0
	s_mul_i32 s8, s6, s12
	s_ashr_i32 s9, s8, 31
	s_lshl_b64 s[8:9], s[8:9], 1
	s_waitcnt lgkmcnt(0)
	s_and_b32 s15, s10, 0xffff
	s_add_u32 s2, s2, s8
	v_lshlrev_b32_e32 v2, 3, v0
	s_addc_u32 s3, s3, s9
	s_mov_b32 s10, 0
	v_mov_b32_e32 v3, s3
	v_add_co_u32_e32 v2, vcc, s2, v2
	v_addc_co_u32_e32 v3, vcc, 0, v3, vcc
	s_lshl_b32 s24, s15, 3
	v_lshl_add_u32 v6, v0, 4, 0
	s_lshl_b32 s25, s15, 4
	s_mov_b64 s[22:23], 0
	s_mov_b32 s26, 0x3fb8aa3b
	s_mov_b32 s27, 0x32a5705f
	s_mov_b32 s28, 0xc2ce8ed0
	s_mov_b32 s29, 0x42b17218
	v_mov_b32_e32 v7, 0x7f800000
	v_mov_b32_e32 v8, s10
	;; [unrolled: 1-line block ×3, first 2 shown]
.LBB35_2:                               ; =>This Inner Loop Header: Depth=1
	global_load_dwordx2 v[4:5], v[2:3], off
	v_add_co_u32_e32 v2, vcc, s24, v2
	v_add_u32_e32 v9, s15, v9
	v_addc_co_u32_e32 v3, vcc, v3, v8, vcc
	v_cmp_le_i32_e32 vcc, s7, v9
	s_or_b64 s[22:23], vcc, s[22:23]
	s_waitcnt vmcnt(0)
	v_cvt_f32_f16_e64 v10, -v5
	v_cvt_f32_f16_sdwa v11, -v5 dst_sel:DWORD dst_unused:UNUSED_PAD src0_sel:WORD_1
	v_cvt_f32_f16_e64 v12, -v4
	v_cvt_f32_f16_sdwa v13, -v4 dst_sel:DWORD dst_unused:UNUSED_PAD src0_sel:WORD_1
	v_mul_f32_e32 v14, 0x3fb8aa3b, v10
	v_mul_f32_e32 v15, 0x3fb8aa3b, v11
	;; [unrolled: 1-line block ×4, first 2 shown]
	v_rndne_f32_e32 v18, v14
	v_fma_mix_f32 v19, -v5, s26, -v14 op_sel_hi:[1,0,0]
	v_rndne_f32_e32 v20, v15
	v_fma_mix_f32 v21, -v5, s26, -v15 op_sel:[1,0,0] op_sel_hi:[1,0,0]
	v_rndne_f32_e32 v22, v16
	v_fma_mix_f32 v23, -v4, s26, -v16 op_sel_hi:[1,0,0]
	v_rndne_f32_e32 v24, v17
	v_fma_mix_f32 v25, -v4, s26, -v17 op_sel:[1,0,0] op_sel_hi:[1,0,0]
	v_sub_f32_e32 v14, v14, v18
	v_fma_mix_f32 v19, -v5, s27, v19 op_sel_hi:[1,0,0]
	v_sub_f32_e32 v15, v15, v20
	v_fma_mix_f32 v5, -v5, s27, v21 op_sel:[1,0,0] op_sel_hi:[1,0,0]
	v_sub_f32_e32 v16, v16, v22
	v_fma_mix_f32 v21, -v4, s27, v23 op_sel_hi:[1,0,0]
	v_sub_f32_e32 v17, v17, v24
	v_fma_mix_f32 v4, -v4, s27, v25 op_sel:[1,0,0] op_sel_hi:[1,0,0]
	v_add_f32_e32 v14, v14, v19
	v_add_f32_e32 v5, v15, v5
	v_cvt_i32_f32_e32 v18, v18
	v_cvt_i32_f32_e32 v20, v20
	v_add_f32_e32 v15, v16, v21
	v_add_f32_e32 v4, v17, v4
	v_exp_f32_e32 v14, v14
	v_exp_f32_e32 v5, v5
	v_cvt_i32_f32_e32 v22, v22
	v_cvt_i32_f32_e32 v23, v24
	v_exp_f32_e32 v15, v15
	v_exp_f32_e32 v4, v4
	v_ldexp_f32 v14, v14, v18
	v_ldexp_f32 v5, v5, v20
	v_cmp_ngt_f32_e32 vcc, s28, v11
	v_cmp_ngt_f32_e64 s[10:11], s28, v10
	v_ldexp_f32 v15, v15, v22
	v_cmp_ngt_f32_e64 s[2:3], s28, v12
	v_ldexp_f32 v4, v4, v23
	v_cmp_ngt_f32_e64 s[8:9], s28, v13
	v_cndmask_b32_e64 v14, 0, v14, s[10:11]
	v_cndmask_b32_e32 v5, 0, v5, vcc
	v_cmp_nlt_f32_e32 vcc, s29, v11
	v_cmp_nlt_f32_e64 s[10:11], s29, v10
	v_cndmask_b32_e64 v11, 0, v15, s[2:3]
	v_cmp_nlt_f32_e64 s[2:3], s29, v12
	v_cndmask_b32_e64 v12, 0, v4, s[8:9]
	v_cndmask_b32_e64 v4, v7, v14, s[10:11]
	v_cndmask_b32_e32 v5, v7, v5, vcc
	v_cmp_nlt_f32_e64 s[8:9], s29, v13
	v_pk_add_f32 v[4:5], v[4:5], 1.0 op_sel_hi:[1,0]
	v_cndmask_b32_e64 v10, v7, v11, s[2:3]
	v_cndmask_b32_e64 v11, v7, v12, s[8:9]
	v_div_scale_f32 v12, s[2:3], v5, v5, 1.0
	v_pk_add_f32 v[10:11], v[10:11], 1.0 op_sel_hi:[1,0]
	v_div_scale_f32 v14, s[2:3], v4, v4, 1.0
	v_rcp_f32_e32 v20, v12
	v_div_scale_f32 v16, s[8:9], v11, v11, 1.0
	v_rcp_f32_e32 v21, v14
	;; [unrolled: 2-line block ×3, first 2 shown]
	v_rcp_f32_e32 v23, v18
	v_fma_f32 v24, -v12, v20, 1.0
	v_div_scale_f32 v13, vcc, 1.0, v5, 1.0
	v_fma_f32 v25, -v14, v21, 1.0
	v_fmac_f32_e32 v20, v24, v20
	v_div_scale_f32 v15, s[2:3], 1.0, v4, 1.0
	v_fma_f32 v26, -v16, v22, 1.0
	v_fmac_f32_e32 v21, v25, v21
	v_mul_f32_e32 v24, v13, v20
	v_div_scale_f32 v17, s[8:9], 1.0, v11, 1.0
	v_fma_f32 v27, -v18, v23, 1.0
	v_fmac_f32_e32 v22, v26, v22
	v_mul_f32_e32 v25, v15, v21
	v_fma_f32 v28, -v12, v24, v13
	v_div_scale_f32 v19, s[10:11], 1.0, v10, 1.0
	v_fmac_f32_e32 v23, v27, v23
	v_mul_f32_e32 v26, v17, v22
	v_fma_f32 v29, -v14, v25, v15
	v_fmac_f32_e32 v24, v28, v20
	v_mul_f32_e32 v27, v19, v23
	v_fma_f32 v30, -v16, v26, v17
	v_fmac_f32_e32 v25, v29, v21
	v_fma_f32 v12, -v12, v24, v13
	v_fma_f32 v31, -v18, v27, v19
	v_fmac_f32_e32 v26, v30, v22
	v_fma_f32 v14, -v14, v25, v15
	v_div_fmas_f32 v12, v12, v20, v24
	s_mov_b64 vcc, s[2:3]
	v_fmac_f32_e32 v27, v31, v23
	v_fma_f32 v15, -v16, v26, v17
	v_div_fixup_f32 v13, v12, v5, 1.0
	v_div_fmas_f32 v5, v14, v21, v25
	s_mov_b64 vcc, s[8:9]
	v_fma_f32 v16, -v18, v27, v19
	v_div_fixup_f32 v12, v5, v4, 1.0
	v_div_fmas_f32 v4, v15, v22, v26
	s_mov_b64 vcc, s[10:11]
	v_div_fixup_f32 v11, v4, v11, 1.0
	v_div_fmas_f32 v4, v16, v23, v27
	v_div_fixup_f32 v10, v4, v10, 1.0
	ds_write_b128 v6, v[10:13]
	v_add_u32_e32 v6, s25, v6
	s_andn2_b64 exec, exec, s[22:23]
	s_cbranch_execnz .LBB35_2
.LBB35_3:
	s_or_b64 exec, exec, s[20:21]
	s_lshl_b32 s2, s12, 2
	s_add_i32 s15, s2, 0
	v_cmp_gt_u32_e32 vcc, 4, v0
	s_waitcnt lgkmcnt(0)
	s_barrier
	s_and_saveexec_b64 s[8:9], vcc
	s_cbranch_execz .LBB35_10
; %bb.4:
	s_load_dword s2, s[4:5], 0x4c
	v_mul_lo_u32 v2, v0, s7
	v_lshl_add_u32 v2, v2, 2, 0
	s_waitcnt lgkmcnt(0)
	s_and_b32 s22, s2, 0xffff
	s_cmp_gt_i32 s12, 3
	s_cselect_b64 s[2:3], -1, 0
	s_mul_i32 s10, s7, s22
	v_cndmask_b32_e64 v3, 0, 1, s[2:3]
	s_lshl_b32 s12, s10, 2
	s_mov_b64 s[10:11], 0
	v_cmp_ne_u32_e64 s[2:3], 1, v3
	v_mov_b32_e32 v3, v0
	s_branch .LBB35_6
.LBB35_5:                               ;   in Loop: Header=BB35_6 Depth=1
	v_lshl_add_u32 v5, v3, 2, s15
	v_add_u32_e32 v3, s22, v3
	v_cmp_lt_u32_e32 vcc, 3, v3
	s_or_b64 s[10:11], vcc, s[10:11]
	v_add_u32_e32 v2, s12, v2
	ds_write_b32 v5, v4
	s_andn2_b64 exec, exec, s[10:11]
	s_cbranch_execz .LBB35_10
.LBB35_6:                               ; =>This Loop Header: Depth=1
                                        ;     Child Loop BB35_8 Depth 2
	s_and_b64 vcc, exec, s[2:3]
	v_mov_b32_e32 v4, 0xff800000
	s_cbranch_vccnz .LBB35_5
; %bb.7:                                ;   in Loop: Header=BB35_6 Depth=1
	v_mul_lo_u32 v5, v3, s7
	v_add_u32_e32 v6, s7, v5
	s_mov_b64 s[20:21], 0
	v_mov_b32_e32 v4, 0xff800000
	v_mov_b32_e32 v7, v2
.LBB35_8:                               ;   Parent Loop BB35_6 Depth=1
                                        ; =>  This Inner Loop Header: Depth=2
	ds_read_b32 v8, v7
	v_add_u32_e32 v5, 1, v5
	v_cmp_ge_i32_e32 vcc, v5, v6
	s_or_b64 s[20:21], vcc, s[20:21]
	v_add_u32_e32 v7, 4, v7
	s_waitcnt lgkmcnt(0)
	v_cmp_gt_f32_e32 vcc, v8, v4
	v_cndmask_b32_e32 v4, v4, v8, vcc
	s_andn2_b64 exec, exec, s[20:21]
	s_cbranch_execnz .LBB35_8
; %bb.9:                                ;   in Loop: Header=BB35_6 Depth=1
	s_or_b64 exec, exec, s[20:21]
	s_branch .LBB35_5
.LBB35_10:
	s_or_b64 exec, exec, s[8:9]
	s_cmp_lt_i32 s14, 1
	s_waitcnt lgkmcnt(0)
	s_barrier
	s_cbranch_scc1 .LBB35_13
; %bb.11:
	v_mov_b32_e32 v2, s15
	s_mov_b32 s2, 0xff800000
	v_mov_b32_e32 v3, 0xff800000
.LBB35_12:                              ; =>This Inner Loop Header: Depth=1
	ds_read2_b32 v[4:5], v2 offset1:1
	ds_read2_b32 v[6:7], v2 offset0:2 offset1:3
	s_waitcnt lgkmcnt(1)
	v_cmp_nlg_f32_e32 vcc, s2, v4
	v_cndmask_b32_e64 v8, 0, 1, vcc
	v_cmp_lg_f32_e32 vcc, s2, v4
	v_cndmask_b32_e32 v4, v3, v4, vcc
	v_readfirstlane_b32 s3, v8
	v_cmp_gt_f32_e32 vcc, v5, v4
	s_lshl_b32 s3, s3, 2
	v_cndmask_b32_e32 v4, v4, v5, vcc
	s_and_b64 s[8:9], vcc, exec
	s_waitcnt lgkmcnt(0)
	v_cmp_gt_f32_e32 vcc, v6, v4
	v_cndmask_b32_e32 v4, v4, v6, vcc
	s_cselect_b32 s3, 1, s3
	s_and_b64 s[8:9], vcc, exec
	v_cmp_ngt_f32_e32 vcc, v7, v4
	s_cselect_b32 s3, 2, s3
	s_and_b64 s[8:9], vcc, exec
	s_cselect_b32 s3, s3, 3
	s_lshl_b32 s3, s3, 2
	s_add_i32 s3, s15, s3
	s_add_i32 s14, s14, -1
	v_mov_b32_e32 v4, s3
	s_cmp_lg_u32 s14, 0
	ds_write_b32 v4, v3
	s_cbranch_scc1 .LBB35_12
.LBB35_13:
	v_lshlrev_b32_e32 v6, 2, v0
	s_and_saveexec_b64 s[2:3], s[0:1]
	s_cbranch_execz .LBB35_18
; %bb.14:
	s_abs_i32 s12, s7
	v_cvt_f32_u32_e32 v2, s12
	s_load_dword s10, s[4:5], 0x4c
	s_sub_i32 s11, 0, s12
	s_ashr_i32 s14, s7, 31
	v_rcp_iflag_f32_e32 v2, v2
	v_lshlrev_b32_e32 v7, 2, v0
	s_waitcnt lgkmcnt(0)
	s_and_b32 s20, s10, 0xffff
	v_lshl_add_u32 v8, v0, 4, 0
	v_mul_f32_e32 v2, 0x4f7ffffe, v2
	v_cvt_u32_f32_e32 v2, v2
	s_mov_b64 s[8:9], 0
	s_lshl_b32 s21, s20, 2
	s_lshl_b32 s22, s20, 4
	v_mul_lo_u32 v3, s11, v2
	v_mul_hi_u32 v3, v2, v3
	v_add_u32_e32 v9, v2, v3
	s_mov_b32 s23, 0xff800000
	v_mov_b32_e32 v2, 0xff800000
	v_mov_b32_e32 v10, v0
	s_branch .LBB35_16
.LBB35_15:                              ;   in Loop: Header=BB35_16 Depth=1
	s_or_b64 exec, exec, s[10:11]
	v_add_u32_e32 v10, s20, v10
	v_cmp_le_i32_e32 vcc, s7, v10
	v_add_u32_e32 v7, s21, v7
	s_or_b64 s[8:9], vcc, s[8:9]
	v_add_u32_e32 v8, s22, v8
	s_andn2_b64 exec, exec, s[8:9]
	s_cbranch_execz .LBB35_18
.LBB35_16:                              ; =>This Inner Loop Header: Depth=1
	v_mul_hi_u32 v3, v7, v9
	v_mul_lo_u32 v4, v3, s12
	v_sub_u32_e32 v4, v7, v4
	v_add_u32_e32 v5, 1, v3
	v_cmp_le_u32_e32 vcc, s12, v4
	v_cndmask_b32_e32 v3, v3, v5, vcc
	v_subrev_u32_e32 v5, s12, v4
	v_cndmask_b32_e32 v4, v4, v5, vcc
	v_add_u32_e32 v5, 1, v3
	v_cmp_le_u32_e32 vcc, s12, v4
	v_cndmask_b32_e32 v3, v3, v5, vcc
	v_xor_b32_e32 v3, s14, v3
	v_subrev_u32_e32 v3, s14, v3
	v_lshl_add_u32 v3, v3, 2, s15
	ds_read_b32 v3, v3
	s_waitcnt lgkmcnt(0)
	v_cmp_neq_f32_e32 vcc, s23, v3
	s_and_saveexec_b64 s[10:11], vcc
	s_cbranch_execz .LBB35_15
; %bb.17:                               ;   in Loop: Header=BB35_16 Depth=1
	v_mov_b32_e32 v3, v2
	v_mov_b32_e32 v4, v2
	v_mov_b32_e32 v5, v2
	ds_write_b128 v8, v[2:5]
	s_branch .LBB35_15
.LBB35_18:
	s_or_b64 exec, exec, s[2:3]
	s_cmp_lt_i32 s13, 1
	s_waitcnt lgkmcnt(0)
	s_barrier
	s_cbranch_scc1 .LBB35_25
; %bb.19:
	s_add_u32 s2, s4, 64
	s_addc_u32 s3, s5, 0
	s_mov_b32 s12, 0
	v_mov_b32_e32 v3, 0
	v_mov_b32_e32 v5, 0xff800000
                                        ; implicit-def: $vgpr4
                                        ; implicit-def: $vgpr2
	s_branch .LBB35_21
.LBB35_20:                              ;   in Loop: Header=BB35_21 Depth=1
	s_or_b64 exec, exec, s[8:9]
	v_mov_b32_dpp v10, v8 quad_perm:[1,0,3,2] row_mask:0xf bank_mask:0xf
	v_cmp_lt_f32_e32 vcc, v8, v10
	v_cndmask_b32_e32 v8, v8, v10, vcc
	v_mov_b32_dpp v9, v7 quad_perm:[1,0,3,2] row_mask:0xf bank_mask:0xf
	v_cndmask_b32_e32 v7, v7, v9, vcc
	v_mov_b32_dpp v10, v8 quad_perm:[2,3,0,1] row_mask:0xf bank_mask:0xf
	v_cmp_gt_f32_e32 vcc, v10, v8
	v_cndmask_b32_e32 v8, v8, v10, vcc
	v_mov_b32_dpp v9, v7 quad_perm:[2,3,0,1] row_mask:0xf bank_mask:0xf
	v_cndmask_b32_e32 v7, v7, v9, vcc
	v_mov_b32_dpp v10, v8 row_half_mirror row_mask:0xf bank_mask:0xf
	v_cmp_gt_f32_e32 vcc, v10, v8
	v_cndmask_b32_e32 v8, v8, v10, vcc
	v_mov_b32_dpp v9, v7 row_half_mirror row_mask:0xf bank_mask:0xf
	v_cndmask_b32_e32 v7, v7, v9, vcc
	v_mov_b32_dpp v10, v8 row_mirror row_mask:0xf bank_mask:0xf
	v_cmp_gt_f32_e32 vcc, v10, v8
	v_cndmask_b32_e32 v8, v8, v10, vcc
	v_mov_b32_dpp v9, v7 row_mirror row_mask:0xf bank_mask:0xf
	v_cndmask_b32_e32 v7, v7, v9, vcc
	v_mov_b32_dpp v10, v8 row_bcast:15 row_mask:0xf bank_mask:0xf
	v_cmp_gt_f32_e32 vcc, v10, v8
	v_mov_b32_dpp v9, v7 row_bcast:15 row_mask:0xf bank_mask:0xf
	v_cndmask_b32_e32 v8, v8, v10, vcc
	v_cndmask_b32_e32 v7, v7, v9, vcc
	s_nop 0
	v_mov_b32_dpp v10, v8 row_bcast:31 row_mask:0xf bank_mask:0xf
	v_mov_b32_dpp v9, v7 row_bcast:31 row_mask:0xf bank_mask:0xf
	v_cmp_gt_f32_e32 vcc, v10, v8
	v_cndmask_b32_e32 v7, v7, v9, vcc
	v_readlane_b32 s9, v7, 63
	s_lshl_b32 s10, s9, 2
	s_add_i32 s10, s10, 0
	v_cndmask_b32_e32 v8, v8, v10, vcc
	v_mov_b32_e32 v7, s10
	v_readlane_b32 s8, v8, 63
	ds_write_b32 v7, v5
	v_mov_b32_e32 v7, s9
	v_cmp_eq_u32_e32 vcc, s12, v0
	v_cndmask_b32_e32 v2, v2, v7, vcc
	v_mov_b32_e32 v7, s8
	s_add_i32 s12, s12, 1
	v_cndmask_b32_e32 v4, v4, v7, vcc
	s_cmp_eq_u32 s12, s13
	v_add_f32_e32 v3, s8, v3
	s_cbranch_scc1 .LBB35_26
.LBB35_21:                              ; =>This Loop Header: Depth=1
                                        ;     Child Loop BB35_23 Depth 2
	v_mov_b32_e32 v7, s12
	v_mov_b32_e32 v8, 0xff800000
	s_and_saveexec_b64 s[8:9], s[0:1]
	s_cbranch_execz .LBB35_20
; %bb.22:                               ;   in Loop: Header=BB35_21 Depth=1
	s_load_dword s14, s[2:3], 0xc
	s_mov_b64 s[10:11], 0
	v_mov_b32_e32 v7, s12
	v_mov_b32_e32 v8, 0xff800000
	;; [unrolled: 1-line block ×3, first 2 shown]
	s_waitcnt lgkmcnt(0)
	s_and_b32 s14, s14, 0xffff
	s_lshl_b32 s15, s14, 2
	s_lshl_b32 s20, s14, 4
	v_mov_b32_e32 v10, v6
	v_mov_b32_e32 v11, v0
.LBB35_23:                              ;   Parent Loop BB35_21 Depth=1
                                        ; =>  This Inner Loop Header: Depth=2
	ds_read_b128 v[12:15], v9
	v_add_u32_e32 v11, s14, v11
	v_cmp_le_i32_e32 vcc, s7, v11
	s_or_b64 s[10:11], vcc, s[10:11]
	v_add_u32_e32 v16, 1, v10
	s_waitcnt lgkmcnt(0)
	v_cmp_gt_f32_e32 vcc, v12, v8
	v_cndmask_b32_e32 v8, v8, v12, vcc
	v_cndmask_b32_e32 v7, v7, v10, vcc
	v_cmp_gt_f32_e32 vcc, v13, v8
	v_cndmask_b32_e32 v8, v8, v13, vcc
	v_cndmask_b32_e32 v7, v7, v16, vcc
	v_cmp_gt_f32_e32 vcc, v14, v8
	v_add_u32_e32 v17, 2, v10
	v_cndmask_b32_e32 v8, v8, v14, vcc
	v_add_u32_e32 v18, 3, v10
	v_cndmask_b32_e32 v7, v7, v17, vcc
	v_cmp_gt_f32_e32 vcc, v15, v8
	v_add_u32_e32 v9, s20, v9
	v_add_u32_e32 v10, s15, v10
	v_cndmask_b32_e32 v8, v8, v15, vcc
	v_cndmask_b32_e32 v7, v7, v18, vcc
	s_andn2_b64 exec, exec, s[10:11]
	s_cbranch_execnz .LBB35_23
; %bb.24:                               ;   in Loop: Header=BB35_21 Depth=1
	s_or_b64 exec, exec, s[10:11]
	s_branch .LBB35_20
.LBB35_25:
	v_mov_b32_e32 v3, 0
                                        ; implicit-def: $vgpr4
                                        ; implicit-def: $vgpr2
.LBB35_26:
	v_cmp_gt_i32_e32 vcc, s13, v0
	s_and_saveexec_b64 s[0:1], vcc
	s_cbranch_execz .LBB35_29
; %bb.27:
	s_load_dword s7, s[4:5], 0x38
	s_load_dwordx2 s[0:1], s[4:5], 0x20
	s_load_dword s8, s[4:5], 0x4c
	s_waitcnt lgkmcnt(0)
	v_div_scale_f32 v1, s[2:3], v3, v3, s7
	v_rcp_f32_e32 v5, v1
	v_div_scale_f32 v6, vcc, s7, v3, s7
	s_ashr_i32 s2, s6, 31
	v_fma_f32 v7, -v1, v5, 1.0
	v_fmac_f32_e32 v5, v7, v5
	v_mul_f32_e32 v7, v6, v5
	v_fma_f32 v8, -v1, v7, v6
	v_fmac_f32_e32 v7, v8, v5
	v_fma_f32 v1, -v1, v7, v6
	s_mul_i32 s1, s6, s1
	s_mul_hi_u32 s3, s6, s0
	v_div_fmas_f32 v1, v1, v5, v7
	s_add_i32 s1, s3, s1
	s_mul_i32 s2, s2, s0
	v_div_fixup_f32 v1, v1, v3, s7
	s_add_i32 s4, s1, s2
	v_mul_f32_e32 v1, v1, v4
	s_mul_i32 s2, s6, s0
	s_and_b32 s3, s8, 0xffff
	s_mov_b64 s[0:1], 0
	v_mov_b32_e32 v3, s4
	v_mov_b32_e32 v4, s17
	;; [unrolled: 1-line block ×3, first 2 shown]
.LBB35_28:                              ; =>This Inner Loop Header: Depth=1
	v_ashrrev_i32_e32 v7, 31, v0
	v_add_co_u32_e32 v6, vcc, s2, v0
	v_addc_co_u32_e32 v7, vcc, v3, v7, vcc
	v_add_u32_e32 v0, s3, v0
	v_cmp_le_i32_e32 vcc, s13, v0
	v_lshlrev_b64 v[6:7], 2, v[6:7]
	s_or_b64 s[0:1], vcc, s[0:1]
	v_add_co_u32_e32 v8, vcc, s16, v6
	v_addc_co_u32_e32 v9, vcc, v4, v7, vcc
	v_add_co_u32_e32 v6, vcc, s18, v6
	v_addc_co_u32_e32 v7, vcc, v5, v7, vcc
	global_store_dword v[8:9], v1, off
	global_store_dword v[6:7], v2, off
	s_andn2_b64 exec, exec, s[0:1]
	s_cbranch_execnz .LBB35_28
.LBB35_29:
	s_endpgm
	.section	.rodata,"a",@progbits
	.p2align	6, 0x0
	.amdhsa_kernel _ZN5aiter19grouped_topk_kernelIN3c104HalfEDv4_fLi4ELb1ELb0ELb0EEEvPT_PKS4_PfPimiiiif
		.amdhsa_group_segment_fixed_size 0
		.amdhsa_private_segment_fixed_size 0
		.amdhsa_kernarg_size 320
		.amdhsa_user_sgpr_count 6
		.amdhsa_user_sgpr_private_segment_buffer 1
		.amdhsa_user_sgpr_dispatch_ptr 0
		.amdhsa_user_sgpr_queue_ptr 0
		.amdhsa_user_sgpr_kernarg_segment_ptr 1
		.amdhsa_user_sgpr_dispatch_id 0
		.amdhsa_user_sgpr_flat_scratch_init 0
		.amdhsa_user_sgpr_kernarg_preload_length 0
		.amdhsa_user_sgpr_kernarg_preload_offset 0
		.amdhsa_user_sgpr_private_segment_size 0
		.amdhsa_uses_dynamic_stack 0
		.amdhsa_system_sgpr_private_segment_wavefront_offset 0
		.amdhsa_system_sgpr_workgroup_id_x 1
		.amdhsa_system_sgpr_workgroup_id_y 0
		.amdhsa_system_sgpr_workgroup_id_z 0
		.amdhsa_system_sgpr_workgroup_info 0
		.amdhsa_system_vgpr_workitem_id 0
		.amdhsa_next_free_vgpr 32
		.amdhsa_next_free_sgpr 30
		.amdhsa_accum_offset 32
		.amdhsa_reserve_vcc 1
		.amdhsa_reserve_flat_scratch 0
		.amdhsa_float_round_mode_32 0
		.amdhsa_float_round_mode_16_64 0
		.amdhsa_float_denorm_mode_32 3
		.amdhsa_float_denorm_mode_16_64 3
		.amdhsa_dx10_clamp 1
		.amdhsa_ieee_mode 1
		.amdhsa_fp16_overflow 0
		.amdhsa_tg_split 0
		.amdhsa_exception_fp_ieee_invalid_op 0
		.amdhsa_exception_fp_denorm_src 0
		.amdhsa_exception_fp_ieee_div_zero 0
		.amdhsa_exception_fp_ieee_overflow 0
		.amdhsa_exception_fp_ieee_underflow 0
		.amdhsa_exception_fp_ieee_inexact 0
		.amdhsa_exception_int_div_zero 0
	.end_amdhsa_kernel
	.section	.text._ZN5aiter19grouped_topk_kernelIN3c104HalfEDv4_fLi4ELb1ELb0ELb0EEEvPT_PKS4_PfPimiiiif,"axG",@progbits,_ZN5aiter19grouped_topk_kernelIN3c104HalfEDv4_fLi4ELb1ELb0ELb0EEEvPT_PKS4_PfPimiiiif,comdat
.Lfunc_end35:
	.size	_ZN5aiter19grouped_topk_kernelIN3c104HalfEDv4_fLi4ELb1ELb0ELb0EEEvPT_PKS4_PfPimiiiif, .Lfunc_end35-_ZN5aiter19grouped_topk_kernelIN3c104HalfEDv4_fLi4ELb1ELb0ELb0EEEvPT_PKS4_PfPimiiiif
                                        ; -- End function
	.section	.AMDGPU.csdata,"",@progbits
; Kernel info:
; codeLenInByte = 2340
; NumSgprs: 34
; NumVgprs: 32
; NumAgprs: 0
; TotalNumVgprs: 32
; ScratchSize: 0
; MemoryBound: 0
; FloatMode: 240
; IeeeMode: 1
; LDSByteSize: 0 bytes/workgroup (compile time only)
; SGPRBlocks: 4
; VGPRBlocks: 3
; NumSGPRsForWavesPerEU: 34
; NumVGPRsForWavesPerEU: 32
; AccumOffset: 32
; Occupancy: 8
; WaveLimiterHint : 0
; COMPUTE_PGM_RSRC2:SCRATCH_EN: 0
; COMPUTE_PGM_RSRC2:USER_SGPR: 6
; COMPUTE_PGM_RSRC2:TRAP_HANDLER: 0
; COMPUTE_PGM_RSRC2:TGID_X_EN: 1
; COMPUTE_PGM_RSRC2:TGID_Y_EN: 0
; COMPUTE_PGM_RSRC2:TGID_Z_EN: 0
; COMPUTE_PGM_RSRC2:TIDIG_COMP_CNT: 0
; COMPUTE_PGM_RSRC3_GFX90A:ACCUM_OFFSET: 7
; COMPUTE_PGM_RSRC3_GFX90A:TG_SPLIT: 0
	.section	.text._ZN5aiter19grouped_topk_kernelIN3c108BFloat16EDv4_fLi4ELb1ELb0ELb0EEEvPT_PKS4_PfPimiiiif,"axG",@progbits,_ZN5aiter19grouped_topk_kernelIN3c108BFloat16EDv4_fLi4ELb1ELb0ELb0EEEvPT_PKS4_PfPimiiiif,comdat
	.protected	_ZN5aiter19grouped_topk_kernelIN3c108BFloat16EDv4_fLi4ELb1ELb0ELb0EEEvPT_PKS4_PfPimiiiif ; -- Begin function _ZN5aiter19grouped_topk_kernelIN3c108BFloat16EDv4_fLi4ELb1ELb0ELb0EEEvPT_PKS4_PfPimiiiif
	.globl	_ZN5aiter19grouped_topk_kernelIN3c108BFloat16EDv4_fLi4ELb1ELb0ELb0EEEvPT_PKS4_PfPimiiiif
	.p2align	8
	.type	_ZN5aiter19grouped_topk_kernelIN3c108BFloat16EDv4_fLi4ELb1ELb0ELb0EEEvPT_PKS4_PfPimiiiif,@function
_ZN5aiter19grouped_topk_kernelIN3c108BFloat16EDv4_fLi4ELb1ELb0ELb0EEEvPT_PKS4_PfPimiiiif: ; @_ZN5aiter19grouped_topk_kernelIN3c108BFloat16EDv4_fLi4ELb1ELb0ELb0EEEvPT_PKS4_PfPimiiiif
; %bb.0:
	s_load_dwordx4 s[12:15], s[4:5], 0x28
	s_load_dwordx4 s[16:19], s[4:5], 0x10
	v_lshl_add_u32 v1, v0, 4, 0
	s_waitcnt lgkmcnt(0)
	s_ashr_i32 s0, s12, 31
	s_lshr_b32 s0, s0, 30
	s_add_i32 s0, s12, s0
	s_ashr_i32 s7, s0, 2
	v_cmp_gt_i32_e64 s[0:1], s7, v0
	s_and_saveexec_b64 s[20:21], s[0:1]
	s_cbranch_execz .LBB36_3
; %bb.1:
	s_load_dword s10, s[4:5], 0x4c
	s_load_dwordx2 s[2:3], s[4:5], 0x0
	s_mul_i32 s8, s6, s12
	s_ashr_i32 s9, s8, 31
	s_lshl_b64 s[8:9], s[8:9], 1
	s_waitcnt lgkmcnt(0)
	s_and_b32 s15, s10, 0xffff
	s_add_u32 s2, s2, s8
	v_lshlrev_b32_e32 v2, 3, v0
	s_addc_u32 s3, s3, s9
	s_mov_b32 s10, 0
	v_mov_b32_e32 v3, s3
	v_add_co_u32_e32 v2, vcc, s2, v2
	v_addc_co_u32_e32 v3, vcc, 0, v3, vcc
	s_lshl_b32 s24, s15, 3
	v_lshl_add_u32 v6, v0, 4, 0
	s_lshl_b32 s25, s15, 4
	s_mov_b64 s[22:23], 0
	s_mov_b32 s26, 0xbfb8aa3b
	s_mov_b32 s27, 0x42ce8ed0
	s_mov_b32 s28, 0xc2b17218
	v_mov_b32_e32 v7, 0x7f800000
	v_mov_b32_e32 v8, s10
	;; [unrolled: 1-line block ×3, first 2 shown]
.LBB36_2:                               ; =>This Inner Loop Header: Depth=1
	global_load_dwordx2 v[4:5], v[2:3], off
	v_add_co_u32_e32 v2, vcc, s24, v2
	v_add_u32_e32 v9, s15, v9
	v_addc_co_u32_e32 v3, vcc, v3, v8, vcc
	v_cmp_le_i32_e32 vcc, s7, v9
	s_or_b64 s[22:23], vcc, s[22:23]
	s_waitcnt vmcnt(0)
	v_cvt_f32_u32_sdwa v10, v5 dst_sel:DWORD dst_unused:UNUSED_PAD src0_sel:WORD_1
	v_cvt_f32_u32_sdwa v5, v5 dst_sel:DWORD dst_unused:UNUSED_PAD src0_sel:WORD_0
	v_cvt_f32_u32_sdwa v11, v4 dst_sel:DWORD dst_unused:UNUSED_PAD src0_sel:WORD_1
	v_cvt_f32_u32_sdwa v4, v4 dst_sel:DWORD dst_unused:UNUSED_PAD src0_sel:WORD_0
	v_mul_f32_e32 v12, 0xbfb8aa3b, v10
	v_mul_f32_e32 v13, 0xbfb8aa3b, v5
	v_fma_f32 v16, v10, s26, -v12
	v_mul_f32_e32 v15, 0xbfb8aa3b, v4
	v_rndne_f32_e32 v17, v12
	v_fma_f32 v18, v5, s26, -v13
	v_rndne_f32_e32 v19, v13
	v_mul_f32_e32 v14, 0xbfb8aa3b, v11
	v_fma_f32 v22, v4, s26, -v15
	v_rndne_f32_e32 v23, v15
	v_fmac_f32_e32 v16, 0xb2a5705f, v10
	v_sub_f32_e32 v12, v12, v17
	v_fmac_f32_e32 v18, 0xb2a5705f, v5
	v_sub_f32_e32 v13, v13, v19
	v_fma_f32 v20, v11, s26, -v14
	v_rndne_f32_e32 v21, v14
	v_fmac_f32_e32 v22, 0xb2a5705f, v4
	v_sub_f32_e32 v15, v15, v23
	v_add_f32_e32 v12, v12, v16
	v_add_f32_e32 v13, v13, v18
	v_cvt_i32_f32_e32 v17, v17
	v_cvt_i32_f32_e32 v19, v19
	v_fmac_f32_e32 v20, 0xb2a5705f, v11
	v_sub_f32_e32 v14, v14, v21
	v_add_f32_e32 v15, v15, v22
	v_exp_f32_e32 v12, v12
	v_exp_f32_e32 v13, v13
	v_cvt_i32_f32_e32 v23, v23
	v_add_f32_e32 v14, v14, v20
	v_exp_f32_e32 v15, v15
	v_cvt_i32_f32_e32 v21, v21
	v_exp_f32_e32 v14, v14
	v_ldexp_f32 v12, v12, v17
	v_ldexp_f32 v13, v13, v19
	v_cmp_nlt_f32_e32 vcc, s27, v5
	v_cmp_nlt_f32_e64 s[10:11], s27, v10
	v_ldexp_f32 v15, v15, v23
	v_cmp_nlt_f32_e64 s[8:9], s27, v4
	v_cndmask_b32_e64 v12, 0, v12, s[10:11]
	v_cndmask_b32_e32 v13, 0, v13, vcc
	v_cmp_ngt_f32_e32 vcc, s28, v5
	v_cmp_ngt_f32_e64 s[10:11], s28, v10
	v_ldexp_f32 v14, v14, v21
	v_cmp_nlt_f32_e64 s[2:3], s27, v11
	v_cndmask_b32_e64 v15, 0, v15, s[8:9]
	v_cmp_ngt_f32_e64 s[8:9], s28, v4
	v_cndmask_b32_e64 v5, v7, v12, s[10:11]
	v_cndmask_b32_e32 v4, v7, v13, vcc
	v_cndmask_b32_e64 v14, 0, v14, s[2:3]
	v_cmp_ngt_f32_e64 s[2:3], s28, v11
	v_pk_add_f32 v[4:5], v[4:5], 1.0 op_sel_hi:[1,0]
	v_cndmask_b32_e64 v11, v7, v14, s[2:3]
	v_cndmask_b32_e64 v10, v7, v15, s[8:9]
	v_div_scale_f32 v12, s[2:3], v5, v5, 1.0
	v_pk_add_f32 v[10:11], v[10:11], 1.0 op_sel_hi:[1,0]
	v_div_scale_f32 v14, s[2:3], v4, v4, 1.0
	v_rcp_f32_e32 v20, v12
	v_div_scale_f32 v16, s[8:9], v11, v11, 1.0
	v_rcp_f32_e32 v21, v14
	;; [unrolled: 2-line block ×3, first 2 shown]
	v_rcp_f32_e32 v23, v18
	v_fma_f32 v24, -v12, v20, 1.0
	v_div_scale_f32 v13, vcc, 1.0, v5, 1.0
	v_fma_f32 v25, -v14, v21, 1.0
	v_fmac_f32_e32 v20, v24, v20
	v_div_scale_f32 v15, s[2:3], 1.0, v4, 1.0
	v_fma_f32 v26, -v16, v22, 1.0
	v_fmac_f32_e32 v21, v25, v21
	v_mul_f32_e32 v24, v13, v20
	v_div_scale_f32 v17, s[8:9], 1.0, v11, 1.0
	v_fma_f32 v27, -v18, v23, 1.0
	v_fmac_f32_e32 v22, v26, v22
	v_mul_f32_e32 v25, v15, v21
	v_fma_f32 v28, -v12, v24, v13
	v_div_scale_f32 v19, s[10:11], 1.0, v10, 1.0
	v_fmac_f32_e32 v23, v27, v23
	v_mul_f32_e32 v26, v17, v22
	v_fma_f32 v29, -v14, v25, v15
	v_fmac_f32_e32 v24, v28, v20
	v_mul_f32_e32 v27, v19, v23
	v_fma_f32 v30, -v16, v26, v17
	v_fmac_f32_e32 v25, v29, v21
	v_fma_f32 v12, -v12, v24, v13
	v_fma_f32 v31, -v18, v27, v19
	v_fmac_f32_e32 v26, v30, v22
	v_fma_f32 v14, -v14, v25, v15
	v_div_fmas_f32 v12, v12, v20, v24
	s_mov_b64 vcc, s[2:3]
	v_fmac_f32_e32 v27, v31, v23
	v_fma_f32 v15, -v16, v26, v17
	v_div_fixup_f32 v13, v12, v5, 1.0
	v_div_fmas_f32 v5, v14, v21, v25
	s_mov_b64 vcc, s[8:9]
	v_fma_f32 v16, -v18, v27, v19
	v_div_fixup_f32 v12, v5, v4, 1.0
	v_div_fmas_f32 v4, v15, v22, v26
	s_mov_b64 vcc, s[10:11]
	v_div_fixup_f32 v11, v4, v11, 1.0
	v_div_fmas_f32 v4, v16, v23, v27
	v_div_fixup_f32 v10, v4, v10, 1.0
	ds_write_b128 v6, v[10:13]
	v_add_u32_e32 v6, s25, v6
	s_andn2_b64 exec, exec, s[22:23]
	s_cbranch_execnz .LBB36_2
.LBB36_3:
	s_or_b64 exec, exec, s[20:21]
	s_lshl_b32 s2, s12, 2
	s_add_i32 s15, s2, 0
	v_cmp_gt_u32_e32 vcc, 4, v0
	s_waitcnt lgkmcnt(0)
	s_barrier
	s_and_saveexec_b64 s[8:9], vcc
	s_cbranch_execz .LBB36_10
; %bb.4:
	s_load_dword s2, s[4:5], 0x4c
	v_mul_lo_u32 v2, v0, s7
	v_lshl_add_u32 v2, v2, 2, 0
	s_waitcnt lgkmcnt(0)
	s_and_b32 s22, s2, 0xffff
	s_cmp_gt_i32 s12, 3
	s_cselect_b64 s[2:3], -1, 0
	s_mul_i32 s10, s7, s22
	v_cndmask_b32_e64 v3, 0, 1, s[2:3]
	s_lshl_b32 s12, s10, 2
	s_mov_b64 s[10:11], 0
	v_cmp_ne_u32_e64 s[2:3], 1, v3
	v_mov_b32_e32 v3, v0
	s_branch .LBB36_6
.LBB36_5:                               ;   in Loop: Header=BB36_6 Depth=1
	v_lshl_add_u32 v5, v3, 2, s15
	v_add_u32_e32 v3, s22, v3
	v_cmp_lt_u32_e32 vcc, 3, v3
	s_or_b64 s[10:11], vcc, s[10:11]
	v_add_u32_e32 v2, s12, v2
	ds_write_b32 v5, v4
	s_andn2_b64 exec, exec, s[10:11]
	s_cbranch_execz .LBB36_10
.LBB36_6:                               ; =>This Loop Header: Depth=1
                                        ;     Child Loop BB36_8 Depth 2
	s_and_b64 vcc, exec, s[2:3]
	v_mov_b32_e32 v4, 0xff800000
	s_cbranch_vccnz .LBB36_5
; %bb.7:                                ;   in Loop: Header=BB36_6 Depth=1
	v_mul_lo_u32 v5, v3, s7
	v_add_u32_e32 v6, s7, v5
	s_mov_b64 s[20:21], 0
	v_mov_b32_e32 v4, 0xff800000
	v_mov_b32_e32 v7, v2
.LBB36_8:                               ;   Parent Loop BB36_6 Depth=1
                                        ; =>  This Inner Loop Header: Depth=2
	ds_read_b32 v8, v7
	v_add_u32_e32 v5, 1, v5
	v_cmp_ge_i32_e32 vcc, v5, v6
	s_or_b64 s[20:21], vcc, s[20:21]
	v_add_u32_e32 v7, 4, v7
	s_waitcnt lgkmcnt(0)
	v_cmp_gt_f32_e32 vcc, v8, v4
	v_cndmask_b32_e32 v4, v4, v8, vcc
	s_andn2_b64 exec, exec, s[20:21]
	s_cbranch_execnz .LBB36_8
; %bb.9:                                ;   in Loop: Header=BB36_6 Depth=1
	s_or_b64 exec, exec, s[20:21]
	s_branch .LBB36_5
.LBB36_10:
	s_or_b64 exec, exec, s[8:9]
	s_cmp_lt_i32 s14, 1
	s_waitcnt lgkmcnt(0)
	s_barrier
	s_cbranch_scc1 .LBB36_13
; %bb.11:
	v_mov_b32_e32 v2, s15
	s_mov_b32 s2, 0xff800000
	v_mov_b32_e32 v3, 0xff800000
.LBB36_12:                              ; =>This Inner Loop Header: Depth=1
	ds_read2_b32 v[4:5], v2 offset1:1
	ds_read2_b32 v[6:7], v2 offset0:2 offset1:3
	s_waitcnt lgkmcnt(1)
	v_cmp_nlg_f32_e32 vcc, s2, v4
	v_cndmask_b32_e64 v8, 0, 1, vcc
	v_cmp_lg_f32_e32 vcc, s2, v4
	v_cndmask_b32_e32 v4, v3, v4, vcc
	v_readfirstlane_b32 s3, v8
	v_cmp_gt_f32_e32 vcc, v5, v4
	s_lshl_b32 s3, s3, 2
	v_cndmask_b32_e32 v4, v4, v5, vcc
	s_and_b64 s[8:9], vcc, exec
	s_waitcnt lgkmcnt(0)
	v_cmp_gt_f32_e32 vcc, v6, v4
	v_cndmask_b32_e32 v4, v4, v6, vcc
	s_cselect_b32 s3, 1, s3
	s_and_b64 s[8:9], vcc, exec
	v_cmp_ngt_f32_e32 vcc, v7, v4
	s_cselect_b32 s3, 2, s3
	s_and_b64 s[8:9], vcc, exec
	s_cselect_b32 s3, s3, 3
	s_lshl_b32 s3, s3, 2
	s_add_i32 s3, s15, s3
	s_add_i32 s14, s14, -1
	v_mov_b32_e32 v4, s3
	s_cmp_lg_u32 s14, 0
	ds_write_b32 v4, v3
	s_cbranch_scc1 .LBB36_12
.LBB36_13:
	v_lshlrev_b32_e32 v6, 2, v0
	s_and_saveexec_b64 s[2:3], s[0:1]
	s_cbranch_execz .LBB36_18
; %bb.14:
	s_abs_i32 s12, s7
	v_cvt_f32_u32_e32 v2, s12
	s_load_dword s10, s[4:5], 0x4c
	s_sub_i32 s11, 0, s12
	s_ashr_i32 s14, s7, 31
	v_rcp_iflag_f32_e32 v2, v2
	v_lshlrev_b32_e32 v7, 2, v0
	s_waitcnt lgkmcnt(0)
	s_and_b32 s20, s10, 0xffff
	v_lshl_add_u32 v8, v0, 4, 0
	v_mul_f32_e32 v2, 0x4f7ffffe, v2
	v_cvt_u32_f32_e32 v2, v2
	s_mov_b64 s[8:9], 0
	s_lshl_b32 s21, s20, 2
	s_lshl_b32 s22, s20, 4
	v_mul_lo_u32 v3, s11, v2
	v_mul_hi_u32 v3, v2, v3
	v_add_u32_e32 v9, v2, v3
	s_mov_b32 s23, 0xff800000
	v_mov_b32_e32 v2, 0xff800000
	v_mov_b32_e32 v10, v0
	s_branch .LBB36_16
.LBB36_15:                              ;   in Loop: Header=BB36_16 Depth=1
	s_or_b64 exec, exec, s[10:11]
	v_add_u32_e32 v10, s20, v10
	v_cmp_le_i32_e32 vcc, s7, v10
	v_add_u32_e32 v7, s21, v7
	s_or_b64 s[8:9], vcc, s[8:9]
	v_add_u32_e32 v8, s22, v8
	s_andn2_b64 exec, exec, s[8:9]
	s_cbranch_execz .LBB36_18
.LBB36_16:                              ; =>This Inner Loop Header: Depth=1
	v_mul_hi_u32 v3, v7, v9
	v_mul_lo_u32 v4, v3, s12
	v_sub_u32_e32 v4, v7, v4
	v_add_u32_e32 v5, 1, v3
	v_cmp_le_u32_e32 vcc, s12, v4
	v_cndmask_b32_e32 v3, v3, v5, vcc
	v_subrev_u32_e32 v5, s12, v4
	v_cndmask_b32_e32 v4, v4, v5, vcc
	v_add_u32_e32 v5, 1, v3
	v_cmp_le_u32_e32 vcc, s12, v4
	v_cndmask_b32_e32 v3, v3, v5, vcc
	v_xor_b32_e32 v3, s14, v3
	v_subrev_u32_e32 v3, s14, v3
	v_lshl_add_u32 v3, v3, 2, s15
	ds_read_b32 v3, v3
	s_waitcnt lgkmcnt(0)
	v_cmp_neq_f32_e32 vcc, s23, v3
	s_and_saveexec_b64 s[10:11], vcc
	s_cbranch_execz .LBB36_15
; %bb.17:                               ;   in Loop: Header=BB36_16 Depth=1
	v_mov_b32_e32 v3, v2
	v_mov_b32_e32 v4, v2
	;; [unrolled: 1-line block ×3, first 2 shown]
	ds_write_b128 v8, v[2:5]
	s_branch .LBB36_15
.LBB36_18:
	s_or_b64 exec, exec, s[2:3]
	s_cmp_lt_i32 s13, 1
	s_waitcnt lgkmcnt(0)
	s_barrier
	s_cbranch_scc1 .LBB36_25
; %bb.19:
	s_add_u32 s2, s4, 64
	s_addc_u32 s3, s5, 0
	s_mov_b32 s12, 0
	v_mov_b32_e32 v3, 0
	v_mov_b32_e32 v5, 0xff800000
                                        ; implicit-def: $vgpr4
                                        ; implicit-def: $vgpr2
	s_branch .LBB36_21
.LBB36_20:                              ;   in Loop: Header=BB36_21 Depth=1
	s_or_b64 exec, exec, s[8:9]
	v_mov_b32_dpp v10, v8 quad_perm:[1,0,3,2] row_mask:0xf bank_mask:0xf
	v_cmp_lt_f32_e32 vcc, v8, v10
	v_cndmask_b32_e32 v8, v8, v10, vcc
	v_mov_b32_dpp v9, v7 quad_perm:[1,0,3,2] row_mask:0xf bank_mask:0xf
	v_cndmask_b32_e32 v7, v7, v9, vcc
	v_mov_b32_dpp v10, v8 quad_perm:[2,3,0,1] row_mask:0xf bank_mask:0xf
	v_cmp_gt_f32_e32 vcc, v10, v8
	v_cndmask_b32_e32 v8, v8, v10, vcc
	v_mov_b32_dpp v9, v7 quad_perm:[2,3,0,1] row_mask:0xf bank_mask:0xf
	v_cndmask_b32_e32 v7, v7, v9, vcc
	v_mov_b32_dpp v10, v8 row_half_mirror row_mask:0xf bank_mask:0xf
	v_cmp_gt_f32_e32 vcc, v10, v8
	v_cndmask_b32_e32 v8, v8, v10, vcc
	v_mov_b32_dpp v9, v7 row_half_mirror row_mask:0xf bank_mask:0xf
	v_cndmask_b32_e32 v7, v7, v9, vcc
	v_mov_b32_dpp v10, v8 row_mirror row_mask:0xf bank_mask:0xf
	v_cmp_gt_f32_e32 vcc, v10, v8
	v_cndmask_b32_e32 v8, v8, v10, vcc
	v_mov_b32_dpp v9, v7 row_mirror row_mask:0xf bank_mask:0xf
	v_cndmask_b32_e32 v7, v7, v9, vcc
	v_mov_b32_dpp v10, v8 row_bcast:15 row_mask:0xf bank_mask:0xf
	v_cmp_gt_f32_e32 vcc, v10, v8
	v_mov_b32_dpp v9, v7 row_bcast:15 row_mask:0xf bank_mask:0xf
	v_cndmask_b32_e32 v8, v8, v10, vcc
	v_cndmask_b32_e32 v7, v7, v9, vcc
	s_nop 0
	v_mov_b32_dpp v10, v8 row_bcast:31 row_mask:0xf bank_mask:0xf
	v_mov_b32_dpp v9, v7 row_bcast:31 row_mask:0xf bank_mask:0xf
	v_cmp_gt_f32_e32 vcc, v10, v8
	v_cndmask_b32_e32 v7, v7, v9, vcc
	v_readlane_b32 s9, v7, 63
	s_lshl_b32 s10, s9, 2
	s_add_i32 s10, s10, 0
	v_cndmask_b32_e32 v8, v8, v10, vcc
	v_mov_b32_e32 v7, s10
	v_readlane_b32 s8, v8, 63
	ds_write_b32 v7, v5
	v_mov_b32_e32 v7, s9
	v_cmp_eq_u32_e32 vcc, s12, v0
	v_cndmask_b32_e32 v2, v2, v7, vcc
	v_mov_b32_e32 v7, s8
	s_add_i32 s12, s12, 1
	v_cndmask_b32_e32 v4, v4, v7, vcc
	s_cmp_eq_u32 s12, s13
	v_add_f32_e32 v3, s8, v3
	s_cbranch_scc1 .LBB36_26
.LBB36_21:                              ; =>This Loop Header: Depth=1
                                        ;     Child Loop BB36_23 Depth 2
	v_mov_b32_e32 v7, s12
	v_mov_b32_e32 v8, 0xff800000
	s_and_saveexec_b64 s[8:9], s[0:1]
	s_cbranch_execz .LBB36_20
; %bb.22:                               ;   in Loop: Header=BB36_21 Depth=1
	s_load_dword s14, s[2:3], 0xc
	s_mov_b64 s[10:11], 0
	v_mov_b32_e32 v7, s12
	v_mov_b32_e32 v8, 0xff800000
	;; [unrolled: 1-line block ×3, first 2 shown]
	s_waitcnt lgkmcnt(0)
	s_and_b32 s14, s14, 0xffff
	s_lshl_b32 s15, s14, 2
	s_lshl_b32 s20, s14, 4
	v_mov_b32_e32 v10, v6
	v_mov_b32_e32 v11, v0
.LBB36_23:                              ;   Parent Loop BB36_21 Depth=1
                                        ; =>  This Inner Loop Header: Depth=2
	ds_read_b128 v[12:15], v9
	v_add_u32_e32 v11, s14, v11
	v_cmp_le_i32_e32 vcc, s7, v11
	s_or_b64 s[10:11], vcc, s[10:11]
	v_add_u32_e32 v16, 1, v10
	s_waitcnt lgkmcnt(0)
	v_cmp_gt_f32_e32 vcc, v12, v8
	v_cndmask_b32_e32 v8, v8, v12, vcc
	v_cndmask_b32_e32 v7, v7, v10, vcc
	v_cmp_gt_f32_e32 vcc, v13, v8
	v_cndmask_b32_e32 v8, v8, v13, vcc
	v_cndmask_b32_e32 v7, v7, v16, vcc
	v_cmp_gt_f32_e32 vcc, v14, v8
	v_add_u32_e32 v17, 2, v10
	v_cndmask_b32_e32 v8, v8, v14, vcc
	v_add_u32_e32 v18, 3, v10
	v_cndmask_b32_e32 v7, v7, v17, vcc
	v_cmp_gt_f32_e32 vcc, v15, v8
	v_add_u32_e32 v9, s20, v9
	v_add_u32_e32 v10, s15, v10
	v_cndmask_b32_e32 v8, v8, v15, vcc
	v_cndmask_b32_e32 v7, v7, v18, vcc
	s_andn2_b64 exec, exec, s[10:11]
	s_cbranch_execnz .LBB36_23
; %bb.24:                               ;   in Loop: Header=BB36_21 Depth=1
	s_or_b64 exec, exec, s[10:11]
	s_branch .LBB36_20
.LBB36_25:
	v_mov_b32_e32 v3, 0
                                        ; implicit-def: $vgpr4
                                        ; implicit-def: $vgpr2
.LBB36_26:
	v_cmp_gt_i32_e32 vcc, s13, v0
	s_and_saveexec_b64 s[0:1], vcc
	s_cbranch_execz .LBB36_29
; %bb.27:
	s_load_dword s7, s[4:5], 0x38
	s_load_dwordx2 s[0:1], s[4:5], 0x20
	s_load_dword s8, s[4:5], 0x4c
	s_waitcnt lgkmcnt(0)
	v_div_scale_f32 v1, s[2:3], v3, v3, s7
	v_rcp_f32_e32 v5, v1
	v_div_scale_f32 v6, vcc, s7, v3, s7
	s_ashr_i32 s2, s6, 31
	v_fma_f32 v7, -v1, v5, 1.0
	v_fmac_f32_e32 v5, v7, v5
	v_mul_f32_e32 v7, v6, v5
	v_fma_f32 v8, -v1, v7, v6
	v_fmac_f32_e32 v7, v8, v5
	v_fma_f32 v1, -v1, v7, v6
	s_mul_i32 s1, s6, s1
	s_mul_hi_u32 s3, s6, s0
	v_div_fmas_f32 v1, v1, v5, v7
	s_add_i32 s1, s3, s1
	s_mul_i32 s2, s2, s0
	v_div_fixup_f32 v1, v1, v3, s7
	s_add_i32 s4, s1, s2
	v_mul_f32_e32 v1, v1, v4
	s_mul_i32 s2, s6, s0
	s_and_b32 s3, s8, 0xffff
	s_mov_b64 s[0:1], 0
	v_mov_b32_e32 v3, s4
	v_mov_b32_e32 v4, s17
	;; [unrolled: 1-line block ×3, first 2 shown]
.LBB36_28:                              ; =>This Inner Loop Header: Depth=1
	v_ashrrev_i32_e32 v7, 31, v0
	v_add_co_u32_e32 v6, vcc, s2, v0
	v_addc_co_u32_e32 v7, vcc, v3, v7, vcc
	v_add_u32_e32 v0, s3, v0
	v_cmp_le_i32_e32 vcc, s13, v0
	v_lshlrev_b64 v[6:7], 2, v[6:7]
	s_or_b64 s[0:1], vcc, s[0:1]
	v_add_co_u32_e32 v8, vcc, s16, v6
	v_addc_co_u32_e32 v9, vcc, v4, v7, vcc
	v_add_co_u32_e32 v6, vcc, s18, v6
	v_addc_co_u32_e32 v7, vcc, v5, v7, vcc
	global_store_dword v[8:9], v1, off
	global_store_dword v[6:7], v2, off
	s_andn2_b64 exec, exec, s[0:1]
	s_cbranch_execnz .LBB36_28
.LBB36_29:
	s_endpgm
	.section	.rodata,"a",@progbits
	.p2align	6, 0x0
	.amdhsa_kernel _ZN5aiter19grouped_topk_kernelIN3c108BFloat16EDv4_fLi4ELb1ELb0ELb0EEEvPT_PKS4_PfPimiiiif
		.amdhsa_group_segment_fixed_size 0
		.amdhsa_private_segment_fixed_size 0
		.amdhsa_kernarg_size 320
		.amdhsa_user_sgpr_count 6
		.amdhsa_user_sgpr_private_segment_buffer 1
		.amdhsa_user_sgpr_dispatch_ptr 0
		.amdhsa_user_sgpr_queue_ptr 0
		.amdhsa_user_sgpr_kernarg_segment_ptr 1
		.amdhsa_user_sgpr_dispatch_id 0
		.amdhsa_user_sgpr_flat_scratch_init 0
		.amdhsa_user_sgpr_kernarg_preload_length 0
		.amdhsa_user_sgpr_kernarg_preload_offset 0
		.amdhsa_user_sgpr_private_segment_size 0
		.amdhsa_uses_dynamic_stack 0
		.amdhsa_system_sgpr_private_segment_wavefront_offset 0
		.amdhsa_system_sgpr_workgroup_id_x 1
		.amdhsa_system_sgpr_workgroup_id_y 0
		.amdhsa_system_sgpr_workgroup_id_z 0
		.amdhsa_system_sgpr_workgroup_info 0
		.amdhsa_system_vgpr_workitem_id 0
		.amdhsa_next_free_vgpr 32
		.amdhsa_next_free_sgpr 29
		.amdhsa_accum_offset 32
		.amdhsa_reserve_vcc 1
		.amdhsa_reserve_flat_scratch 0
		.amdhsa_float_round_mode_32 0
		.amdhsa_float_round_mode_16_64 0
		.amdhsa_float_denorm_mode_32 3
		.amdhsa_float_denorm_mode_16_64 3
		.amdhsa_dx10_clamp 1
		.amdhsa_ieee_mode 1
		.amdhsa_fp16_overflow 0
		.amdhsa_tg_split 0
		.amdhsa_exception_fp_ieee_invalid_op 0
		.amdhsa_exception_fp_denorm_src 0
		.amdhsa_exception_fp_ieee_div_zero 0
		.amdhsa_exception_fp_ieee_overflow 0
		.amdhsa_exception_fp_ieee_underflow 0
		.amdhsa_exception_fp_ieee_inexact 0
		.amdhsa_exception_int_div_zero 0
	.end_amdhsa_kernel
	.section	.text._ZN5aiter19grouped_topk_kernelIN3c108BFloat16EDv4_fLi4ELb1ELb0ELb0EEEvPT_PKS4_PfPimiiiif,"axG",@progbits,_ZN5aiter19grouped_topk_kernelIN3c108BFloat16EDv4_fLi4ELb1ELb0ELb0EEEvPT_PKS4_PfPimiiiif,comdat
.Lfunc_end36:
	.size	_ZN5aiter19grouped_topk_kernelIN3c108BFloat16EDv4_fLi4ELb1ELb0ELb0EEEvPT_PKS4_PfPimiiiif, .Lfunc_end36-_ZN5aiter19grouped_topk_kernelIN3c108BFloat16EDv4_fLi4ELb1ELb0ELb0EEEvPT_PKS4_PfPimiiiif
                                        ; -- End function
	.section	.AMDGPU.csdata,"",@progbits
; Kernel info:
; codeLenInByte = 2332
; NumSgprs: 33
; NumVgprs: 32
; NumAgprs: 0
; TotalNumVgprs: 32
; ScratchSize: 0
; MemoryBound: 0
; FloatMode: 240
; IeeeMode: 1
; LDSByteSize: 0 bytes/workgroup (compile time only)
; SGPRBlocks: 4
; VGPRBlocks: 3
; NumSGPRsForWavesPerEU: 33
; NumVGPRsForWavesPerEU: 32
; AccumOffset: 32
; Occupancy: 8
; WaveLimiterHint : 0
; COMPUTE_PGM_RSRC2:SCRATCH_EN: 0
; COMPUTE_PGM_RSRC2:USER_SGPR: 6
; COMPUTE_PGM_RSRC2:TRAP_HANDLER: 0
; COMPUTE_PGM_RSRC2:TGID_X_EN: 1
; COMPUTE_PGM_RSRC2:TGID_Y_EN: 0
; COMPUTE_PGM_RSRC2:TGID_Z_EN: 0
; COMPUTE_PGM_RSRC2:TIDIG_COMP_CNT: 0
; COMPUTE_PGM_RSRC3_GFX90A:ACCUM_OFFSET: 7
; COMPUTE_PGM_RSRC3_GFX90A:TG_SPLIT: 0
	.section	.text._ZN5aiter28grouped_topk_opt_sort_kernelIfDv4_fLi4ELb0ELb1ELb0EEEvPT_PKS2_PfPimiiiif,"axG",@progbits,_ZN5aiter28grouped_topk_opt_sort_kernelIfDv4_fLi4ELb0ELb1ELb0EEEvPT_PKS2_PfPimiiiif,comdat
	.protected	_ZN5aiter28grouped_topk_opt_sort_kernelIfDv4_fLi4ELb0ELb1ELb0EEEvPT_PKS2_PfPimiiiif ; -- Begin function _ZN5aiter28grouped_topk_opt_sort_kernelIfDv4_fLi4ELb0ELb1ELb0EEEvPT_PKS2_PfPimiiiif
	.globl	_ZN5aiter28grouped_topk_opt_sort_kernelIfDv4_fLi4ELb0ELb1ELb0EEEvPT_PKS2_PfPimiiiif
	.p2align	8
	.type	_ZN5aiter28grouped_topk_opt_sort_kernelIfDv4_fLi4ELb0ELb1ELb0EEEvPT_PKS2_PfPimiiiif,@function
_ZN5aiter28grouped_topk_opt_sort_kernelIfDv4_fLi4ELb0ELb1ELb0EEEvPT_PKS2_PfPimiiiif: ; @_ZN5aiter28grouped_topk_opt_sort_kernelIfDv4_fLi4ELb0ELb1ELb0EEEvPT_PKS2_PfPimiiiif
; %bb.0:
	s_load_dword s7, s[4:5], 0x28
	s_load_dwordx4 s[0:3], s[4:5], 0x0
	s_load_dword s8, s[4:5], 0x30
	v_lshlrev_b32_e32 v1, 4, v0
	v_mbcnt_lo_u32_b32 v10, -1, 0
	s_waitcnt lgkmcnt(0)
	s_mul_i32 s4, s6, s7
	s_ashr_i32 s5, s4, 31
	s_lshl_b64 s[4:5], s[4:5], 2
	s_add_u32 s0, s0, s4
	s_addc_u32 s1, s1, s5
	global_load_dwordx4 v[6:9], v1, s[0:1]
	global_load_dwordx4 v[2:5], v1, s[2:3]
	v_mbcnt_hi_u32_b32 v10, -1, v10
	v_and_b32_e32 v18, 64, v10
	s_mov_b32 s0, 0x652b82fe
	v_lshrrev_b32_e32 v11, 1, v0
	v_and_or_b32 v10, v1, 48, v18
	s_mov_b32 s1, 0xbff71547
	v_and_b32_e32 v12, 2, v0
	v_xor_b32_e32 v19, v11, v0
	v_lshlrev_b32_e32 v22, 2, v10
	v_mov_b32_e32 v16, 0xff800000
	v_mov_b32_e32 v17, 0x7f800000
	v_and_b32_e32 v13, 1, v0
	v_cmp_eq_u32_e32 vcc, 0, v12
	s_mov_b32 s4, 0xc2fc0000
	v_cndmask_b32_e32 v20, v16, v17, vcc
	v_cmp_eq_u32_e32 vcc, 0, v13
	v_mov_b32_e32 v14, 0x42800000
	v_cndmask_b32_e32 v21, v16, v17, vcc
	v_mov_b32_e32 v15, 0x1f800000
	s_mov_b32 s6, 0xff800000
	v_add_u32_e32 v1, 0, v1
	s_waitcnt vmcnt(1)
	v_cvt_f64_f32_e32 v[10:11], v6
	v_cvt_f64_f32_e32 v[6:7], v7
	v_mul_f64 v[10:11], v[10:11], s[0:1]
	v_cvt_f64_f32_e32 v[12:13], v8
	v_cvt_f64_f32_e32 v[8:9], v9
	v_mul_f64 v[6:7], v[6:7], s[0:1]
	v_cvt_f32_f64_e32 v10, v[10:11]
	v_mul_f64 v[12:13], v[12:13], s[0:1]
	v_mul_f64 v[8:9], v[8:9], s[0:1]
	v_cvt_f32_f64_e32 v6, v[6:7]
	v_cmp_gt_f32_e32 vcc, s4, v10
	v_cvt_f32_f64_e32 v7, v[12:13]
	v_cvt_f32_f64_e32 v8, v[8:9]
	v_cndmask_b32_e32 v9, 0, v14, vcc
	v_cmp_gt_f32_e64 s[0:1], s4, v6
	v_cndmask_b32_e64 v11, 0, v14, s[0:1]
	v_cmp_gt_f32_e64 s[2:3], s4, v7
	v_add_f32_e32 v9, v10, v9
	v_cndmask_b32_e64 v12, 0, v14, s[2:3]
	v_cmp_gt_f32_e64 s[4:5], s4, v8
	v_add_f32_e32 v6, v6, v11
	v_exp_f32_e32 v9, v9
	v_cndmask_b32_e64 v13, 0, v14, s[4:5]
	v_add_f32_e32 v7, v7, v12
	v_exp_f32_e32 v6, v6
	v_add_f32_e32 v8, v8, v13
	v_exp_f32_e32 v7, v7
	v_cndmask_b32_e32 v10, 1.0, v15, vcc
	v_exp_f32_e32 v8, v8
	v_cndmask_b32_e64 v11, 1.0, v15, s[0:1]
	v_fma_f32 v9, v9, v10, 1.0
	v_cndmask_b32_e64 v12, 1.0, v15, s[2:3]
	v_fma_f32 v6, v6, v11, 1.0
	v_rcp_f32_e32 v9, v9
	v_cndmask_b32_e64 v13, 1.0, v15, s[4:5]
	v_fma_f32 v7, v7, v12, 1.0
	v_rcp_f32_e32 v6, v6
	v_fma_f32 v8, v8, v13, 1.0
	v_rcp_f32_e32 v7, v7
	v_rcp_f32_e32 v8, v8
	s_waitcnt vmcnt(0)
	v_add_f32_e32 v2, v2, v9
	v_add_f32_e32 v3, v3, v6
	v_cmp_o_f32_e32 vcc, v2, v2
	v_add_f32_e32 v4, v4, v7
	v_cndmask_b32_e32 v2, v16, v2, vcc
	v_cmp_o_f32_e32 vcc, v3, v3
	v_add_f32_e32 v5, v5, v8
	v_cndmask_b32_e32 v3, v16, v3, vcc
	v_cmp_o_f32_e32 vcc, v4, v4
	v_cndmask_b32_e32 v4, v16, v4, vcc
	v_cmp_o_f32_e32 vcc, v5, v5
	v_max_f32_e32 v7, v2, v2
	v_max_f32_e32 v8, v3, v3
	v_cndmask_b32_e32 v5, v16, v5, vcc
	v_med3_f32 v6, v3, v2, s6
	v_max_f32_e32 v9, v4, v4
	v_max_f32_e32 v7, v8, v7
	;; [unrolled: 1-line block ×3, first 2 shown]
	v_med3_f32 v6, v4, v7, v6
	v_max_f32_e32 v7, v9, v7
	v_med3_f32 v6, v5, v7, v6
	v_max_f32_e32 v7, v10, v7
	v_add_f32_e32 v6, v6, v7
	ds_bpermute_b32 v6, v22, v6
	v_and_b32_e32 v7, 1, v19
	v_cmp_eq_u32_e32 vcc, 0, v7
	v_cndmask_b32_e32 v7, v16, v17, vcc
	v_lshlrev_b32_e32 v8, 2, v18
	s_waitcnt lgkmcnt(0)
	v_mov_b32_dpp v9, v6 quad_perm:[1,0,3,2] row_mask:0xf bank_mask:0xf bound_ctrl:1
	v_med3_f32 v7, v6, v9, v7
	ds_write_b128 v1, v[2:5]
	s_nop 0
	v_mov_b32_dpp v9, v7 quad_perm:[2,3,0,1] row_mask:0xf bank_mask:0xf bound_ctrl:1
	v_med3_f32 v7, v7, v9, v20
	s_nop 1
	v_mov_b32_dpp v9, v7 quad_perm:[1,0,3,2] row_mask:0xf bank_mask:0xf bound_ctrl:1
	v_med3_f32 v7, v7, v9, v21
	ds_bpermute_b32 v7, v8, v7 offset:12
	s_waitcnt lgkmcnt(0)
	v_cmp_gt_f32_e32 vcc, v6, v7
	v_cndmask_b32_e64 v1, 0, 1, vcc
	v_cmp_eq_f32_e64 s[0:1], v6, v7
	v_cndmask_b32_e64 v2, 0, 1, s[0:1]
	v_mov_b32_dpp v1, v1 row_shr:1 row_mask:0xf bank_mask:0xf bound_ctrl:1
	v_addc_co_u32_e64 v3, s[4:5], 0, v1, vcc
	v_mov_b32_dpp v2, v2 row_shr:1 row_mask:0xf bank_mask:0xf bound_ctrl:1
	s_nop 0
	v_mov_b32_dpp v3, v3 row_shr:2 row_mask:0xf bank_mask:0xf bound_ctrl:1
	v_addc_co_u32_e64 v4, s[4:5], 0, v2, s[0:1]
	v_addc_co_u32_e32 v1, vcc, v3, v1, vcc
	v_readlane_b32 s4, v1, 3
	v_mov_b32_e32 v3, s4
	v_addc_co_u32_e64 v2, vcc, v3, v2, s[0:1]
	v_cmp_ge_f32_e64 s[2:3], v6, v7
	s_nop 0
	v_add_u32_dpp v2, v4, v2 row_shr:2 row_mask:0xf bank_mask:0xf bound_ctrl:1
	v_cndmask_b32_e64 v1, v1, v2, s[0:1]
	v_cmp_ge_i32_e32 vcc, s8, v1
	s_and_b64 s[0:1], s[2:3], vcc
	v_cmp_gt_u32_e32 vcc, 4, v0
	s_and_b64 s[2:3], vcc, s[0:1]
	s_and_saveexec_b64 s[0:1], s[2:3]
	s_cbranch_execz .LBB37_2
; %bb.1:
	s_lshl_b32 s2, s7, 2
	s_add_i32 s2, s2, 0
	v_lshl_add_u32 v1, v1, 2, s2
	ds_write_b32 v1, v0 offset:12
.LBB37_2:
	s_or_b64 exec, exec, s[0:1]
	s_waitcnt lgkmcnt(0)
	s_barrier
	s_endpgm
	.section	.rodata,"a",@progbits
	.p2align	6, 0x0
	.amdhsa_kernel _ZN5aiter28grouped_topk_opt_sort_kernelIfDv4_fLi4ELb0ELb1ELb0EEEvPT_PKS2_PfPimiiiif
		.amdhsa_group_segment_fixed_size 0
		.amdhsa_private_segment_fixed_size 0
		.amdhsa_kernarg_size 60
		.amdhsa_user_sgpr_count 6
		.amdhsa_user_sgpr_private_segment_buffer 1
		.amdhsa_user_sgpr_dispatch_ptr 0
		.amdhsa_user_sgpr_queue_ptr 0
		.amdhsa_user_sgpr_kernarg_segment_ptr 1
		.amdhsa_user_sgpr_dispatch_id 0
		.amdhsa_user_sgpr_flat_scratch_init 0
		.amdhsa_user_sgpr_kernarg_preload_length 0
		.amdhsa_user_sgpr_kernarg_preload_offset 0
		.amdhsa_user_sgpr_private_segment_size 0
		.amdhsa_uses_dynamic_stack 0
		.amdhsa_system_sgpr_private_segment_wavefront_offset 0
		.amdhsa_system_sgpr_workgroup_id_x 1
		.amdhsa_system_sgpr_workgroup_id_y 0
		.amdhsa_system_sgpr_workgroup_id_z 0
		.amdhsa_system_sgpr_workgroup_info 0
		.amdhsa_system_vgpr_workitem_id 0
		.amdhsa_next_free_vgpr 23
		.amdhsa_next_free_sgpr 9
		.amdhsa_accum_offset 24
		.amdhsa_reserve_vcc 1
		.amdhsa_reserve_flat_scratch 0
		.amdhsa_float_round_mode_32 0
		.amdhsa_float_round_mode_16_64 0
		.amdhsa_float_denorm_mode_32 3
		.amdhsa_float_denorm_mode_16_64 3
		.amdhsa_dx10_clamp 1
		.amdhsa_ieee_mode 1
		.amdhsa_fp16_overflow 0
		.amdhsa_tg_split 0
		.amdhsa_exception_fp_ieee_invalid_op 0
		.amdhsa_exception_fp_denorm_src 0
		.amdhsa_exception_fp_ieee_div_zero 0
		.amdhsa_exception_fp_ieee_overflow 0
		.amdhsa_exception_fp_ieee_underflow 0
		.amdhsa_exception_fp_ieee_inexact 0
		.amdhsa_exception_int_div_zero 0
	.end_amdhsa_kernel
	.section	.text._ZN5aiter28grouped_topk_opt_sort_kernelIfDv4_fLi4ELb0ELb1ELb0EEEvPT_PKS2_PfPimiiiif,"axG",@progbits,_ZN5aiter28grouped_topk_opt_sort_kernelIfDv4_fLi4ELb0ELb1ELb0EEEvPT_PKS2_PfPimiiiif,comdat
.Lfunc_end37:
	.size	_ZN5aiter28grouped_topk_opt_sort_kernelIfDv4_fLi4ELb0ELb1ELb0EEEvPT_PKS2_PfPimiiiif, .Lfunc_end37-_ZN5aiter28grouped_topk_opt_sort_kernelIfDv4_fLi4ELb0ELb1ELb0EEEvPT_PKS2_PfPimiiiif
                                        ; -- End function
	.section	.AMDGPU.csdata,"",@progbits
; Kernel info:
; codeLenInByte = 832
; NumSgprs: 13
; NumVgprs: 23
; NumAgprs: 0
; TotalNumVgprs: 23
; ScratchSize: 0
; MemoryBound: 0
; FloatMode: 240
; IeeeMode: 1
; LDSByteSize: 0 bytes/workgroup (compile time only)
; SGPRBlocks: 1
; VGPRBlocks: 2
; NumSGPRsForWavesPerEU: 13
; NumVGPRsForWavesPerEU: 23
; AccumOffset: 24
; Occupancy: 8
; WaveLimiterHint : 0
; COMPUTE_PGM_RSRC2:SCRATCH_EN: 0
; COMPUTE_PGM_RSRC2:USER_SGPR: 6
; COMPUTE_PGM_RSRC2:TRAP_HANDLER: 0
; COMPUTE_PGM_RSRC2:TGID_X_EN: 1
; COMPUTE_PGM_RSRC2:TGID_Y_EN: 0
; COMPUTE_PGM_RSRC2:TGID_Z_EN: 0
; COMPUTE_PGM_RSRC2:TIDIG_COMP_CNT: 0
; COMPUTE_PGM_RSRC3_GFX90A:ACCUM_OFFSET: 5
; COMPUTE_PGM_RSRC3_GFX90A:TG_SPLIT: 0
	.section	.text._ZN5aiter28grouped_topk_opt_sort_kernelIN3c104HalfEDv4_fLi4ELb0ELb1ELb0EEEvPT_PKS4_PfPimiiiif,"axG",@progbits,_ZN5aiter28grouped_topk_opt_sort_kernelIN3c104HalfEDv4_fLi4ELb0ELb1ELb0EEEvPT_PKS4_PfPimiiiif,comdat
	.protected	_ZN5aiter28grouped_topk_opt_sort_kernelIN3c104HalfEDv4_fLi4ELb0ELb1ELb0EEEvPT_PKS4_PfPimiiiif ; -- Begin function _ZN5aiter28grouped_topk_opt_sort_kernelIN3c104HalfEDv4_fLi4ELb0ELb1ELb0EEEvPT_PKS4_PfPimiiiif
	.globl	_ZN5aiter28grouped_topk_opt_sort_kernelIN3c104HalfEDv4_fLi4ELb0ELb1ELb0EEEvPT_PKS4_PfPimiiiif
	.p2align	8
	.type	_ZN5aiter28grouped_topk_opt_sort_kernelIN3c104HalfEDv4_fLi4ELb0ELb1ELb0EEEvPT_PKS4_PfPimiiiif,@function
_ZN5aiter28grouped_topk_opt_sort_kernelIN3c104HalfEDv4_fLi4ELb0ELb1ELb0EEEvPT_PKS4_PfPimiiiif: ; @_ZN5aiter28grouped_topk_opt_sort_kernelIN3c104HalfEDv4_fLi4ELb0ELb1ELb0EEEvPT_PKS4_PfPimiiiif
; %bb.0:
	s_load_dword s7, s[4:5], 0x28
	s_load_dwordx4 s[0:3], s[4:5], 0x0
	s_load_dword s8, s[4:5], 0x30
	v_lshlrev_b32_e32 v1, 3, v0
	v_mbcnt_lo_u32_b32 v6, -1, 0
	s_waitcnt lgkmcnt(0)
	s_mul_i32 s4, s6, s7
	s_ashr_i32 s5, s4, 31
	s_lshl_b64 s[4:5], s[4:5], 1
	s_add_u32 s0, s0, s4
	s_addc_u32 s1, s1, s5
	global_load_dwordx2 v[2:3], v1, s[0:1]
	global_load_dwordx2 v[4:5], v1, s[2:3]
	v_mbcnt_hi_u32_b32 v6, -1, v6
	v_lshlrev_b32_e32 v13, 4, v0
	v_and_b32_e32 v14, 64, v6
	v_and_or_b32 v6, v13, 48, v14
	v_lshrrev_b32_e32 v7, 1, v0
	v_lshlrev_b32_e32 v18, 2, v6
	v_and_b32_e32 v8, 2, v0
	v_xor_b32_e32 v15, v7, v0
	v_mov_b32_e32 v11, 0xff800000
	v_mov_b32_e32 v12, 0x7f800000
	v_and_b32_e32 v9, 1, v0
	v_cmp_eq_u32_e32 vcc, 0, v8
	s_mov_b32 s0, 0x652b82fe
	v_cndmask_b32_e32 v16, v11, v12, vcc
	v_cmp_eq_u32_e32 vcc, 0, v9
	s_mov_b32 s1, 0xbff71547
	s_mov_b32 s4, 0xc2fc0000
	v_mov_b32_e32 v1, 0x42800000
	v_cndmask_b32_e32 v17, v11, v12, vcc
	v_mov_b32_e32 v10, 0x1f800000
	s_mov_b32 s6, 0xff800000
	s_waitcnt vmcnt(1)
	v_cvt_f32_f16_e32 v6, v2
	v_cvt_f32_f16_sdwa v7, v2 dst_sel:DWORD dst_unused:UNUSED_PAD src0_sel:WORD_1
	v_cvt_f32_f16_e32 v8, v3
	v_cvt_f32_f16_sdwa v9, v3 dst_sel:DWORD dst_unused:UNUSED_PAD src0_sel:WORD_1
	v_cvt_f64_f32_e32 v[2:3], v6
	s_waitcnt vmcnt(0)
	v_cvt_f32_f16_e32 v19, v4
	v_cvt_f32_f16_sdwa v20, v4 dst_sel:DWORD dst_unused:UNUSED_PAD src0_sel:WORD_1
	v_cvt_f32_f16_e32 v21, v5
	v_cvt_f32_f16_sdwa v22, v5 dst_sel:DWORD dst_unused:UNUSED_PAD src0_sel:WORD_1
	v_cvt_f64_f32_e32 v[4:5], v7
	v_mul_f64 v[2:3], v[2:3], s[0:1]
	v_cvt_f64_f32_e32 v[6:7], v8
	v_mul_f64 v[4:5], v[4:5], s[0:1]
	v_cvt_f32_f64_e32 v2, v[2:3]
	v_cvt_f64_f32_e32 v[8:9], v9
	v_mul_f64 v[6:7], v[6:7], s[0:1]
	v_cvt_f32_f64_e32 v3, v[4:5]
	v_cmp_gt_f32_e32 vcc, s4, v2
	v_mul_f64 v[8:9], v[8:9], s[0:1]
	v_cvt_f32_f64_e32 v4, v[6:7]
	v_cndmask_b32_e32 v6, 0, v1, vcc
	v_cmp_gt_f32_e64 s[0:1], s4, v3
	v_cvt_f32_f64_e32 v5, v[8:9]
	v_cndmask_b32_e64 v7, 0, v1, s[0:1]
	v_cmp_gt_f32_e64 s[2:3], s4, v4
	v_add_f32_e32 v2, v2, v6
	v_cndmask_b32_e64 v8, 0, v1, s[2:3]
	v_cmp_gt_f32_e64 s[4:5], s4, v5
	v_add_f32_e32 v3, v3, v7
	v_exp_f32_e32 v2, v2
	v_cndmask_b32_e64 v1, 0, v1, s[4:5]
	v_add_f32_e32 v4, v4, v8
	v_exp_f32_e32 v3, v3
	v_add_f32_e32 v1, v5, v1
	v_exp_f32_e32 v4, v4
	v_cndmask_b32_e32 v6, 1.0, v10, vcc
	v_exp_f32_e32 v1, v1
	v_cndmask_b32_e64 v7, 1.0, v10, s[0:1]
	v_fma_f32 v2, v2, v6, 1.0
	v_cndmask_b32_e64 v8, 1.0, v10, s[2:3]
	v_fma_f32 v3, v3, v7, 1.0
	v_rcp_f32_e32 v2, v2
	v_cndmask_b32_e64 v5, 1.0, v10, s[4:5]
	v_fma_f32 v4, v4, v8, 1.0
	v_rcp_f32_e32 v3, v3
	v_fma_f32 v1, v1, v5, 1.0
	v_rcp_f32_e32 v4, v4
	v_rcp_f32_e32 v1, v1
	v_add_f32_e32 v2, v2, v19
	v_add_f32_e32 v3, v3, v20
	v_cmp_o_f32_e32 vcc, v2, v2
	v_add_f32_e32 v4, v4, v21
	v_cndmask_b32_e32 v2, v11, v2, vcc
	v_cmp_o_f32_e32 vcc, v3, v3
	v_add_f32_e32 v1, v1, v22
	v_cndmask_b32_e32 v3, v11, v3, vcc
	v_cmp_o_f32_e32 vcc, v4, v4
	v_cndmask_b32_e32 v4, v11, v4, vcc
	v_cmp_o_f32_e32 vcc, v1, v1
	v_max_f32_e32 v6, v2, v2
	v_max_f32_e32 v7, v3, v3
	v_cndmask_b32_e32 v5, v11, v1, vcc
	v_med3_f32 v1, v3, v2, s6
	v_max_f32_e32 v8, v4, v4
	v_max_f32_e32 v6, v7, v6
	;; [unrolled: 1-line block ×3, first 2 shown]
	v_med3_f32 v1, v4, v6, v1
	v_max_f32_e32 v6, v8, v6
	v_med3_f32 v1, v5, v6, v1
	v_max_f32_e32 v6, v9, v6
	v_add_f32_e32 v1, v1, v6
	ds_bpermute_b32 v1, v18, v1
	v_and_b32_e32 v6, 1, v15
	v_cmp_eq_u32_e32 vcc, 0, v6
	v_cndmask_b32_e32 v6, v11, v12, vcc
	v_lshlrev_b32_e32 v7, 2, v14
	s_waitcnt lgkmcnt(0)
	v_mov_b32_dpp v8, v1 quad_perm:[1,0,3,2] row_mask:0xf bank_mask:0xf bound_ctrl:1
	v_med3_f32 v6, v1, v8, v6
	s_nop 1
	v_mov_b32_dpp v8, v6 quad_perm:[2,3,0,1] row_mask:0xf bank_mask:0xf bound_ctrl:1
	v_med3_f32 v6, v6, v8, v16
	s_nop 1
	v_mov_b32_dpp v8, v6 quad_perm:[1,0,3,2] row_mask:0xf bank_mask:0xf bound_ctrl:1
	v_med3_f32 v6, v6, v8, v17
	ds_bpermute_b32 v6, v7, v6 offset:12
	v_add_u32_e32 v7, 0, v13
	ds_write_b128 v7, v[2:5]
	s_waitcnt lgkmcnt(1)
	v_cmp_gt_f32_e32 vcc, v1, v6
	v_cndmask_b32_e64 v2, 0, 1, vcc
	v_cmp_eq_f32_e64 s[0:1], v1, v6
	v_cndmask_b32_e64 v3, 0, 1, s[0:1]
	v_cmp_ge_f32_e64 s[2:3], v1, v6
	v_mov_b32_dpp v1, v2 row_shr:1 row_mask:0xf bank_mask:0xf bound_ctrl:1
	v_mov_b32_dpp v2, v3 row_shr:1 row_mask:0xf bank_mask:0xf bound_ctrl:1
	v_addc_co_u32_e64 v3, s[4:5], 0, v1, vcc
	v_addc_co_u32_e64 v4, s[4:5], 0, v2, s[0:1]
	s_nop 0
	v_mov_b32_dpp v3, v3 row_shr:2 row_mask:0xf bank_mask:0xf bound_ctrl:1
	v_addc_co_u32_e32 v1, vcc, v3, v1, vcc
	v_readlane_b32 s4, v1, 3
	v_mov_b32_e32 v3, s4
	v_addc_co_u32_e64 v2, vcc, v3, v2, s[0:1]
	s_nop 1
	v_add_u32_dpp v2, v4, v2 row_shr:2 row_mask:0xf bank_mask:0xf bound_ctrl:1
	v_cndmask_b32_e64 v1, v1, v2, s[0:1]
	v_cmp_ge_i32_e32 vcc, s8, v1
	s_and_b64 s[0:1], s[2:3], vcc
	v_cmp_gt_u32_e32 vcc, 4, v0
	s_and_b64 s[2:3], vcc, s[0:1]
	s_and_saveexec_b64 s[0:1], s[2:3]
	s_cbranch_execz .LBB38_2
; %bb.1:
	s_lshl_b32 s2, s7, 2
	s_add_i32 s2, s2, 0
	v_lshl_add_u32 v1, v1, 2, s2
	ds_write_b32 v1, v0 offset:12
.LBB38_2:
	s_or_b64 exec, exec, s[0:1]
	s_waitcnt lgkmcnt(0)
	s_barrier
	s_endpgm
	.section	.rodata,"a",@progbits
	.p2align	6, 0x0
	.amdhsa_kernel _ZN5aiter28grouped_topk_opt_sort_kernelIN3c104HalfEDv4_fLi4ELb0ELb1ELb0EEEvPT_PKS4_PfPimiiiif
		.amdhsa_group_segment_fixed_size 0
		.amdhsa_private_segment_fixed_size 0
		.amdhsa_kernarg_size 60
		.amdhsa_user_sgpr_count 6
		.amdhsa_user_sgpr_private_segment_buffer 1
		.amdhsa_user_sgpr_dispatch_ptr 0
		.amdhsa_user_sgpr_queue_ptr 0
		.amdhsa_user_sgpr_kernarg_segment_ptr 1
		.amdhsa_user_sgpr_dispatch_id 0
		.amdhsa_user_sgpr_flat_scratch_init 0
		.amdhsa_user_sgpr_kernarg_preload_length 0
		.amdhsa_user_sgpr_kernarg_preload_offset 0
		.amdhsa_user_sgpr_private_segment_size 0
		.amdhsa_uses_dynamic_stack 0
		.amdhsa_system_sgpr_private_segment_wavefront_offset 0
		.amdhsa_system_sgpr_workgroup_id_x 1
		.amdhsa_system_sgpr_workgroup_id_y 0
		.amdhsa_system_sgpr_workgroup_id_z 0
		.amdhsa_system_sgpr_workgroup_info 0
		.amdhsa_system_vgpr_workitem_id 0
		.amdhsa_next_free_vgpr 23
		.amdhsa_next_free_sgpr 9
		.amdhsa_accum_offset 24
		.amdhsa_reserve_vcc 1
		.amdhsa_reserve_flat_scratch 0
		.amdhsa_float_round_mode_32 0
		.amdhsa_float_round_mode_16_64 0
		.amdhsa_float_denorm_mode_32 3
		.amdhsa_float_denorm_mode_16_64 3
		.amdhsa_dx10_clamp 1
		.amdhsa_ieee_mode 1
		.amdhsa_fp16_overflow 0
		.amdhsa_tg_split 0
		.amdhsa_exception_fp_ieee_invalid_op 0
		.amdhsa_exception_fp_denorm_src 0
		.amdhsa_exception_fp_ieee_div_zero 0
		.amdhsa_exception_fp_ieee_overflow 0
		.amdhsa_exception_fp_ieee_underflow 0
		.amdhsa_exception_fp_ieee_inexact 0
		.amdhsa_exception_int_div_zero 0
	.end_amdhsa_kernel
	.section	.text._ZN5aiter28grouped_topk_opt_sort_kernelIN3c104HalfEDv4_fLi4ELb0ELb1ELb0EEEvPT_PKS4_PfPimiiiif,"axG",@progbits,_ZN5aiter28grouped_topk_opt_sort_kernelIN3c104HalfEDv4_fLi4ELb0ELb1ELb0EEEvPT_PKS4_PfPimiiiif,comdat
.Lfunc_end38:
	.size	_ZN5aiter28grouped_topk_opt_sort_kernelIN3c104HalfEDv4_fLi4ELb0ELb1ELb0EEEvPT_PKS4_PfPimiiiif, .Lfunc_end38-_ZN5aiter28grouped_topk_opt_sort_kernelIN3c104HalfEDv4_fLi4ELb0ELb1ELb0EEEvPT_PKS4_PfPimiiiif
                                        ; -- End function
	.section	.AMDGPU.csdata,"",@progbits
; Kernel info:
; codeLenInByte = 884
; NumSgprs: 13
; NumVgprs: 23
; NumAgprs: 0
; TotalNumVgprs: 23
; ScratchSize: 0
; MemoryBound: 0
; FloatMode: 240
; IeeeMode: 1
; LDSByteSize: 0 bytes/workgroup (compile time only)
; SGPRBlocks: 1
; VGPRBlocks: 2
; NumSGPRsForWavesPerEU: 13
; NumVGPRsForWavesPerEU: 23
; AccumOffset: 24
; Occupancy: 8
; WaveLimiterHint : 0
; COMPUTE_PGM_RSRC2:SCRATCH_EN: 0
; COMPUTE_PGM_RSRC2:USER_SGPR: 6
; COMPUTE_PGM_RSRC2:TRAP_HANDLER: 0
; COMPUTE_PGM_RSRC2:TGID_X_EN: 1
; COMPUTE_PGM_RSRC2:TGID_Y_EN: 0
; COMPUTE_PGM_RSRC2:TGID_Z_EN: 0
; COMPUTE_PGM_RSRC2:TIDIG_COMP_CNT: 0
; COMPUTE_PGM_RSRC3_GFX90A:ACCUM_OFFSET: 5
; COMPUTE_PGM_RSRC3_GFX90A:TG_SPLIT: 0
	.section	.text._ZN5aiter28grouped_topk_opt_sort_kernelIN3c108BFloat16EDv4_fLi4ELb0ELb1ELb0EEEvPT_PKS4_PfPimiiiif,"axG",@progbits,_ZN5aiter28grouped_topk_opt_sort_kernelIN3c108BFloat16EDv4_fLi4ELb0ELb1ELb0EEEvPT_PKS4_PfPimiiiif,comdat
	.protected	_ZN5aiter28grouped_topk_opt_sort_kernelIN3c108BFloat16EDv4_fLi4ELb0ELb1ELb0EEEvPT_PKS4_PfPimiiiif ; -- Begin function _ZN5aiter28grouped_topk_opt_sort_kernelIN3c108BFloat16EDv4_fLi4ELb0ELb1ELb0EEEvPT_PKS4_PfPimiiiif
	.globl	_ZN5aiter28grouped_topk_opt_sort_kernelIN3c108BFloat16EDv4_fLi4ELb0ELb1ELb0EEEvPT_PKS4_PfPimiiiif
	.p2align	8
	.type	_ZN5aiter28grouped_topk_opt_sort_kernelIN3c108BFloat16EDv4_fLi4ELb0ELb1ELb0EEEvPT_PKS4_PfPimiiiif,@function
_ZN5aiter28grouped_topk_opt_sort_kernelIN3c108BFloat16EDv4_fLi4ELb0ELb1ELb0EEEvPT_PKS4_PfPimiiiif: ; @_ZN5aiter28grouped_topk_opt_sort_kernelIN3c108BFloat16EDv4_fLi4ELb0ELb1ELb0EEEvPT_PKS4_PfPimiiiif
; %bb.0:
	s_load_dword s7, s[4:5], 0x28
	s_load_dwordx4 s[0:3], s[4:5], 0x0
	s_load_dword s8, s[4:5], 0x30
	v_lshlrev_b32_e32 v1, 3, v0
	v_mbcnt_lo_u32_b32 v6, -1, 0
	s_waitcnt lgkmcnt(0)
	s_mul_i32 s4, s6, s7
	s_ashr_i32 s5, s4, 31
	s_lshl_b64 s[4:5], s[4:5], 1
	s_add_u32 s0, s0, s4
	s_addc_u32 s1, s1, s5
	global_load_dwordx2 v[2:3], v1, s[0:1]
	global_load_dwordx2 v[4:5], v1, s[2:3]
	v_mbcnt_hi_u32_b32 v6, -1, v6
	v_lshlrev_b32_e32 v13, 4, v0
	v_and_b32_e32 v14, 64, v6
	v_and_b32_e32 v8, 2, v0
	v_and_or_b32 v6, v13, 48, v14
	s_mov_b32 s0, 0x652b82fe
	v_mov_b32_e32 v11, 0xff800000
	v_mov_b32_e32 v12, 0x7f800000
	v_lshrrev_b32_e32 v7, 1, v0
	v_and_b32_e32 v9, 1, v0
	v_cmp_eq_u32_e32 vcc, 0, v8
	v_lshlrev_b32_e32 v18, 2, v6
	s_mov_b32 s1, 0xbff71547
	v_xor_b32_e32 v15, v7, v0
	v_cndmask_b32_e32 v16, v11, v12, vcc
	v_cmp_eq_u32_e32 vcc, 0, v9
	s_mov_b32 s4, 0xc2fc0000
	v_mov_b32_e32 v1, 0x42800000
	v_cndmask_b32_e32 v17, v11, v12, vcc
	v_mov_b32_e32 v10, 0x1f800000
	s_mov_b32 s6, 0xff800000
	s_waitcnt vmcnt(1)
	v_and_b32_e32 v6, 0xffff, v2
	v_lshrrev_b32_e32 v7, 16, v2
	v_and_b32_e32 v8, 0xffff, v3
	v_lshrrev_b32_e32 v9, 16, v3
	v_cvt_f64_u32_e32 v[2:3], v6
	s_waitcnt vmcnt(0)
	v_cvt_f32_u32_sdwa v19, v4 dst_sel:DWORD dst_unused:UNUSED_PAD src0_sel:WORD_0
	v_cvt_f32_u32_sdwa v20, v4 dst_sel:DWORD dst_unused:UNUSED_PAD src0_sel:WORD_1
	v_cvt_f32_u32_sdwa v21, v5 dst_sel:DWORD dst_unused:UNUSED_PAD src0_sel:WORD_0
	v_cvt_f32_u32_sdwa v22, v5 dst_sel:DWORD dst_unused:UNUSED_PAD src0_sel:WORD_1
	v_cvt_f64_u32_e32 v[4:5], v7
	v_mul_f64 v[2:3], v[2:3], s[0:1]
	v_cvt_f64_u32_e32 v[6:7], v8
	v_mul_f64 v[4:5], v[4:5], s[0:1]
	v_cvt_f32_f64_e32 v2, v[2:3]
	v_cvt_f64_u32_e32 v[8:9], v9
	v_mul_f64 v[6:7], v[6:7], s[0:1]
	v_cvt_f32_f64_e32 v3, v[4:5]
	v_cmp_gt_f32_e32 vcc, s4, v2
	v_mul_f64 v[8:9], v[8:9], s[0:1]
	v_cvt_f32_f64_e32 v4, v[6:7]
	v_cndmask_b32_e32 v6, 0, v1, vcc
	v_cmp_gt_f32_e64 s[0:1], s4, v3
	v_cvt_f32_f64_e32 v5, v[8:9]
	v_cndmask_b32_e64 v7, 0, v1, s[0:1]
	v_cmp_gt_f32_e64 s[2:3], s4, v4
	v_add_f32_e32 v2, v2, v6
	v_cndmask_b32_e64 v8, 0, v1, s[2:3]
	v_cmp_gt_f32_e64 s[4:5], s4, v5
	v_add_f32_e32 v3, v3, v7
	v_exp_f32_e32 v2, v2
	v_cndmask_b32_e64 v1, 0, v1, s[4:5]
	v_add_f32_e32 v4, v4, v8
	v_exp_f32_e32 v3, v3
	v_add_f32_e32 v1, v5, v1
	v_exp_f32_e32 v4, v4
	v_cndmask_b32_e32 v6, 1.0, v10, vcc
	v_exp_f32_e32 v1, v1
	v_cndmask_b32_e64 v7, 1.0, v10, s[0:1]
	v_fma_f32 v2, v2, v6, 1.0
	v_cndmask_b32_e64 v8, 1.0, v10, s[2:3]
	v_fma_f32 v3, v3, v7, 1.0
	v_rcp_f32_e32 v2, v2
	v_cndmask_b32_e64 v5, 1.0, v10, s[4:5]
	v_fma_f32 v4, v4, v8, 1.0
	v_rcp_f32_e32 v3, v3
	v_fma_f32 v1, v1, v5, 1.0
	v_rcp_f32_e32 v4, v4
	v_rcp_f32_e32 v1, v1
	v_add_f32_e32 v2, v2, v19
	v_add_f32_e32 v3, v3, v20
	v_cmp_o_f32_e32 vcc, v2, v2
	v_add_f32_e32 v4, v4, v21
	v_cndmask_b32_e32 v2, v11, v2, vcc
	v_cmp_o_f32_e32 vcc, v3, v3
	v_add_f32_e32 v1, v1, v22
	v_cndmask_b32_e32 v3, v11, v3, vcc
	v_cmp_o_f32_e32 vcc, v4, v4
	v_cndmask_b32_e32 v4, v11, v4, vcc
	v_cmp_o_f32_e32 vcc, v1, v1
	v_max_f32_e32 v6, v2, v2
	v_max_f32_e32 v7, v3, v3
	v_cndmask_b32_e32 v5, v11, v1, vcc
	v_med3_f32 v1, v3, v2, s6
	v_max_f32_e32 v8, v4, v4
	v_max_f32_e32 v6, v7, v6
	;; [unrolled: 1-line block ×3, first 2 shown]
	v_med3_f32 v1, v4, v6, v1
	v_max_f32_e32 v6, v8, v6
	v_med3_f32 v1, v5, v6, v1
	v_max_f32_e32 v6, v9, v6
	v_add_f32_e32 v1, v1, v6
	ds_bpermute_b32 v6, v18, v1
	v_and_b32_e32 v1, 1, v15
	v_cmp_eq_u32_e32 vcc, 0, v1
	v_cndmask_b32_e32 v1, v11, v12, vcc
	v_lshlrev_b32_e32 v7, 2, v14
	s_waitcnt lgkmcnt(0)
	v_mov_b32_dpp v8, v6 quad_perm:[1,0,3,2] row_mask:0xf bank_mask:0xf bound_ctrl:1
	v_med3_f32 v1, v6, v8, v1
	s_nop 1
	v_mov_b32_dpp v8, v1 quad_perm:[2,3,0,1] row_mask:0xf bank_mask:0xf bound_ctrl:1
	v_med3_f32 v1, v1, v8, v16
	s_nop 1
	v_mov_b32_dpp v8, v1 quad_perm:[1,0,3,2] row_mask:0xf bank_mask:0xf bound_ctrl:1
	v_med3_f32 v1, v1, v8, v17
	ds_bpermute_b32 v7, v7, v1 offset:12
	v_add_u32_e32 v1, 0, v13
	ds_write_b128 v1, v[2:5]
	s_waitcnt lgkmcnt(1)
	v_cmp_gt_f32_e32 vcc, v6, v7
	v_cndmask_b32_e64 v1, 0, 1, vcc
	v_cmp_eq_f32_e64 s[0:1], v6, v7
	v_cndmask_b32_e64 v2, 0, 1, s[0:1]
	v_mov_b32_dpp v1, v1 row_shr:1 row_mask:0xf bank_mask:0xf bound_ctrl:1
	v_addc_co_u32_e64 v3, s[2:3], 0, v1, vcc
	v_mov_b32_dpp v2, v2 row_shr:1 row_mask:0xf bank_mask:0xf bound_ctrl:1
	s_nop 0
	v_mov_b32_dpp v3, v3 row_shr:2 row_mask:0xf bank_mask:0xf bound_ctrl:1
	v_addc_co_u32_e64 v4, s[2:3], 0, v2, s[0:1]
	v_addc_co_u32_e32 v1, vcc, v3, v1, vcc
	v_readlane_b32 s2, v1, 3
	v_mov_b32_e32 v3, s2
	v_addc_co_u32_e64 v2, vcc, v3, v2, s[0:1]
	v_cmp_ge_f32_e32 vcc, v6, v7
	s_nop 0
	v_add_u32_dpp v2, v4, v2 row_shr:2 row_mask:0xf bank_mask:0xf bound_ctrl:1
	v_cndmask_b32_e64 v1, v1, v2, s[0:1]
	v_cmp_ge_i32_e64 s[0:1], s8, v1
	s_and_b64 s[0:1], vcc, s[0:1]
	v_cmp_gt_u32_e32 vcc, 4, v0
	s_and_b64 s[2:3], vcc, s[0:1]
	s_and_saveexec_b64 s[0:1], s[2:3]
	s_cbranch_execz .LBB39_2
; %bb.1:
	s_lshl_b32 s2, s7, 2
	s_add_i32 s2, s2, 0
	v_lshl_add_u32 v1, v1, 2, s2
	ds_write_b32 v1, v0 offset:12
.LBB39_2:
	s_or_b64 exec, exec, s[0:1]
	s_waitcnt lgkmcnt(0)
	s_barrier
	s_endpgm
	.section	.rodata,"a",@progbits
	.p2align	6, 0x0
	.amdhsa_kernel _ZN5aiter28grouped_topk_opt_sort_kernelIN3c108BFloat16EDv4_fLi4ELb0ELb1ELb0EEEvPT_PKS4_PfPimiiiif
		.amdhsa_group_segment_fixed_size 0
		.amdhsa_private_segment_fixed_size 0
		.amdhsa_kernarg_size 60
		.amdhsa_user_sgpr_count 6
		.amdhsa_user_sgpr_private_segment_buffer 1
		.amdhsa_user_sgpr_dispatch_ptr 0
		.amdhsa_user_sgpr_queue_ptr 0
		.amdhsa_user_sgpr_kernarg_segment_ptr 1
		.amdhsa_user_sgpr_dispatch_id 0
		.amdhsa_user_sgpr_flat_scratch_init 0
		.amdhsa_user_sgpr_kernarg_preload_length 0
		.amdhsa_user_sgpr_kernarg_preload_offset 0
		.amdhsa_user_sgpr_private_segment_size 0
		.amdhsa_uses_dynamic_stack 0
		.amdhsa_system_sgpr_private_segment_wavefront_offset 0
		.amdhsa_system_sgpr_workgroup_id_x 1
		.amdhsa_system_sgpr_workgroup_id_y 0
		.amdhsa_system_sgpr_workgroup_id_z 0
		.amdhsa_system_sgpr_workgroup_info 0
		.amdhsa_system_vgpr_workitem_id 0
		.amdhsa_next_free_vgpr 23
		.amdhsa_next_free_sgpr 9
		.amdhsa_accum_offset 24
		.amdhsa_reserve_vcc 1
		.amdhsa_reserve_flat_scratch 0
		.amdhsa_float_round_mode_32 0
		.amdhsa_float_round_mode_16_64 0
		.amdhsa_float_denorm_mode_32 3
		.amdhsa_float_denorm_mode_16_64 3
		.amdhsa_dx10_clamp 1
		.amdhsa_ieee_mode 1
		.amdhsa_fp16_overflow 0
		.amdhsa_tg_split 0
		.amdhsa_exception_fp_ieee_invalid_op 0
		.amdhsa_exception_fp_denorm_src 0
		.amdhsa_exception_fp_ieee_div_zero 0
		.amdhsa_exception_fp_ieee_overflow 0
		.amdhsa_exception_fp_ieee_underflow 0
		.amdhsa_exception_fp_ieee_inexact 0
		.amdhsa_exception_int_div_zero 0
	.end_amdhsa_kernel
	.section	.text._ZN5aiter28grouped_topk_opt_sort_kernelIN3c108BFloat16EDv4_fLi4ELb0ELb1ELb0EEEvPT_PKS4_PfPimiiiif,"axG",@progbits,_ZN5aiter28grouped_topk_opt_sort_kernelIN3c108BFloat16EDv4_fLi4ELb0ELb1ELb0EEEvPT_PKS4_PfPimiiiif,comdat
.Lfunc_end39:
	.size	_ZN5aiter28grouped_topk_opt_sort_kernelIN3c108BFloat16EDv4_fLi4ELb0ELb1ELb0EEEvPT_PKS4_PfPimiiiif, .Lfunc_end39-_ZN5aiter28grouped_topk_opt_sort_kernelIN3c108BFloat16EDv4_fLi4ELb0ELb1ELb0EEEvPT_PKS4_PfPimiiiif
                                        ; -- End function
	.section	.AMDGPU.csdata,"",@progbits
; Kernel info:
; codeLenInByte = 892
; NumSgprs: 13
; NumVgprs: 23
; NumAgprs: 0
; TotalNumVgprs: 23
; ScratchSize: 0
; MemoryBound: 0
; FloatMode: 240
; IeeeMode: 1
; LDSByteSize: 0 bytes/workgroup (compile time only)
; SGPRBlocks: 1
; VGPRBlocks: 2
; NumSGPRsForWavesPerEU: 13
; NumVGPRsForWavesPerEU: 23
; AccumOffset: 24
; Occupancy: 8
; WaveLimiterHint : 0
; COMPUTE_PGM_RSRC2:SCRATCH_EN: 0
; COMPUTE_PGM_RSRC2:USER_SGPR: 6
; COMPUTE_PGM_RSRC2:TRAP_HANDLER: 0
; COMPUTE_PGM_RSRC2:TGID_X_EN: 1
; COMPUTE_PGM_RSRC2:TGID_Y_EN: 0
; COMPUTE_PGM_RSRC2:TGID_Z_EN: 0
; COMPUTE_PGM_RSRC2:TIDIG_COMP_CNT: 0
; COMPUTE_PGM_RSRC3_GFX90A:ACCUM_OFFSET: 5
; COMPUTE_PGM_RSRC3_GFX90A:TG_SPLIT: 0
	.section	.text._ZN5aiter19grouped_topk_kernelIfDv4_fLi4ELb0ELb1ELb0EEEvPT_PKS2_PfPimiiiif,"axG",@progbits,_ZN5aiter19grouped_topk_kernelIfDv4_fLi4ELb0ELb1ELb0EEEvPT_PKS2_PfPimiiiif,comdat
	.protected	_ZN5aiter19grouped_topk_kernelIfDv4_fLi4ELb0ELb1ELb0EEEvPT_PKS2_PfPimiiiif ; -- Begin function _ZN5aiter19grouped_topk_kernelIfDv4_fLi4ELb0ELb1ELb0EEEvPT_PKS2_PfPimiiiif
	.globl	_ZN5aiter19grouped_topk_kernelIfDv4_fLi4ELb0ELb1ELb0EEEvPT_PKS2_PfPimiiiif
	.p2align	8
	.type	_ZN5aiter19grouped_topk_kernelIfDv4_fLi4ELb0ELb1ELb0EEEvPT_PKS2_PfPimiiiif,@function
_ZN5aiter19grouped_topk_kernelIfDv4_fLi4ELb0ELb1ELb0EEEvPT_PKS2_PfPimiiiif: ; @_ZN5aiter19grouped_topk_kernelIfDv4_fLi4ELb0ELb1ELb0EEEvPT_PKS2_PfPimiiiif
; %bb.0:
	s_load_dwordx4 s[12:15], s[4:5], 0x28
	s_load_dwordx4 s[16:19], s[4:5], 0x8
	s_load_dwordx2 s[20:21], s[4:5], 0x18
	s_waitcnt lgkmcnt(0)
	s_ashr_i32 s15, s12, 31
	s_lshr_b32 s0, s15, 30
	s_add_i32 s0, s12, s0
	s_ashr_i32 s7, s0, 2
	v_cmp_gt_i32_e64 s[0:1], s7, v0
	s_and_saveexec_b64 s[22:23], s[0:1]
	s_cbranch_execz .LBB40_3
; %bb.1:
	s_load_dwordx2 s[2:3], s[4:5], 0x0
	s_load_dword s10, s[4:5], 0x4c
	s_mul_i32 s8, s6, s12
	s_ashr_i32 s9, s8, 31
	s_lshl_b64 s[8:9], s[8:9], 2
	s_waitcnt lgkmcnt(0)
	s_add_u32 s26, s2, s8
	s_addc_u32 s2, s3, s9
	s_and_b32 s27, s10, 0xffff
	s_mov_b32 s3, 0
	v_lshlrev_b32_e32 v2, 4, v0
	v_mov_b32_e32 v1, 0
	s_lshl_b32 s28, s27, 4
	v_add_u32_e32 v3, 0, v2
	s_mov_b64 s[24:25], 0
	v_mov_b32_e32 v8, s2
	v_mov_b32_e32 v9, s17
	s_mov_b32 s29, 0xbfb8aa3b
	s_mov_b32 s30, 0x42ce8ed0
	;; [unrolled: 1-line block ×3, first 2 shown]
	v_mov_b32_e32 v10, 0x7f800000
	v_mov_b32_e32 v11, s3
	;; [unrolled: 1-line block ×3, first 2 shown]
.LBB40_2:                               ; =>This Inner Loop Header: Depth=1
	v_add_co_u32_e32 v4, vcc, s26, v2
	v_addc_co_u32_e32 v5, vcc, v8, v1, vcc
	v_add_co_u32_e32 v6, vcc, s16, v2
	v_addc_co_u32_e32 v7, vcc, v9, v1, vcc
	global_load_dwordx4 v[14:17], v[4:5], off
	global_load_dwordx4 v[18:21], v[6:7], off
	v_add_co_u32_e32 v2, vcc, s28, v2
	v_add_u32_e32 v12, s27, v12
	v_addc_co_u32_e32 v1, vcc, v1, v11, vcc
	v_cmp_le_i32_e32 vcc, s7, v12
	s_or_b64 s[24:25], vcc, s[24:25]
	s_waitcnt vmcnt(1)
	v_mul_f32_e32 v4, 0xbfb8aa3b, v15
	v_mul_f32_e32 v5, 0xbfb8aa3b, v14
	v_fma_f32 v13, v15, s29, -v4
	v_rndne_f32_e32 v22, v4
	v_fma_f32 v23, v14, s29, -v5
	v_rndne_f32_e32 v24, v5
	v_mul_f32_e32 v6, 0xbfb8aa3b, v17
	v_mul_f32_e32 v7, 0xbfb8aa3b, v16
	v_fmac_f32_e32 v13, 0xb2a5705f, v15
	v_sub_f32_e32 v4, v4, v22
	v_fmac_f32_e32 v23, 0xb2a5705f, v14
	v_sub_f32_e32 v5, v5, v24
	v_fma_f32 v25, v17, s29, -v6
	v_rndne_f32_e32 v26, v6
	v_fma_f32 v27, v16, s29, -v7
	v_rndne_f32_e32 v28, v7
	v_add_f32_e32 v4, v4, v13
	v_add_f32_e32 v5, v5, v23
	v_cvt_i32_f32_e32 v22, v22
	v_cvt_i32_f32_e32 v24, v24
	v_fmac_f32_e32 v25, 0xb2a5705f, v17
	v_sub_f32_e32 v6, v6, v26
	v_fmac_f32_e32 v27, 0xb2a5705f, v16
	v_sub_f32_e32 v7, v7, v28
	v_exp_f32_e32 v4, v4
	v_exp_f32_e32 v5, v5
	v_add_f32_e32 v6, v6, v25
	v_add_f32_e32 v7, v7, v27
	v_cvt_i32_f32_e32 v26, v26
	v_cvt_i32_f32_e32 v28, v28
	v_exp_f32_e32 v6, v6
	v_exp_f32_e32 v7, v7
	v_ldexp_f32 v4, v4, v22
	v_ldexp_f32 v5, v5, v24
	v_cmp_nlt_f32_e32 vcc, s30, v14
	v_cmp_nlt_f32_e64 s[10:11], s30, v15
	v_cndmask_b32_e64 v4, 0, v4, s[10:11]
	v_cndmask_b32_e32 v13, 0, v5, vcc
	v_cmp_ngt_f32_e32 vcc, s31, v14
	v_cmp_ngt_f32_e64 s[10:11], s31, v15
	v_ldexp_f32 v6, v6, v26
	v_cmp_nlt_f32_e64 s[2:3], s30, v17
	v_ldexp_f32 v7, v7, v28
	v_cmp_nlt_f32_e64 s[8:9], s30, v16
	v_cndmask_b32_e64 v5, v10, v4, s[10:11]
	v_cndmask_b32_e32 v4, v10, v13, vcc
	v_cndmask_b32_e64 v6, 0, v6, s[2:3]
	v_cmp_ngt_f32_e64 s[2:3], s31, v17
	v_cndmask_b32_e64 v14, 0, v7, s[8:9]
	v_cmp_ngt_f32_e64 s[8:9], s31, v16
	v_pk_add_f32 v[4:5], v[4:5], 1.0 op_sel_hi:[1,0]
	v_cndmask_b32_e64 v7, v10, v6, s[2:3]
	v_cndmask_b32_e64 v6, v10, v14, s[8:9]
	v_div_scale_f32 v13, s[2:3], v5, v5, 1.0
	v_pk_add_f32 v[6:7], v[6:7], 1.0 op_sel_hi:[1,0]
	v_div_scale_f32 v15, s[2:3], v4, v4, 1.0
	v_rcp_f32_e32 v25, v13
	v_div_scale_f32 v17, s[8:9], v7, v7, 1.0
	v_rcp_f32_e32 v26, v15
	;; [unrolled: 2-line block ×3, first 2 shown]
	v_rcp_f32_e32 v28, v23
	v_fma_f32 v29, -v13, v25, 1.0
	v_div_scale_f32 v14, vcc, 1.0, v5, 1.0
	v_fma_f32 v30, -v15, v26, 1.0
	v_fmac_f32_e32 v25, v29, v25
	v_div_scale_f32 v16, s[2:3], 1.0, v4, 1.0
	v_fma_f32 v31, -v17, v27, 1.0
	v_fmac_f32_e32 v26, v30, v26
	v_mul_f32_e32 v29, v14, v25
	v_div_scale_f32 v22, s[8:9], 1.0, v7, 1.0
	v_fma_f32 v32, -v23, v28, 1.0
	v_fmac_f32_e32 v27, v31, v27
	v_mul_f32_e32 v30, v16, v26
	v_fma_f32 v33, -v13, v29, v14
	v_div_scale_f32 v24, s[10:11], 1.0, v6, 1.0
	v_fmac_f32_e32 v28, v32, v28
	v_mul_f32_e32 v31, v22, v27
	v_fma_f32 v34, -v15, v30, v16
	v_fmac_f32_e32 v29, v33, v25
	v_mul_f32_e32 v32, v24, v28
	v_fma_f32 v35, -v17, v31, v22
	v_fmac_f32_e32 v30, v34, v26
	v_fma_f32 v13, -v13, v29, v14
	v_fma_f32 v36, -v23, v32, v24
	v_fmac_f32_e32 v31, v35, v27
	v_fma_f32 v14, -v15, v30, v16
	v_div_fmas_f32 v13, v13, v25, v29
	s_mov_b64 vcc, s[2:3]
	v_fmac_f32_e32 v32, v36, v28
	v_fma_f32 v15, -v17, v31, v22
	v_div_fixup_f32 v5, v13, v5, 1.0
	v_div_fmas_f32 v13, v14, v26, v30
	s_mov_b64 vcc, s[8:9]
	v_fma_f32 v16, -v23, v32, v24
	v_div_fixup_f32 v4, v13, v4, 1.0
	v_div_fmas_f32 v13, v15, v27, v31
	s_mov_b64 vcc, s[10:11]
	v_div_fixup_f32 v7, v13, v7, 1.0
	v_div_fmas_f32 v13, v16, v28, v32
	v_div_fixup_f32 v6, v13, v6, 1.0
	s_waitcnt vmcnt(0)
	v_pk_add_f32 v[4:5], v[18:19], v[4:5]
	v_pk_add_f32 v[6:7], v[20:21], v[6:7]
	ds_write_b128 v3, v[4:7]
	v_add_u32_e32 v3, s28, v3
	s_andn2_b64 exec, exec, s[24:25]
	s_cbranch_execnz .LBB40_2
.LBB40_3:
	s_or_b64 exec, exec, s[22:23]
	s_lshl_b32 s2, s12, 2
	s_add_i32 s28, s2, 0
	v_cmp_gt_u32_e32 vcc, 64, v0
	s_waitcnt lgkmcnt(0)
	s_barrier
	s_and_saveexec_b64 s[10:11], vcc
	s_cbranch_execz .LBB40_12
; %bb.4:
	s_load_dword s8, s[4:5], 0x4c
	v_lshrrev_b32_e32 v2, 4, v0
	s_lshr_b32 s2, s15, 28
	v_and_b32_e32 v1, 15, v0
	s_add_i32 s2, s12, s2
	s_waitcnt lgkmcnt(0)
	s_bfe_u32 s15, s8, 0xc0004
	v_mul_lo_u32 v3, s7, v2
	s_ashr_i32 s12, s2, 4
	v_lshlrev_b32_e32 v3, 2, v3
	v_lshlrev_b32_e32 v4, 4, v1
	s_mul_i32 s8, s7, s15
	v_cmp_gt_i32_e32 vcc, s12, v1
	v_cmp_eq_u32_e64 s[2:3], 0, v1
	v_add3_u32 v3, v3, v4, 0
	s_lshl_b32 s29, s8, 2
	s_mov_b64 s[22:23], 0
	s_branch .LBB40_6
.LBB40_5:                               ;   in Loop: Header=BB40_6 Depth=1
	s_or_b64 exec, exec, s[8:9]
	v_add_u32_e32 v2, s15, v2
	v_cmp_lt_u32_e64 s[8:9], 3, v2
	s_or_b64 s[22:23], s[8:9], s[22:23]
	v_add_u32_e32 v3, s29, v3
	s_andn2_b64 exec, exec, s[22:23]
	s_cbranch_execz .LBB40_12
.LBB40_6:                               ; =>This Loop Header: Depth=1
                                        ;     Child Loop BB40_8 Depth 2
	v_mov_b32_e32 v4, 0xff800000
	v_mov_b32_e32 v7, 0xff800000
	s_and_saveexec_b64 s[24:25], vcc
	s_cbranch_execz .LBB40_10
; %bb.7:                                ;   in Loop: Header=BB40_6 Depth=1
	s_mov_b64 s[26:27], 0
	v_mov_b32_e32 v4, 0xff800000
	v_mov_b32_e32 v5, v3
	;; [unrolled: 1-line block ×4, first 2 shown]
.LBB40_8:                               ;   Parent Loop BB40_6 Depth=1
                                        ; =>  This Inner Loop Header: Depth=2
	ds_read_b128 v[8:11], v5
	v_add_u32_e32 v6, 16, v6
	v_max_f32_e32 v7, v7, v7
	v_cmp_le_i32_e64 s[8:9], s12, v6
	s_or_b64 s[26:27], s[8:9], s[26:27]
	s_waitcnt lgkmcnt(0)
	v_max_f32_e32 v13, v8, v8
	v_max_f32_e32 v7, v13, v7
	v_cmp_gt_f32_e64 s[8:9], v8, v4
	v_max_f32_e32 v12, v4, v4
	v_cndmask_b32_e64 v4, v7, v4, s[8:9]
	v_max_f32_e32 v14, v9, v9
	v_max_f32_e32 v12, v13, v12
	;; [unrolled: 1-line block ×4, first 2 shown]
	v_cmp_gt_f32_e64 s[8:9], v9, v12
	v_max_f32_e32 v15, v10, v10
	v_max_f32_e32 v7, v14, v12
	v_cndmask_b32_e64 v9, v13, v12, s[8:9]
	v_max_f32_e32 v9, v15, v9
	v_cmp_gt_f32_e64 s[8:9], v10, v7
	v_max_f32_e32 v16, v11, v11
	v_max_f32_e32 v8, v15, v7
	v_cndmask_b32_e64 v7, v9, v7, s[8:9]
	v_max_f32_e32 v7, v16, v7
	v_cmp_gt_f32_e64 s[8:9], v11, v8
	v_add_u32_e32 v5, 0x100, v5
	v_max_f32_e32 v4, v16, v8
	v_cndmask_b32_e64 v7, v7, v8, s[8:9]
	s_andn2_b64 exec, exec, s[26:27]
	s_cbranch_execnz .LBB40_8
; %bb.9:                                ;   in Loop: Header=BB40_6 Depth=1
	s_or_b64 exec, exec, s[26:27]
.LBB40_10:                              ;   in Loop: Header=BB40_6 Depth=1
	s_or_b64 exec, exec, s[24:25]
	s_and_saveexec_b64 s[8:9], s[2:3]
	s_cbranch_execz .LBB40_5
; %bb.11:                               ;   in Loop: Header=BB40_6 Depth=1
	v_lshl_add_u32 v5, v2, 2, s28
	v_add_f32_e32 v4, v7, v4
	ds_write_b32 v5, v4
	s_branch .LBB40_5
.LBB40_12:
	s_or_b64 exec, exec, s[10:11]
	s_cmp_lt_i32 s14, 1
	s_waitcnt lgkmcnt(0)
	s_barrier
	s_cbranch_scc1 .LBB40_15
; %bb.13:
	v_mov_b32_e32 v1, s28
	s_mov_b32 s2, 0xff800000
	v_mov_b32_e32 v2, 0xff800000
.LBB40_14:                              ; =>This Inner Loop Header: Depth=1
	ds_read2_b32 v[4:5], v1 offset1:1
	ds_read2_b32 v[6:7], v1 offset0:2 offset1:3
	s_waitcnt lgkmcnt(1)
	v_cmp_nlg_f32_e32 vcc, s2, v4
	v_cndmask_b32_e64 v3, 0, 1, vcc
	v_cmp_lg_f32_e32 vcc, s2, v4
	v_cndmask_b32_e32 v4, v2, v4, vcc
	v_readfirstlane_b32 s3, v3
	v_cmp_gt_f32_e32 vcc, v5, v4
	s_lshl_b32 s3, s3, 2
	v_cndmask_b32_e32 v3, v4, v5, vcc
	s_and_b64 s[8:9], vcc, exec
	s_waitcnt lgkmcnt(0)
	v_cmp_gt_f32_e32 vcc, v6, v3
	v_cndmask_b32_e32 v3, v3, v6, vcc
	s_cselect_b32 s3, 1, s3
	s_and_b64 s[8:9], vcc, exec
	v_cmp_ngt_f32_e32 vcc, v7, v3
	s_cselect_b32 s3, 2, s3
	s_and_b64 s[8:9], vcc, exec
	s_cselect_b32 s3, s3, 3
	s_lshl_b32 s3, s3, 2
	s_add_i32 s3, s28, s3
	s_add_i32 s14, s14, -1
	v_mov_b32_e32 v3, s3
	s_cmp_lg_u32 s14, 0
	ds_write_b32 v3, v2
	s_cbranch_scc1 .LBB40_14
.LBB40_15:
	v_lshlrev_b32_e32 v1, 2, v0
	v_lshl_add_u32 v6, v0, 4, 0
	s_and_saveexec_b64 s[2:3], s[0:1]
	s_cbranch_execz .LBB40_20
; %bb.16:
	s_abs_i32 s12, s7
	v_cvt_f32_u32_e32 v2, s12
	s_load_dword s10, s[4:5], 0x4c
	s_sub_i32 s11, 0, s12
	s_ashr_i32 s14, s7, 31
	v_rcp_iflag_f32_e32 v2, v2
	v_lshlrev_b32_e32 v7, 2, v0
	s_waitcnt lgkmcnt(0)
	s_and_b32 s15, s10, 0xffff
	v_lshl_add_u32 v8, v0, 4, 0
	v_mul_f32_e32 v2, 0x4f7ffffe, v2
	v_cvt_u32_f32_e32 v2, v2
	s_mov_b64 s[8:9], 0
	s_lshl_b32 s22, s15, 2
	s_lshl_b32 s23, s15, 4
	v_mul_lo_u32 v3, s11, v2
	v_mul_hi_u32 v3, v2, v3
	v_add_u32_e32 v9, v2, v3
	s_mov_b32 s24, 0xff800000
	v_mov_b32_e32 v2, 0xff800000
	v_mov_b32_e32 v10, v0
	s_branch .LBB40_18
.LBB40_17:                              ;   in Loop: Header=BB40_18 Depth=1
	s_or_b64 exec, exec, s[10:11]
	v_add_u32_e32 v10, s15, v10
	v_cmp_le_i32_e32 vcc, s7, v10
	v_add_u32_e32 v7, s22, v7
	s_or_b64 s[8:9], vcc, s[8:9]
	v_add_u32_e32 v8, s23, v8
	s_andn2_b64 exec, exec, s[8:9]
	s_cbranch_execz .LBB40_20
.LBB40_18:                              ; =>This Inner Loop Header: Depth=1
	v_mul_hi_u32 v3, v7, v9
	v_mul_lo_u32 v4, v3, s12
	v_sub_u32_e32 v4, v7, v4
	v_add_u32_e32 v5, 1, v3
	v_cmp_le_u32_e32 vcc, s12, v4
	v_cndmask_b32_e32 v3, v3, v5, vcc
	v_subrev_u32_e32 v5, s12, v4
	v_cndmask_b32_e32 v4, v4, v5, vcc
	v_add_u32_e32 v5, 1, v3
	v_cmp_le_u32_e32 vcc, s12, v4
	v_cndmask_b32_e32 v3, v3, v5, vcc
	v_xor_b32_e32 v3, s14, v3
	v_subrev_u32_e32 v3, s14, v3
	v_lshl_add_u32 v3, v3, 2, s28
	ds_read_b32 v3, v3
	s_waitcnt lgkmcnt(0)
	v_cmp_neq_f32_e32 vcc, s24, v3
	s_and_saveexec_b64 s[10:11], vcc
	s_cbranch_execz .LBB40_17
; %bb.19:                               ;   in Loop: Header=BB40_18 Depth=1
	v_mov_b32_e32 v3, v2
	v_mov_b32_e32 v4, v2
	;; [unrolled: 1-line block ×3, first 2 shown]
	ds_write_b128 v8, v[2:5]
	s_branch .LBB40_17
.LBB40_20:
	s_or_b64 exec, exec, s[2:3]
	s_cmp_lt_i32 s13, 1
	s_waitcnt lgkmcnt(0)
	s_barrier
	s_cbranch_scc1 .LBB40_27
; %bb.21:
	s_add_u32 s2, s4, 64
	s_addc_u32 s3, s5, 0
	s_mov_b32 s12, 0
	v_mov_b32_e32 v4, 0xff800000
                                        ; implicit-def: $vgpr3
                                        ; implicit-def: $vgpr2
	s_branch .LBB40_23
.LBB40_22:                              ;   in Loop: Header=BB40_23 Depth=1
	s_or_b64 exec, exec, s[8:9]
	v_mov_b32_dpp v9, v7 quad_perm:[1,0,3,2] row_mask:0xf bank_mask:0xf
	v_cmp_lt_f32_e32 vcc, v7, v9
	v_cndmask_b32_e32 v7, v7, v9, vcc
	v_mov_b32_dpp v8, v5 quad_perm:[1,0,3,2] row_mask:0xf bank_mask:0xf
	v_cndmask_b32_e32 v5, v5, v8, vcc
	v_mov_b32_dpp v9, v7 quad_perm:[2,3,0,1] row_mask:0xf bank_mask:0xf
	v_cmp_gt_f32_e32 vcc, v9, v7
	v_cndmask_b32_e32 v7, v7, v9, vcc
	v_mov_b32_dpp v8, v5 quad_perm:[2,3,0,1] row_mask:0xf bank_mask:0xf
	v_cndmask_b32_e32 v5, v5, v8, vcc
	v_mov_b32_dpp v9, v7 row_half_mirror row_mask:0xf bank_mask:0xf
	v_cmp_gt_f32_e32 vcc, v9, v7
	v_cndmask_b32_e32 v7, v7, v9, vcc
	v_mov_b32_dpp v8, v5 row_half_mirror row_mask:0xf bank_mask:0xf
	v_cndmask_b32_e32 v5, v5, v8, vcc
	v_mov_b32_dpp v9, v7 row_mirror row_mask:0xf bank_mask:0xf
	v_cmp_gt_f32_e32 vcc, v9, v7
	v_cndmask_b32_e32 v7, v7, v9, vcc
	v_mov_b32_dpp v8, v5 row_mirror row_mask:0xf bank_mask:0xf
	v_cndmask_b32_e32 v5, v5, v8, vcc
	v_mov_b32_dpp v9, v7 row_bcast:15 row_mask:0xf bank_mask:0xf
	v_cmp_gt_f32_e32 vcc, v9, v7
	v_mov_b32_dpp v8, v5 row_bcast:15 row_mask:0xf bank_mask:0xf
	v_cndmask_b32_e32 v7, v7, v9, vcc
	v_cndmask_b32_e32 v5, v5, v8, vcc
	s_nop 0
	v_mov_b32_dpp v9, v7 row_bcast:31 row_mask:0xf bank_mask:0xf
	v_mov_b32_dpp v8, v5 row_bcast:31 row_mask:0xf bank_mask:0xf
	v_cmp_gt_f32_e32 vcc, v9, v7
	v_cndmask_b32_e32 v5, v5, v8, vcc
	v_readlane_b32 s8, v5, 63
	s_ashr_i32 s9, s8, 31
	s_lshl_b64 s[10:11], s[8:9], 2
	s_add_u32 s10, s16, s10
	s_addc_u32 s11, s17, s11
	s_load_dword s9, s[10:11], 0x0
	v_cndmask_b32_e32 v5, v7, v9, vcc
	v_readlane_b32 s10, v5, 63
	v_cmp_eq_u32_e32 vcc, s12, v0
	s_add_i32 s12, s12, 1
	s_waitcnt lgkmcnt(0)
	v_mov_b32_e32 v5, s9
	s_lshl_b32 s9, s8, 2
	s_add_i32 s9, s9, 0
	v_mov_b32_e32 v7, s9
	v_sub_f32_e32 v5, s10, v5
	ds_write_b32 v7, v4
	v_mov_b32_e32 v7, s8
	v_cndmask_b32_e32 v2, v2, v7, vcc
	s_cmp_eq_u32 s12, s13
	v_cndmask_b32_e32 v3, v3, v5, vcc
	s_cbranch_scc1 .LBB40_28
.LBB40_23:                              ; =>This Loop Header: Depth=1
                                        ;     Child Loop BB40_25 Depth 2
	v_mov_b32_e32 v5, s12
	v_mov_b32_e32 v7, 0xff800000
	s_and_saveexec_b64 s[8:9], s[0:1]
	s_cbranch_execz .LBB40_22
; %bb.24:                               ;   in Loop: Header=BB40_23 Depth=1
	s_load_dword s14, s[2:3], 0xc
	s_mov_b64 s[10:11], 0
	v_mov_b32_e32 v5, s12
	v_mov_b32_e32 v7, 0xff800000
	;; [unrolled: 1-line block ×3, first 2 shown]
	s_waitcnt lgkmcnt(0)
	s_and_b32 s14, s14, 0xffff
	s_lshl_b32 s15, s14, 2
	s_lshl_b32 s22, s14, 4
	v_mov_b32_e32 v9, v1
	v_mov_b32_e32 v10, v0
.LBB40_25:                              ;   Parent Loop BB40_23 Depth=1
                                        ; =>  This Inner Loop Header: Depth=2
	ds_read_b128 v[12:15], v8
	v_add_u32_e32 v10, s14, v10
	v_cmp_le_i32_e32 vcc, s7, v10
	s_or_b64 s[10:11], vcc, s[10:11]
	v_add_u32_e32 v11, 1, v9
	s_waitcnt lgkmcnt(0)
	v_cmp_gt_f32_e32 vcc, v12, v7
	v_cndmask_b32_e32 v7, v7, v12, vcc
	v_cndmask_b32_e32 v5, v5, v9, vcc
	v_cmp_gt_f32_e32 vcc, v13, v7
	v_cndmask_b32_e32 v7, v7, v13, vcc
	v_cndmask_b32_e32 v5, v5, v11, vcc
	v_cmp_gt_f32_e32 vcc, v14, v7
	v_add_u32_e32 v16, 2, v9
	v_cndmask_b32_e32 v7, v7, v14, vcc
	v_add_u32_e32 v17, 3, v9
	v_cndmask_b32_e32 v5, v5, v16, vcc
	v_cmp_gt_f32_e32 vcc, v15, v7
	v_add_u32_e32 v8, s22, v8
	v_add_u32_e32 v9, s15, v9
	v_cndmask_b32_e32 v7, v7, v15, vcc
	v_cndmask_b32_e32 v5, v5, v17, vcc
	s_andn2_b64 exec, exec, s[10:11]
	s_cbranch_execnz .LBB40_25
; %bb.26:                               ;   in Loop: Header=BB40_23 Depth=1
	s_or_b64 exec, exec, s[10:11]
	s_branch .LBB40_22
.LBB40_27:
                                        ; implicit-def: $vgpr3
                                        ; implicit-def: $vgpr2
.LBB40_28:
	v_cmp_gt_i32_e32 vcc, s13, v0
	s_and_saveexec_b64 s[0:1], vcc
	s_cbranch_execz .LBB40_31
; %bb.29:
	s_load_dword s2, s[4:5], 0x38
	s_load_dwordx2 s[0:1], s[4:5], 0x20
	s_ashr_i32 s3, s6, 31
	s_load_dword s4, s[4:5], 0x4c
	v_mov_b32_e32 v4, s19
	s_waitcnt lgkmcnt(0)
	v_mul_f32_e32 v1, s2, v3
	s_mul_i32 s1, s6, s1
	s_mul_hi_u32 s2, s6, s0
	s_add_i32 s1, s2, s1
	s_mul_i32 s3, s3, s0
	s_add_i32 s5, s1, s3
	s_mul_i32 s2, s6, s0
	s_and_b32 s3, s4, 0xffff
	s_mov_b64 s[0:1], 0
	v_mov_b32_e32 v3, s5
	v_mov_b32_e32 v5, s21
.LBB40_30:                              ; =>This Inner Loop Header: Depth=1
	v_ashrrev_i32_e32 v7, 31, v0
	v_add_co_u32_e32 v6, vcc, s2, v0
	v_addc_co_u32_e32 v7, vcc, v3, v7, vcc
	v_add_u32_e32 v0, s3, v0
	v_cmp_le_i32_e32 vcc, s13, v0
	v_lshlrev_b64 v[6:7], 2, v[6:7]
	s_or_b64 s[0:1], vcc, s[0:1]
	v_add_co_u32_e32 v8, vcc, s18, v6
	v_addc_co_u32_e32 v9, vcc, v4, v7, vcc
	v_add_co_u32_e32 v6, vcc, s20, v6
	v_addc_co_u32_e32 v7, vcc, v5, v7, vcc
	global_store_dword v[8:9], v1, off
	global_store_dword v[6:7], v2, off
	s_andn2_b64 exec, exec, s[0:1]
	s_cbranch_execnz .LBB40_30
.LBB40_31:
	s_endpgm
	.section	.rodata,"a",@progbits
	.p2align	6, 0x0
	.amdhsa_kernel _ZN5aiter19grouped_topk_kernelIfDv4_fLi4ELb0ELb1ELb0EEEvPT_PKS2_PfPimiiiif
		.amdhsa_group_segment_fixed_size 0
		.amdhsa_private_segment_fixed_size 0
		.amdhsa_kernarg_size 320
		.amdhsa_user_sgpr_count 6
		.amdhsa_user_sgpr_private_segment_buffer 1
		.amdhsa_user_sgpr_dispatch_ptr 0
		.amdhsa_user_sgpr_queue_ptr 0
		.amdhsa_user_sgpr_kernarg_segment_ptr 1
		.amdhsa_user_sgpr_dispatch_id 0
		.amdhsa_user_sgpr_flat_scratch_init 0
		.amdhsa_user_sgpr_kernarg_preload_length 0
		.amdhsa_user_sgpr_kernarg_preload_offset 0
		.amdhsa_user_sgpr_private_segment_size 0
		.amdhsa_uses_dynamic_stack 0
		.amdhsa_system_sgpr_private_segment_wavefront_offset 0
		.amdhsa_system_sgpr_workgroup_id_x 1
		.amdhsa_system_sgpr_workgroup_id_y 0
		.amdhsa_system_sgpr_workgroup_id_z 0
		.amdhsa_system_sgpr_workgroup_info 0
		.amdhsa_system_vgpr_workitem_id 0
		.amdhsa_next_free_vgpr 37
		.amdhsa_next_free_sgpr 32
		.amdhsa_accum_offset 40
		.amdhsa_reserve_vcc 1
		.amdhsa_reserve_flat_scratch 0
		.amdhsa_float_round_mode_32 0
		.amdhsa_float_round_mode_16_64 0
		.amdhsa_float_denorm_mode_32 3
		.amdhsa_float_denorm_mode_16_64 3
		.amdhsa_dx10_clamp 1
		.amdhsa_ieee_mode 1
		.amdhsa_fp16_overflow 0
		.amdhsa_tg_split 0
		.amdhsa_exception_fp_ieee_invalid_op 0
		.amdhsa_exception_fp_denorm_src 0
		.amdhsa_exception_fp_ieee_div_zero 0
		.amdhsa_exception_fp_ieee_overflow 0
		.amdhsa_exception_fp_ieee_underflow 0
		.amdhsa_exception_fp_ieee_inexact 0
		.amdhsa_exception_int_div_zero 0
	.end_amdhsa_kernel
	.section	.text._ZN5aiter19grouped_topk_kernelIfDv4_fLi4ELb0ELb1ELb0EEEvPT_PKS2_PfPimiiiif,"axG",@progbits,_ZN5aiter19grouped_topk_kernelIfDv4_fLi4ELb0ELb1ELb0EEEvPT_PKS2_PfPimiiiif,comdat
.Lfunc_end40:
	.size	_ZN5aiter19grouped_topk_kernelIfDv4_fLi4ELb0ELb1ELb0EEEvPT_PKS2_PfPimiiiif, .Lfunc_end40-_ZN5aiter19grouped_topk_kernelIfDv4_fLi4ELb0ELb1ELb0EEEvPT_PKS2_PfPimiiiif
                                        ; -- End function
	.section	.AMDGPU.csdata,"",@progbits
; Kernel info:
; codeLenInByte = 2460
; NumSgprs: 36
; NumVgprs: 37
; NumAgprs: 0
; TotalNumVgprs: 37
; ScratchSize: 0
; MemoryBound: 0
; FloatMode: 240
; IeeeMode: 1
; LDSByteSize: 0 bytes/workgroup (compile time only)
; SGPRBlocks: 4
; VGPRBlocks: 4
; NumSGPRsForWavesPerEU: 36
; NumVGPRsForWavesPerEU: 37
; AccumOffset: 40
; Occupancy: 8
; WaveLimiterHint : 0
; COMPUTE_PGM_RSRC2:SCRATCH_EN: 0
; COMPUTE_PGM_RSRC2:USER_SGPR: 6
; COMPUTE_PGM_RSRC2:TRAP_HANDLER: 0
; COMPUTE_PGM_RSRC2:TGID_X_EN: 1
; COMPUTE_PGM_RSRC2:TGID_Y_EN: 0
; COMPUTE_PGM_RSRC2:TGID_Z_EN: 0
; COMPUTE_PGM_RSRC2:TIDIG_COMP_CNT: 0
; COMPUTE_PGM_RSRC3_GFX90A:ACCUM_OFFSET: 9
; COMPUTE_PGM_RSRC3_GFX90A:TG_SPLIT: 0
	.section	.text._ZN5aiter19grouped_topk_kernelIN3c104HalfEDv4_fLi4ELb0ELb1ELb0EEEvPT_PKS4_PfPimiiiif,"axG",@progbits,_ZN5aiter19grouped_topk_kernelIN3c104HalfEDv4_fLi4ELb0ELb1ELb0EEEvPT_PKS4_PfPimiiiif,comdat
	.protected	_ZN5aiter19grouped_topk_kernelIN3c104HalfEDv4_fLi4ELb0ELb1ELb0EEEvPT_PKS4_PfPimiiiif ; -- Begin function _ZN5aiter19grouped_topk_kernelIN3c104HalfEDv4_fLi4ELb0ELb1ELb0EEEvPT_PKS4_PfPimiiiif
	.globl	_ZN5aiter19grouped_topk_kernelIN3c104HalfEDv4_fLi4ELb0ELb1ELb0EEEvPT_PKS4_PfPimiiiif
	.p2align	8
	.type	_ZN5aiter19grouped_topk_kernelIN3c104HalfEDv4_fLi4ELb0ELb1ELb0EEEvPT_PKS4_PfPimiiiif,@function
_ZN5aiter19grouped_topk_kernelIN3c104HalfEDv4_fLi4ELb0ELb1ELb0EEEvPT_PKS4_PfPimiiiif: ; @_ZN5aiter19grouped_topk_kernelIN3c104HalfEDv4_fLi4ELb0ELb1ELb0EEEvPT_PKS4_PfPimiiiif
; %bb.0:
	s_load_dwordx4 s[12:15], s[4:5], 0x28
	s_load_dwordx4 s[16:19], s[4:5], 0x8
	s_load_dwordx2 s[20:21], s[4:5], 0x18
	v_lshl_add_u32 v8, v0, 4, 0
	s_waitcnt lgkmcnt(0)
	s_ashr_i32 s15, s12, 31
	s_lshr_b32 s0, s15, 30
	s_add_i32 s0, s12, s0
	s_ashr_i32 s7, s0, 2
	v_cmp_gt_i32_e64 s[0:1], s7, v0
	s_and_saveexec_b64 s[22:23], s[0:1]
	s_cbranch_execz .LBB41_3
; %bb.1:
	s_load_dwordx2 s[2:3], s[4:5], 0x0
	s_load_dword s10, s[4:5], 0x4c
	s_mul_i32 s8, s6, s12
	s_ashr_i32 s9, s8, 31
	s_lshl_b64 s[8:9], s[8:9], 1
	s_waitcnt lgkmcnt(0)
	s_add_u32 s26, s2, s8
	s_addc_u32 s2, s3, s9
	s_and_b32 s27, s10, 0xffff
	s_mov_b32 s3, 0
	v_lshlrev_b32_e32 v2, 3, v0
	v_mov_b32_e32 v1, 0
	s_lshl_b32 s28, s27, 3
	v_lshl_add_u32 v3, v0, 4, 0
	s_lshl_b32 s29, s27, 4
	s_mov_b64 s[24:25], 0
	v_mov_b32_e32 v9, s2
	v_mov_b32_e32 v10, s17
	s_mov_b32 s30, 0x3fb8aa3b
	s_mov_b32 s31, 0x32a5705f
	;; [unrolled: 1-line block ×4, first 2 shown]
	v_mov_b32_e32 v11, 0x7f800000
	v_mov_b32_e32 v12, s3
	;; [unrolled: 1-line block ×3, first 2 shown]
.LBB41_2:                               ; =>This Inner Loop Header: Depth=1
	v_add_co_u32_e32 v4, vcc, s26, v2
	v_addc_co_u32_e32 v5, vcc, v9, v1, vcc
	v_add_co_u32_e32 v6, vcc, s16, v2
	v_addc_co_u32_e32 v7, vcc, v10, v1, vcc
	global_load_dwordx2 v[14:15], v[6:7], off
	global_load_dwordx2 v[16:17], v[4:5], off
	v_add_co_u32_e32 v2, vcc, s28, v2
	v_add_u32_e32 v13, s27, v13
	v_addc_co_u32_e32 v1, vcc, v1, v12, vcc
	v_cmp_le_i32_e32 vcc, s7, v13
	s_or_b64 s[24:25], vcc, s[24:25]
	s_waitcnt vmcnt(1)
	v_cvt_f32_f16_e32 v4, v14
	v_cvt_f32_f16_sdwa v5, v14 dst_sel:DWORD dst_unused:UNUSED_PAD src0_sel:WORD_1
	v_cvt_f32_f16_e32 v6, v15
	v_cvt_f32_f16_sdwa v7, v15 dst_sel:DWORD dst_unused:UNUSED_PAD src0_sel:WORD_1
	s_waitcnt vmcnt(0)
	v_cvt_f32_f16_e64 v14, -v16
	v_cvt_f32_f16_sdwa v15, -v16 dst_sel:DWORD dst_unused:UNUSED_PAD src0_sel:WORD_1
	v_cvt_f32_f16_e64 v18, -v17
	v_cvt_f32_f16_sdwa v19, -v17 dst_sel:DWORD dst_unused:UNUSED_PAD src0_sel:WORD_1
	v_mul_f32_e32 v20, 0x3fb8aa3b, v14
	v_mul_f32_e32 v21, 0x3fb8aa3b, v15
	v_fma_mix_f32 v24, -v16, s30, -v20 op_sel_hi:[1,0,0]
	v_rndne_f32_e32 v25, v20
	v_fma_mix_f32 v26, -v16, s30, -v21 op_sel:[1,0,0] op_sel_hi:[1,0,0]
	v_rndne_f32_e32 v27, v21
	v_mul_f32_e32 v22, 0x3fb8aa3b, v18
	v_mul_f32_e32 v23, 0x3fb8aa3b, v19
	v_fma_mix_f32 v24, -v16, s31, v24 op_sel_hi:[1,0,0]
	v_sub_f32_e32 v20, v20, v25
	v_fma_mix_f32 v16, -v16, s31, v26 op_sel:[1,0,0] op_sel_hi:[1,0,0]
	v_sub_f32_e32 v21, v21, v27
	v_fma_mix_f32 v28, -v17, s30, -v22 op_sel_hi:[1,0,0]
	v_rndne_f32_e32 v29, v22
	v_fma_mix_f32 v30, -v17, s30, -v23 op_sel:[1,0,0] op_sel_hi:[1,0,0]
	v_rndne_f32_e32 v31, v23
	v_add_f32_e32 v20, v20, v24
	v_add_f32_e32 v16, v21, v16
	v_cvt_i32_f32_e32 v25, v25
	v_cvt_i32_f32_e32 v26, v27
	v_fma_mix_f32 v27, -v17, s31, v28 op_sel_hi:[1,0,0]
	v_sub_f32_e32 v22, v22, v29
	v_fma_mix_f32 v17, -v17, s31, v30 op_sel:[1,0,0] op_sel_hi:[1,0,0]
	v_sub_f32_e32 v23, v23, v31
	v_exp_f32_e32 v20, v20
	v_exp_f32_e32 v16, v16
	v_add_f32_e32 v21, v22, v27
	v_add_f32_e32 v17, v23, v17
	v_cvt_i32_f32_e32 v28, v29
	v_cvt_i32_f32_e32 v29, v31
	v_exp_f32_e32 v21, v21
	v_exp_f32_e32 v17, v17
	v_ldexp_f32 v20, v20, v25
	v_ldexp_f32 v16, v16, v26
	v_cmp_ngt_f32_e32 vcc, s33, v15
	v_cmp_ngt_f32_e64 s[10:11], s33, v14
	v_cndmask_b32_e64 v20, 0, v20, s[10:11]
	v_cndmask_b32_e32 v16, 0, v16, vcc
	v_cmp_nlt_f32_e32 vcc, s34, v15
	v_cmp_nlt_f32_e64 s[10:11], s34, v14
	v_ldexp_f32 v21, v21, v28
	v_cmp_ngt_f32_e64 s[2:3], s33, v18
	v_ldexp_f32 v17, v17, v29
	v_cmp_ngt_f32_e64 s[8:9], s33, v19
	v_cndmask_b32_e64 v14, v11, v20, s[10:11]
	v_cndmask_b32_e32 v15, v11, v16, vcc
	v_cndmask_b32_e64 v21, 0, v21, s[2:3]
	v_cmp_nlt_f32_e64 s[2:3], s34, v18
	v_cndmask_b32_e64 v17, 0, v17, s[8:9]
	v_cmp_nlt_f32_e64 s[8:9], s34, v19
	v_pk_add_f32 v[14:15], v[14:15], 1.0 op_sel_hi:[1,0]
	v_cndmask_b32_e64 v16, v11, v21, s[2:3]
	v_cndmask_b32_e64 v17, v11, v17, s[8:9]
	v_div_scale_f32 v18, s[2:3], v15, v15, 1.0
	v_pk_add_f32 v[16:17], v[16:17], 1.0 op_sel_hi:[1,0]
	v_div_scale_f32 v20, s[2:3], v14, v14, 1.0
	v_rcp_f32_e32 v26, v18
	v_div_scale_f32 v22, s[8:9], v17, v17, 1.0
	v_rcp_f32_e32 v27, v20
	v_div_scale_f32 v24, s[10:11], v16, v16, 1.0
	v_rcp_f32_e32 v28, v22
	v_rcp_f32_e32 v29, v24
	v_fma_f32 v30, -v18, v26, 1.0
	v_div_scale_f32 v19, vcc, 1.0, v15, 1.0
	v_fma_f32 v31, -v20, v27, 1.0
	v_fmac_f32_e32 v26, v30, v26
	v_div_scale_f32 v21, s[2:3], 1.0, v14, 1.0
	v_fma_f32 v32, -v22, v28, 1.0
	v_fmac_f32_e32 v27, v31, v27
	v_mul_f32_e32 v30, v19, v26
	v_div_scale_f32 v23, s[8:9], 1.0, v17, 1.0
	v_fma_f32 v33, -v24, v29, 1.0
	v_fmac_f32_e32 v28, v32, v28
	v_mul_f32_e32 v31, v21, v27
	v_fma_f32 v34, -v18, v30, v19
	v_div_scale_f32 v25, s[10:11], 1.0, v16, 1.0
	v_fmac_f32_e32 v29, v33, v29
	v_mul_f32_e32 v32, v23, v28
	v_fma_f32 v35, -v20, v31, v21
	v_fmac_f32_e32 v30, v34, v26
	v_mul_f32_e32 v33, v25, v29
	v_fma_f32 v36, -v22, v32, v23
	v_fmac_f32_e32 v31, v35, v27
	v_fma_f32 v18, -v18, v30, v19
	v_fma_f32 v37, -v24, v33, v25
	v_fmac_f32_e32 v32, v36, v28
	v_fma_f32 v19, -v20, v31, v21
	v_div_fmas_f32 v18, v18, v26, v30
	s_mov_b64 vcc, s[2:3]
	v_fmac_f32_e32 v33, v37, v29
	v_fma_f32 v20, -v22, v32, v23
	v_div_fixup_f32 v15, v18, v15, 1.0
	v_div_fmas_f32 v18, v19, v27, v31
	s_mov_b64 vcc, s[8:9]
	v_fma_f32 v21, -v24, v33, v25
	v_div_fixup_f32 v14, v18, v14, 1.0
	v_div_fmas_f32 v18, v20, v28, v32
	s_mov_b64 vcc, s[10:11]
	v_div_fixup_f32 v17, v18, v17, 1.0
	v_div_fmas_f32 v18, v21, v29, v33
	v_div_fixup_f32 v16, v18, v16, 1.0
	v_pk_add_f32 v[4:5], v[14:15], v[4:5]
	v_pk_add_f32 v[6:7], v[16:17], v[6:7]
	ds_write_b128 v3, v[4:7]
	v_add_u32_e32 v3, s29, v3
	s_andn2_b64 exec, exec, s[24:25]
	s_cbranch_execnz .LBB41_2
.LBB41_3:
	s_or_b64 exec, exec, s[22:23]
	s_lshl_b32 s2, s12, 2
	s_add_i32 s28, s2, 0
	v_cmp_gt_u32_e32 vcc, 64, v0
	s_waitcnt lgkmcnt(0)
	s_barrier
	s_and_saveexec_b64 s[10:11], vcc
	s_cbranch_execz .LBB41_12
; %bb.4:
	s_load_dword s8, s[4:5], 0x4c
	v_lshrrev_b32_e32 v2, 4, v0
	s_lshr_b32 s2, s15, 28
	v_and_b32_e32 v1, 15, v0
	s_add_i32 s2, s12, s2
	s_waitcnt lgkmcnt(0)
	s_bfe_u32 s15, s8, 0xc0004
	v_mul_lo_u32 v3, s7, v2
	s_ashr_i32 s12, s2, 4
	v_lshlrev_b32_e32 v3, 2, v3
	v_lshlrev_b32_e32 v4, 4, v1
	s_mul_i32 s8, s7, s15
	v_cmp_gt_i32_e32 vcc, s12, v1
	v_cmp_eq_u32_e64 s[2:3], 0, v1
	v_add3_u32 v3, v3, v4, 0
	s_lshl_b32 s29, s8, 2
	s_mov_b64 s[22:23], 0
	s_branch .LBB41_6
.LBB41_5:                               ;   in Loop: Header=BB41_6 Depth=1
	s_or_b64 exec, exec, s[8:9]
	v_add_u32_e32 v2, s15, v2
	v_cmp_lt_u32_e64 s[8:9], 3, v2
	s_or_b64 s[22:23], s[8:9], s[22:23]
	v_add_u32_e32 v3, s29, v3
	s_andn2_b64 exec, exec, s[22:23]
	s_cbranch_execz .LBB41_12
.LBB41_6:                               ; =>This Loop Header: Depth=1
                                        ;     Child Loop BB41_8 Depth 2
	v_mov_b32_e32 v4, 0xff800000
	v_mov_b32_e32 v7, 0xff800000
	s_and_saveexec_b64 s[24:25], vcc
	s_cbranch_execz .LBB41_10
; %bb.7:                                ;   in Loop: Header=BB41_6 Depth=1
	s_mov_b64 s[26:27], 0
	v_mov_b32_e32 v4, 0xff800000
	v_mov_b32_e32 v5, v3
	;; [unrolled: 1-line block ×4, first 2 shown]
.LBB41_8:                               ;   Parent Loop BB41_6 Depth=1
                                        ; =>  This Inner Loop Header: Depth=2
	ds_read_b128 v[10:13], v5
	v_add_u32_e32 v6, 16, v6
	v_max_f32_e32 v7, v7, v7
	v_cmp_le_i32_e64 s[8:9], s12, v6
	s_or_b64 s[26:27], s[8:9], s[26:27]
	s_waitcnt lgkmcnt(0)
	v_max_f32_e32 v14, v10, v10
	v_max_f32_e32 v7, v14, v7
	v_cmp_gt_f32_e64 s[8:9], v10, v4
	v_max_f32_e32 v9, v4, v4
	v_cndmask_b32_e64 v4, v7, v4, s[8:9]
	v_max_f32_e32 v15, v11, v11
	v_max_f32_e32 v9, v14, v9
	;; [unrolled: 1-line block ×4, first 2 shown]
	v_cmp_gt_f32_e64 s[8:9], v11, v9
	v_max_f32_e32 v16, v12, v12
	v_max_f32_e32 v7, v15, v9
	v_cndmask_b32_e64 v9, v14, v9, s[8:9]
	v_max_f32_e32 v9, v16, v9
	v_cmp_gt_f32_e64 s[8:9], v12, v7
	v_max_f32_e32 v17, v13, v13
	v_max_f32_e32 v10, v16, v7
	v_cndmask_b32_e64 v7, v9, v7, s[8:9]
	v_max_f32_e32 v7, v17, v7
	v_cmp_gt_f32_e64 s[8:9], v13, v10
	v_add_u32_e32 v5, 0x100, v5
	v_max_f32_e32 v4, v17, v10
	v_cndmask_b32_e64 v7, v7, v10, s[8:9]
	s_andn2_b64 exec, exec, s[26:27]
	s_cbranch_execnz .LBB41_8
; %bb.9:                                ;   in Loop: Header=BB41_6 Depth=1
	s_or_b64 exec, exec, s[26:27]
.LBB41_10:                              ;   in Loop: Header=BB41_6 Depth=1
	s_or_b64 exec, exec, s[24:25]
	s_and_saveexec_b64 s[8:9], s[2:3]
	s_cbranch_execz .LBB41_5
; %bb.11:                               ;   in Loop: Header=BB41_6 Depth=1
	v_lshl_add_u32 v5, v2, 2, s28
	v_add_f32_e32 v4, v7, v4
	ds_write_b32 v5, v4
	s_branch .LBB41_5
.LBB41_12:
	s_or_b64 exec, exec, s[10:11]
	s_cmp_lt_i32 s14, 1
	s_waitcnt lgkmcnt(0)
	s_barrier
	s_cbranch_scc1 .LBB41_15
; %bb.13:
	v_mov_b32_e32 v1, s28
	s_mov_b32 s2, 0xff800000
	v_mov_b32_e32 v2, 0xff800000
.LBB41_14:                              ; =>This Inner Loop Header: Depth=1
	ds_read2_b32 v[4:5], v1 offset1:1
	ds_read2_b32 v[6:7], v1 offset0:2 offset1:3
	s_waitcnt lgkmcnt(1)
	v_cmp_nlg_f32_e32 vcc, s2, v4
	v_cndmask_b32_e64 v3, 0, 1, vcc
	v_cmp_lg_f32_e32 vcc, s2, v4
	v_cndmask_b32_e32 v4, v2, v4, vcc
	v_readfirstlane_b32 s3, v3
	v_cmp_gt_f32_e32 vcc, v5, v4
	s_lshl_b32 s3, s3, 2
	v_cndmask_b32_e32 v3, v4, v5, vcc
	s_and_b64 s[8:9], vcc, exec
	s_waitcnt lgkmcnt(0)
	v_cmp_gt_f32_e32 vcc, v6, v3
	v_cndmask_b32_e32 v3, v3, v6, vcc
	s_cselect_b32 s3, 1, s3
	s_and_b64 s[8:9], vcc, exec
	v_cmp_ngt_f32_e32 vcc, v7, v3
	s_cselect_b32 s3, 2, s3
	s_and_b64 s[8:9], vcc, exec
	s_cselect_b32 s3, s3, 3
	s_lshl_b32 s3, s3, 2
	s_add_i32 s3, s28, s3
	s_add_i32 s14, s14, -1
	v_mov_b32_e32 v3, s3
	s_cmp_lg_u32 s14, 0
	ds_write_b32 v3, v2
	s_cbranch_scc1 .LBB41_14
.LBB41_15:
	v_lshlrev_b32_e32 v1, 2, v0
	s_and_saveexec_b64 s[2:3], s[0:1]
	s_cbranch_execz .LBB41_20
; %bb.16:
	s_abs_i32 s12, s7
	v_cvt_f32_u32_e32 v2, s12
	s_load_dword s10, s[4:5], 0x4c
	s_sub_i32 s11, 0, s12
	s_ashr_i32 s14, s7, 31
	v_rcp_iflag_f32_e32 v2, v2
	v_lshlrev_b32_e32 v6, 2, v0
	s_waitcnt lgkmcnt(0)
	s_and_b32 s15, s10, 0xffff
	v_lshl_add_u32 v7, v0, 4, 0
	v_mul_f32_e32 v2, 0x4f7ffffe, v2
	v_cvt_u32_f32_e32 v2, v2
	s_mov_b64 s[8:9], 0
	s_lshl_b32 s22, s15, 2
	s_lshl_b32 s23, s15, 4
	v_mul_lo_u32 v3, s11, v2
	v_mul_hi_u32 v3, v2, v3
	v_add_u32_e32 v9, v2, v3
	s_mov_b32 s24, 0xff800000
	v_mov_b32_e32 v2, 0xff800000
	v_mov_b32_e32 v10, v0
	s_branch .LBB41_18
.LBB41_17:                              ;   in Loop: Header=BB41_18 Depth=1
	s_or_b64 exec, exec, s[10:11]
	v_add_u32_e32 v10, s15, v10
	v_cmp_le_i32_e32 vcc, s7, v10
	v_add_u32_e32 v6, s22, v6
	s_or_b64 s[8:9], vcc, s[8:9]
	v_add_u32_e32 v7, s23, v7
	s_andn2_b64 exec, exec, s[8:9]
	s_cbranch_execz .LBB41_20
.LBB41_18:                              ; =>This Inner Loop Header: Depth=1
	v_mul_hi_u32 v3, v6, v9
	v_mul_lo_u32 v4, v3, s12
	v_sub_u32_e32 v4, v6, v4
	v_add_u32_e32 v5, 1, v3
	v_cmp_le_u32_e32 vcc, s12, v4
	v_cndmask_b32_e32 v3, v3, v5, vcc
	v_subrev_u32_e32 v5, s12, v4
	v_cndmask_b32_e32 v4, v4, v5, vcc
	v_add_u32_e32 v5, 1, v3
	v_cmp_le_u32_e32 vcc, s12, v4
	v_cndmask_b32_e32 v3, v3, v5, vcc
	v_xor_b32_e32 v3, s14, v3
	v_subrev_u32_e32 v3, s14, v3
	v_lshl_add_u32 v3, v3, 2, s28
	ds_read_b32 v3, v3
	s_waitcnt lgkmcnt(0)
	v_cmp_neq_f32_e32 vcc, s24, v3
	s_and_saveexec_b64 s[10:11], vcc
	s_cbranch_execz .LBB41_17
; %bb.19:                               ;   in Loop: Header=BB41_18 Depth=1
	v_mov_b32_e32 v3, v2
	v_mov_b32_e32 v4, v2
	;; [unrolled: 1-line block ×3, first 2 shown]
	ds_write_b128 v7, v[2:5]
	s_branch .LBB41_17
.LBB41_20:
	s_or_b64 exec, exec, s[2:3]
	s_cmp_lt_i32 s13, 1
	s_waitcnt lgkmcnt(0)
	s_barrier
	s_cbranch_scc1 .LBB41_27
; %bb.21:
	s_add_u32 s2, s4, 64
	s_addc_u32 s3, s5, 0
	s_mov_b32 s12, 0
	v_mov_b32_e32 v4, 0
	v_mov_b32_e32 v5, 0xff800000
                                        ; implicit-def: $vgpr3
                                        ; implicit-def: $vgpr2
	s_branch .LBB41_23
.LBB41_22:                              ;   in Loop: Header=BB41_23 Depth=1
	s_or_b64 exec, exec, s[8:9]
	v_mov_b32_dpp v10, v7 quad_perm:[1,0,3,2] row_mask:0xf bank_mask:0xf
	v_cmp_lt_f32_e32 vcc, v7, v10
	v_cndmask_b32_e32 v7, v7, v10, vcc
	v_mov_b32_dpp v9, v6 quad_perm:[1,0,3,2] row_mask:0xf bank_mask:0xf
	v_cndmask_b32_e32 v6, v6, v9, vcc
	v_mov_b32_dpp v10, v7 quad_perm:[2,3,0,1] row_mask:0xf bank_mask:0xf
	v_cmp_gt_f32_e32 vcc, v10, v7
	v_cndmask_b32_e32 v7, v7, v10, vcc
	v_mov_b32_dpp v9, v6 quad_perm:[2,3,0,1] row_mask:0xf bank_mask:0xf
	v_cndmask_b32_e32 v6, v6, v9, vcc
	v_mov_b32_dpp v10, v7 row_half_mirror row_mask:0xf bank_mask:0xf
	v_cmp_gt_f32_e32 vcc, v10, v7
	v_cndmask_b32_e32 v7, v7, v10, vcc
	v_mov_b32_dpp v9, v6 row_half_mirror row_mask:0xf bank_mask:0xf
	v_cndmask_b32_e32 v6, v6, v9, vcc
	v_mov_b32_dpp v10, v7 row_mirror row_mask:0xf bank_mask:0xf
	v_cmp_gt_f32_e32 vcc, v10, v7
	v_cndmask_b32_e32 v7, v7, v10, vcc
	v_mov_b32_dpp v9, v6 row_mirror row_mask:0xf bank_mask:0xf
	v_cndmask_b32_e32 v6, v6, v9, vcc
	v_mov_b32_dpp v10, v7 row_bcast:15 row_mask:0xf bank_mask:0xf
	v_cmp_gt_f32_e32 vcc, v10, v7
	v_mov_b32_dpp v9, v6 row_bcast:15 row_mask:0xf bank_mask:0xf
	v_cndmask_b32_e32 v7, v7, v10, vcc
	v_cndmask_b32_e32 v6, v6, v9, vcc
	s_nop 0
	v_mov_b32_dpp v10, v7 row_bcast:31 row_mask:0xf bank_mask:0xf
	v_mov_b32_dpp v9, v6 row_bcast:31 row_mask:0xf bank_mask:0xf
	v_cmp_gt_f32_e32 vcc, v10, v7
	v_cndmask_b32_e32 v6, v6, v9, vcc
	v_readlane_b32 s8, v6, 63
	s_ashr_i32 s9, s8, 31
	s_lshl_b64 s[10:11], s[8:9], 1
	s_add_u32 s10, s16, s10
	s_addc_u32 s11, s17, s11
	global_load_ushort v6, v4, s[10:11]
	v_cndmask_b32_e32 v7, v7, v10, vcc
	v_readlane_b32 s9, v7, 63
	v_mov_b32_e32 v7, s8
	s_lshl_b32 s8, s8, 2
	v_cmp_eq_u32_e32 vcc, s12, v0
	s_add_i32 s12, s12, 1
	s_add_i32 s8, s8, 0
	v_cndmask_b32_e32 v2, v2, v7, vcc
	v_mov_b32_e32 v7, s8
	s_cmp_eq_u32 s12, s13
	ds_write_b32 v7, v5
	s_waitcnt vmcnt(0)
	v_cvt_f32_f16_e32 v6, v6
	v_sub_f32_e32 v6, s9, v6
	v_cndmask_b32_e32 v3, v3, v6, vcc
	s_cbranch_scc1 .LBB41_28
.LBB41_23:                              ; =>This Loop Header: Depth=1
                                        ;     Child Loop BB41_25 Depth 2
	v_mov_b32_e32 v6, s12
	v_mov_b32_e32 v7, 0xff800000
	s_and_saveexec_b64 s[8:9], s[0:1]
	s_cbranch_execz .LBB41_22
; %bb.24:                               ;   in Loop: Header=BB41_23 Depth=1
	s_load_dword s14, s[2:3], 0xc
	s_mov_b64 s[10:11], 0
	v_mov_b32_e32 v6, s12
	v_mov_b32_e32 v7, 0xff800000
	;; [unrolled: 1-line block ×3, first 2 shown]
	s_waitcnt lgkmcnt(0)
	s_and_b32 s14, s14, 0xffff
	s_lshl_b32 s15, s14, 2
	s_lshl_b32 s22, s14, 4
	v_mov_b32_e32 v10, v1
	v_mov_b32_e32 v11, v0
.LBB41_25:                              ;   Parent Loop BB41_23 Depth=1
                                        ; =>  This Inner Loop Header: Depth=2
	ds_read_b128 v[12:15], v9
	v_add_u32_e32 v11, s14, v11
	v_cmp_le_i32_e32 vcc, s7, v11
	s_or_b64 s[10:11], vcc, s[10:11]
	v_add_u32_e32 v16, 1, v10
	s_waitcnt lgkmcnt(0)
	v_cmp_gt_f32_e32 vcc, v12, v7
	v_cndmask_b32_e32 v7, v7, v12, vcc
	v_cndmask_b32_e32 v6, v6, v10, vcc
	v_cmp_gt_f32_e32 vcc, v13, v7
	v_cndmask_b32_e32 v7, v7, v13, vcc
	v_cndmask_b32_e32 v6, v6, v16, vcc
	v_cmp_gt_f32_e32 vcc, v14, v7
	v_add_u32_e32 v17, 2, v10
	v_cndmask_b32_e32 v7, v7, v14, vcc
	v_add_u32_e32 v18, 3, v10
	v_cndmask_b32_e32 v6, v6, v17, vcc
	v_cmp_gt_f32_e32 vcc, v15, v7
	v_add_u32_e32 v9, s22, v9
	v_add_u32_e32 v10, s15, v10
	v_cndmask_b32_e32 v7, v7, v15, vcc
	v_cndmask_b32_e32 v6, v6, v18, vcc
	s_andn2_b64 exec, exec, s[10:11]
	s_cbranch_execnz .LBB41_25
; %bb.26:                               ;   in Loop: Header=BB41_23 Depth=1
	s_or_b64 exec, exec, s[10:11]
	s_branch .LBB41_22
.LBB41_27:
                                        ; implicit-def: $vgpr3
                                        ; implicit-def: $vgpr2
.LBB41_28:
	v_cmp_gt_i32_e32 vcc, s13, v0
	s_and_saveexec_b64 s[0:1], vcc
	s_cbranch_execz .LBB41_31
; %bb.29:
	s_load_dword s2, s[4:5], 0x38
	s_load_dwordx2 s[0:1], s[4:5], 0x20
	s_ashr_i32 s3, s6, 31
	s_load_dword s4, s[4:5], 0x4c
	v_mov_b32_e32 v4, s19
	s_waitcnt lgkmcnt(0)
	v_mul_f32_e32 v1, s2, v3
	s_mul_i32 s1, s6, s1
	s_mul_hi_u32 s2, s6, s0
	s_add_i32 s1, s2, s1
	s_mul_i32 s3, s3, s0
	s_add_i32 s5, s1, s3
	s_mul_i32 s2, s6, s0
	s_and_b32 s3, s4, 0xffff
	s_mov_b64 s[0:1], 0
	v_mov_b32_e32 v3, s5
	v_mov_b32_e32 v5, s21
.LBB41_30:                              ; =>This Inner Loop Header: Depth=1
	v_ashrrev_i32_e32 v7, 31, v0
	v_add_co_u32_e32 v6, vcc, s2, v0
	v_addc_co_u32_e32 v7, vcc, v3, v7, vcc
	v_add_u32_e32 v0, s3, v0
	v_cmp_le_i32_e32 vcc, s13, v0
	v_lshlrev_b64 v[6:7], 2, v[6:7]
	s_or_b64 s[0:1], vcc, s[0:1]
	v_add_co_u32_e32 v8, vcc, s18, v6
	v_addc_co_u32_e32 v9, vcc, v4, v7, vcc
	v_add_co_u32_e32 v6, vcc, s20, v6
	v_addc_co_u32_e32 v7, vcc, v5, v7, vcc
	global_store_dword v[8:9], v1, off
	global_store_dword v[6:7], v2, off
	s_andn2_b64 exec, exec, s[0:1]
	s_cbranch_execnz .LBB41_30
.LBB41_31:
	s_endpgm
	.section	.rodata,"a",@progbits
	.p2align	6, 0x0
	.amdhsa_kernel _ZN5aiter19grouped_topk_kernelIN3c104HalfEDv4_fLi4ELb0ELb1ELb0EEEvPT_PKS4_PfPimiiiif
		.amdhsa_group_segment_fixed_size 0
		.amdhsa_private_segment_fixed_size 0
		.amdhsa_kernarg_size 320
		.amdhsa_user_sgpr_count 6
		.amdhsa_user_sgpr_private_segment_buffer 1
		.amdhsa_user_sgpr_dispatch_ptr 0
		.amdhsa_user_sgpr_queue_ptr 0
		.amdhsa_user_sgpr_kernarg_segment_ptr 1
		.amdhsa_user_sgpr_dispatch_id 0
		.amdhsa_user_sgpr_flat_scratch_init 0
		.amdhsa_user_sgpr_kernarg_preload_length 0
		.amdhsa_user_sgpr_kernarg_preload_offset 0
		.amdhsa_user_sgpr_private_segment_size 0
		.amdhsa_uses_dynamic_stack 0
		.amdhsa_system_sgpr_private_segment_wavefront_offset 0
		.amdhsa_system_sgpr_workgroup_id_x 1
		.amdhsa_system_sgpr_workgroup_id_y 0
		.amdhsa_system_sgpr_workgroup_id_z 0
		.amdhsa_system_sgpr_workgroup_info 0
		.amdhsa_system_vgpr_workitem_id 0
		.amdhsa_next_free_vgpr 38
		.amdhsa_next_free_sgpr 35
		.amdhsa_accum_offset 40
		.amdhsa_reserve_vcc 1
		.amdhsa_reserve_flat_scratch 0
		.amdhsa_float_round_mode_32 0
		.amdhsa_float_round_mode_16_64 0
		.amdhsa_float_denorm_mode_32 3
		.amdhsa_float_denorm_mode_16_64 3
		.amdhsa_dx10_clamp 1
		.amdhsa_ieee_mode 1
		.amdhsa_fp16_overflow 0
		.amdhsa_tg_split 0
		.amdhsa_exception_fp_ieee_invalid_op 0
		.amdhsa_exception_fp_denorm_src 0
		.amdhsa_exception_fp_ieee_div_zero 0
		.amdhsa_exception_fp_ieee_overflow 0
		.amdhsa_exception_fp_ieee_underflow 0
		.amdhsa_exception_fp_ieee_inexact 0
		.amdhsa_exception_int_div_zero 0
	.end_amdhsa_kernel
	.section	.text._ZN5aiter19grouped_topk_kernelIN3c104HalfEDv4_fLi4ELb0ELb1ELb0EEEvPT_PKS4_PfPimiiiif,"axG",@progbits,_ZN5aiter19grouped_topk_kernelIN3c104HalfEDv4_fLi4ELb0ELb1ELb0EEEvPT_PKS4_PfPimiiiif,comdat
.Lfunc_end41:
	.size	_ZN5aiter19grouped_topk_kernelIN3c104HalfEDv4_fLi4ELb0ELb1ELb0EEEvPT_PKS4_PfPimiiiif, .Lfunc_end41-_ZN5aiter19grouped_topk_kernelIN3c104HalfEDv4_fLi4ELb0ELb1ELb0EEEvPT_PKS4_PfPimiiiif
                                        ; -- End function
	.section	.AMDGPU.csdata,"",@progbits
; Kernel info:
; codeLenInByte = 2536
; NumSgprs: 39
; NumVgprs: 38
; NumAgprs: 0
; TotalNumVgprs: 38
; ScratchSize: 0
; MemoryBound: 0
; FloatMode: 240
; IeeeMode: 1
; LDSByteSize: 0 bytes/workgroup (compile time only)
; SGPRBlocks: 4
; VGPRBlocks: 4
; NumSGPRsForWavesPerEU: 39
; NumVGPRsForWavesPerEU: 38
; AccumOffset: 40
; Occupancy: 8
; WaveLimiterHint : 0
; COMPUTE_PGM_RSRC2:SCRATCH_EN: 0
; COMPUTE_PGM_RSRC2:USER_SGPR: 6
; COMPUTE_PGM_RSRC2:TRAP_HANDLER: 0
; COMPUTE_PGM_RSRC2:TGID_X_EN: 1
; COMPUTE_PGM_RSRC2:TGID_Y_EN: 0
; COMPUTE_PGM_RSRC2:TGID_Z_EN: 0
; COMPUTE_PGM_RSRC2:TIDIG_COMP_CNT: 0
; COMPUTE_PGM_RSRC3_GFX90A:ACCUM_OFFSET: 9
; COMPUTE_PGM_RSRC3_GFX90A:TG_SPLIT: 0
	.section	.text._ZN5aiter19grouped_topk_kernelIN3c108BFloat16EDv4_fLi4ELb0ELb1ELb0EEEvPT_PKS4_PfPimiiiif,"axG",@progbits,_ZN5aiter19grouped_topk_kernelIN3c108BFloat16EDv4_fLi4ELb0ELb1ELb0EEEvPT_PKS4_PfPimiiiif,comdat
	.protected	_ZN5aiter19grouped_topk_kernelIN3c108BFloat16EDv4_fLi4ELb0ELb1ELb0EEEvPT_PKS4_PfPimiiiif ; -- Begin function _ZN5aiter19grouped_topk_kernelIN3c108BFloat16EDv4_fLi4ELb0ELb1ELb0EEEvPT_PKS4_PfPimiiiif
	.globl	_ZN5aiter19grouped_topk_kernelIN3c108BFloat16EDv4_fLi4ELb0ELb1ELb0EEEvPT_PKS4_PfPimiiiif
	.p2align	8
	.type	_ZN5aiter19grouped_topk_kernelIN3c108BFloat16EDv4_fLi4ELb0ELb1ELb0EEEvPT_PKS4_PfPimiiiif,@function
_ZN5aiter19grouped_topk_kernelIN3c108BFloat16EDv4_fLi4ELb0ELb1ELb0EEEvPT_PKS4_PfPimiiiif: ; @_ZN5aiter19grouped_topk_kernelIN3c108BFloat16EDv4_fLi4ELb0ELb1ELb0EEEvPT_PKS4_PfPimiiiif
; %bb.0:
	s_load_dwordx4 s[12:15], s[4:5], 0x28
	s_load_dwordx4 s[16:19], s[4:5], 0x8
	s_load_dwordx2 s[20:21], s[4:5], 0x18
	v_lshl_add_u32 v8, v0, 4, 0
	s_waitcnt lgkmcnt(0)
	s_ashr_i32 s15, s12, 31
	s_lshr_b32 s0, s15, 30
	s_add_i32 s0, s12, s0
	s_ashr_i32 s7, s0, 2
	v_cmp_gt_i32_e64 s[0:1], s7, v0
	s_and_saveexec_b64 s[22:23], s[0:1]
	s_cbranch_execz .LBB42_3
; %bb.1:
	s_load_dwordx2 s[2:3], s[4:5], 0x0
	s_load_dword s10, s[4:5], 0x4c
	s_mul_i32 s8, s6, s12
	s_ashr_i32 s9, s8, 31
	s_lshl_b64 s[8:9], s[8:9], 1
	s_waitcnt lgkmcnt(0)
	s_add_u32 s26, s2, s8
	s_addc_u32 s2, s3, s9
	s_and_b32 s27, s10, 0xffff
	s_mov_b32 s3, 0
	v_lshlrev_b32_e32 v2, 3, v0
	v_mov_b32_e32 v1, 0
	s_lshl_b32 s28, s27, 3
	v_lshl_add_u32 v3, v0, 4, 0
	s_lshl_b32 s29, s27, 4
	s_mov_b64 s[24:25], 0
	v_mov_b32_e32 v9, s2
	v_mov_b32_e32 v10, s17
	s_mov_b32 s30, 0xbfb8aa3b
	s_mov_b32 s31, 0x42ce8ed0
	;; [unrolled: 1-line block ×3, first 2 shown]
	v_mov_b32_e32 v11, 0x7f800000
	v_mov_b32_e32 v12, s3
	v_mov_b32_e32 v13, v0
.LBB42_2:                               ; =>This Inner Loop Header: Depth=1
	v_add_co_u32_e32 v4, vcc, s26, v2
	v_addc_co_u32_e32 v5, vcc, v9, v1, vcc
	v_add_co_u32_e32 v6, vcc, s16, v2
	v_addc_co_u32_e32 v7, vcc, v10, v1, vcc
	global_load_dwordx2 v[14:15], v[4:5], off
	global_load_dwordx2 v[16:17], v[6:7], off
	v_add_co_u32_e32 v2, vcc, s28, v2
	v_add_u32_e32 v13, s27, v13
	v_addc_co_u32_e32 v1, vcc, v1, v12, vcc
	v_cmp_le_i32_e32 vcc, s7, v13
	s_or_b64 s[24:25], vcc, s[24:25]
	s_waitcnt vmcnt(1)
	v_cvt_f32_u32_sdwa v18, v14 dst_sel:DWORD dst_unused:UNUSED_PAD src0_sel:WORD_0
	v_cvt_f32_u32_sdwa v14, v14 dst_sel:DWORD dst_unused:UNUSED_PAD src0_sel:WORD_1
	s_waitcnt vmcnt(0)
	v_cvt_f32_u32_sdwa v5, v16 dst_sel:DWORD dst_unused:UNUSED_PAD src0_sel:WORD_1
	v_cvt_f32_u32_sdwa v4, v16 dst_sel:DWORD dst_unused:UNUSED_PAD src0_sel:WORD_0
	v_cvt_f32_u32_sdwa v16, v15 dst_sel:DWORD dst_unused:UNUSED_PAD src0_sel:WORD_0
	v_cvt_f32_u32_sdwa v15, v15 dst_sel:DWORD dst_unused:UNUSED_PAD src0_sel:WORD_1
	v_cvt_f32_u32_sdwa v7, v17 dst_sel:DWORD dst_unused:UNUSED_PAD src0_sel:WORD_1
	v_cvt_f32_u32_sdwa v6, v17 dst_sel:DWORD dst_unused:UNUSED_PAD src0_sel:WORD_0
	v_mul_f32_e32 v17, 0xbfb8aa3b, v14
	v_mul_f32_e32 v19, 0xbfb8aa3b, v18
	;; [unrolled: 1-line block ×3, first 2 shown]
	v_fma_f32 v22, v14, s30, -v17
	v_rndne_f32_e32 v23, v17
	v_fma_f32 v24, v18, s30, -v19
	v_rndne_f32_e32 v25, v19
	v_mul_f32_e32 v21, 0xbfb8aa3b, v16
	v_fma_f32 v26, v15, s30, -v20
	v_rndne_f32_e32 v27, v20
	v_fmac_f32_e32 v22, 0xb2a5705f, v14
	v_sub_f32_e32 v17, v17, v23
	v_fmac_f32_e32 v24, 0xb2a5705f, v18
	v_sub_f32_e32 v19, v19, v25
	v_fma_f32 v28, v16, s30, -v21
	v_rndne_f32_e32 v29, v21
	v_fmac_f32_e32 v26, 0xb2a5705f, v15
	v_sub_f32_e32 v20, v20, v27
	v_add_f32_e32 v17, v17, v22
	v_add_f32_e32 v19, v19, v24
	v_cvt_i32_f32_e32 v23, v23
	v_cvt_i32_f32_e32 v25, v25
	v_fmac_f32_e32 v28, 0xb2a5705f, v16
	v_sub_f32_e32 v21, v21, v29
	v_add_f32_e32 v20, v20, v26
	v_exp_f32_e32 v17, v17
	v_exp_f32_e32 v19, v19
	v_cvt_i32_f32_e32 v27, v27
	v_add_f32_e32 v21, v21, v28
	v_exp_f32_e32 v20, v20
	v_cvt_i32_f32_e32 v29, v29
	v_exp_f32_e32 v21, v21
	v_ldexp_f32 v17, v17, v23
	v_ldexp_f32 v19, v19, v25
	v_cmp_nlt_f32_e32 vcc, s31, v18
	v_cmp_nlt_f32_e64 s[10:11], s31, v14
	v_ldexp_f32 v20, v20, v27
	v_cmp_nlt_f32_e64 s[2:3], s31, v15
	v_cndmask_b32_e64 v17, 0, v17, s[10:11]
	v_cndmask_b32_e32 v19, 0, v19, vcc
	v_cmp_ngt_f32_e32 vcc, s33, v18
	v_cmp_ngt_f32_e64 s[10:11], s33, v14
	v_ldexp_f32 v21, v21, v29
	v_cmp_nlt_f32_e64 s[8:9], s31, v16
	v_cndmask_b32_e64 v18, 0, v20, s[2:3]
	v_cmp_ngt_f32_e64 s[2:3], s33, v15
	v_cndmask_b32_e64 v15, v11, v17, s[10:11]
	v_cndmask_b32_e32 v14, v11, v19, vcc
	v_cndmask_b32_e64 v20, 0, v21, s[8:9]
	v_cmp_ngt_f32_e64 s[8:9], s33, v16
	v_pk_add_f32 v[14:15], v[14:15], 1.0 op_sel_hi:[1,0]
	v_cndmask_b32_e64 v17, v11, v18, s[2:3]
	v_cndmask_b32_e64 v16, v11, v20, s[8:9]
	v_div_scale_f32 v18, s[2:3], v15, v15, 1.0
	v_pk_add_f32 v[16:17], v[16:17], 1.0 op_sel_hi:[1,0]
	v_div_scale_f32 v20, s[2:3], v14, v14, 1.0
	v_rcp_f32_e32 v26, v18
	v_div_scale_f32 v22, s[8:9], v17, v17, 1.0
	v_rcp_f32_e32 v27, v20
	;; [unrolled: 2-line block ×3, first 2 shown]
	v_rcp_f32_e32 v29, v24
	v_fma_f32 v30, -v18, v26, 1.0
	v_div_scale_f32 v19, vcc, 1.0, v15, 1.0
	v_fma_f32 v31, -v20, v27, 1.0
	v_fmac_f32_e32 v26, v30, v26
	v_div_scale_f32 v21, s[2:3], 1.0, v14, 1.0
	v_fma_f32 v32, -v22, v28, 1.0
	v_fmac_f32_e32 v27, v31, v27
	v_mul_f32_e32 v30, v19, v26
	v_div_scale_f32 v23, s[8:9], 1.0, v17, 1.0
	v_fma_f32 v33, -v24, v29, 1.0
	v_fmac_f32_e32 v28, v32, v28
	v_mul_f32_e32 v31, v21, v27
	v_fma_f32 v34, -v18, v30, v19
	v_div_scale_f32 v25, s[10:11], 1.0, v16, 1.0
	v_fmac_f32_e32 v29, v33, v29
	v_mul_f32_e32 v32, v23, v28
	v_fma_f32 v35, -v20, v31, v21
	v_fmac_f32_e32 v30, v34, v26
	v_mul_f32_e32 v33, v25, v29
	v_fma_f32 v36, -v22, v32, v23
	v_fmac_f32_e32 v31, v35, v27
	v_fma_f32 v18, -v18, v30, v19
	v_fma_f32 v37, -v24, v33, v25
	v_fmac_f32_e32 v32, v36, v28
	v_fma_f32 v19, -v20, v31, v21
	v_div_fmas_f32 v18, v18, v26, v30
	s_mov_b64 vcc, s[2:3]
	v_fmac_f32_e32 v33, v37, v29
	v_fma_f32 v20, -v22, v32, v23
	v_div_fixup_f32 v15, v18, v15, 1.0
	v_div_fmas_f32 v18, v19, v27, v31
	s_mov_b64 vcc, s[8:9]
	v_fma_f32 v21, -v24, v33, v25
	v_div_fixup_f32 v14, v18, v14, 1.0
	v_div_fmas_f32 v18, v20, v28, v32
	s_mov_b64 vcc, s[10:11]
	v_div_fixup_f32 v17, v18, v17, 1.0
	v_div_fmas_f32 v18, v21, v29, v33
	v_div_fixup_f32 v16, v18, v16, 1.0
	v_pk_add_f32 v[4:5], v[14:15], v[4:5]
	v_pk_add_f32 v[6:7], v[16:17], v[6:7]
	ds_write_b128 v3, v[4:7]
	v_add_u32_e32 v3, s29, v3
	s_andn2_b64 exec, exec, s[24:25]
	s_cbranch_execnz .LBB42_2
.LBB42_3:
	s_or_b64 exec, exec, s[22:23]
	s_lshl_b32 s2, s12, 2
	s_add_i32 s28, s2, 0
	v_cmp_gt_u32_e32 vcc, 64, v0
	s_waitcnt lgkmcnt(0)
	s_barrier
	s_and_saveexec_b64 s[10:11], vcc
	s_cbranch_execz .LBB42_12
; %bb.4:
	s_load_dword s8, s[4:5], 0x4c
	v_lshrrev_b32_e32 v2, 4, v0
	s_lshr_b32 s2, s15, 28
	v_and_b32_e32 v1, 15, v0
	s_add_i32 s2, s12, s2
	s_waitcnt lgkmcnt(0)
	s_bfe_u32 s15, s8, 0xc0004
	v_mul_lo_u32 v3, s7, v2
	s_ashr_i32 s12, s2, 4
	v_lshlrev_b32_e32 v3, 2, v3
	v_lshlrev_b32_e32 v4, 4, v1
	s_mul_i32 s8, s7, s15
	v_cmp_gt_i32_e32 vcc, s12, v1
	v_cmp_eq_u32_e64 s[2:3], 0, v1
	v_add3_u32 v3, v3, v4, 0
	s_lshl_b32 s29, s8, 2
	s_mov_b64 s[22:23], 0
	s_branch .LBB42_6
.LBB42_5:                               ;   in Loop: Header=BB42_6 Depth=1
	s_or_b64 exec, exec, s[8:9]
	v_add_u32_e32 v2, s15, v2
	v_cmp_lt_u32_e64 s[8:9], 3, v2
	s_or_b64 s[22:23], s[8:9], s[22:23]
	v_add_u32_e32 v3, s29, v3
	s_andn2_b64 exec, exec, s[22:23]
	s_cbranch_execz .LBB42_12
.LBB42_6:                               ; =>This Loop Header: Depth=1
                                        ;     Child Loop BB42_8 Depth 2
	v_mov_b32_e32 v4, 0xff800000
	v_mov_b32_e32 v7, 0xff800000
	s_and_saveexec_b64 s[24:25], vcc
	s_cbranch_execz .LBB42_10
; %bb.7:                                ;   in Loop: Header=BB42_6 Depth=1
	s_mov_b64 s[26:27], 0
	v_mov_b32_e32 v4, 0xff800000
	v_mov_b32_e32 v5, v3
	;; [unrolled: 1-line block ×4, first 2 shown]
.LBB42_8:                               ;   Parent Loop BB42_6 Depth=1
                                        ; =>  This Inner Loop Header: Depth=2
	ds_read_b128 v[10:13], v5
	v_add_u32_e32 v6, 16, v6
	v_max_f32_e32 v7, v7, v7
	v_cmp_le_i32_e64 s[8:9], s12, v6
	s_or_b64 s[26:27], s[8:9], s[26:27]
	s_waitcnt lgkmcnt(0)
	v_max_f32_e32 v14, v10, v10
	v_max_f32_e32 v7, v14, v7
	v_cmp_gt_f32_e64 s[8:9], v10, v4
	v_max_f32_e32 v9, v4, v4
	v_cndmask_b32_e64 v4, v7, v4, s[8:9]
	v_max_f32_e32 v15, v11, v11
	v_max_f32_e32 v9, v14, v9
	;; [unrolled: 1-line block ×4, first 2 shown]
	v_cmp_gt_f32_e64 s[8:9], v11, v9
	v_max_f32_e32 v16, v12, v12
	v_max_f32_e32 v7, v15, v9
	v_cndmask_b32_e64 v9, v14, v9, s[8:9]
	v_max_f32_e32 v9, v16, v9
	v_cmp_gt_f32_e64 s[8:9], v12, v7
	v_max_f32_e32 v17, v13, v13
	v_max_f32_e32 v10, v16, v7
	v_cndmask_b32_e64 v7, v9, v7, s[8:9]
	v_max_f32_e32 v7, v17, v7
	v_cmp_gt_f32_e64 s[8:9], v13, v10
	v_add_u32_e32 v5, 0x100, v5
	v_max_f32_e32 v4, v17, v10
	v_cndmask_b32_e64 v7, v7, v10, s[8:9]
	s_andn2_b64 exec, exec, s[26:27]
	s_cbranch_execnz .LBB42_8
; %bb.9:                                ;   in Loop: Header=BB42_6 Depth=1
	s_or_b64 exec, exec, s[26:27]
.LBB42_10:                              ;   in Loop: Header=BB42_6 Depth=1
	s_or_b64 exec, exec, s[24:25]
	s_and_saveexec_b64 s[8:9], s[2:3]
	s_cbranch_execz .LBB42_5
; %bb.11:                               ;   in Loop: Header=BB42_6 Depth=1
	v_lshl_add_u32 v5, v2, 2, s28
	v_add_f32_e32 v4, v7, v4
	ds_write_b32 v5, v4
	s_branch .LBB42_5
.LBB42_12:
	s_or_b64 exec, exec, s[10:11]
	s_cmp_lt_i32 s14, 1
	s_waitcnt lgkmcnt(0)
	s_barrier
	s_cbranch_scc1 .LBB42_15
; %bb.13:
	v_mov_b32_e32 v1, s28
	s_mov_b32 s2, 0xff800000
	v_mov_b32_e32 v2, 0xff800000
.LBB42_14:                              ; =>This Inner Loop Header: Depth=1
	ds_read2_b32 v[4:5], v1 offset1:1
	ds_read2_b32 v[6:7], v1 offset0:2 offset1:3
	s_waitcnt lgkmcnt(1)
	v_cmp_nlg_f32_e32 vcc, s2, v4
	v_cndmask_b32_e64 v3, 0, 1, vcc
	v_cmp_lg_f32_e32 vcc, s2, v4
	v_cndmask_b32_e32 v4, v2, v4, vcc
	v_readfirstlane_b32 s3, v3
	v_cmp_gt_f32_e32 vcc, v5, v4
	s_lshl_b32 s3, s3, 2
	v_cndmask_b32_e32 v3, v4, v5, vcc
	s_and_b64 s[8:9], vcc, exec
	s_waitcnt lgkmcnt(0)
	v_cmp_gt_f32_e32 vcc, v6, v3
	v_cndmask_b32_e32 v3, v3, v6, vcc
	s_cselect_b32 s3, 1, s3
	s_and_b64 s[8:9], vcc, exec
	v_cmp_ngt_f32_e32 vcc, v7, v3
	s_cselect_b32 s3, 2, s3
	s_and_b64 s[8:9], vcc, exec
	s_cselect_b32 s3, s3, 3
	s_lshl_b32 s3, s3, 2
	s_add_i32 s3, s28, s3
	s_add_i32 s14, s14, -1
	v_mov_b32_e32 v3, s3
	s_cmp_lg_u32 s14, 0
	ds_write_b32 v3, v2
	s_cbranch_scc1 .LBB42_14
.LBB42_15:
	v_lshlrev_b32_e32 v1, 2, v0
	s_and_saveexec_b64 s[2:3], s[0:1]
	s_cbranch_execz .LBB42_20
; %bb.16:
	s_abs_i32 s12, s7
	v_cvt_f32_u32_e32 v2, s12
	s_load_dword s10, s[4:5], 0x4c
	s_sub_i32 s11, 0, s12
	s_ashr_i32 s14, s7, 31
	v_rcp_iflag_f32_e32 v2, v2
	v_lshlrev_b32_e32 v6, 2, v0
	s_waitcnt lgkmcnt(0)
	s_and_b32 s15, s10, 0xffff
	v_lshl_add_u32 v7, v0, 4, 0
	v_mul_f32_e32 v2, 0x4f7ffffe, v2
	v_cvt_u32_f32_e32 v2, v2
	s_mov_b64 s[8:9], 0
	s_lshl_b32 s22, s15, 2
	s_lshl_b32 s23, s15, 4
	v_mul_lo_u32 v3, s11, v2
	v_mul_hi_u32 v3, v2, v3
	v_add_u32_e32 v9, v2, v3
	s_mov_b32 s24, 0xff800000
	v_mov_b32_e32 v2, 0xff800000
	v_mov_b32_e32 v10, v0
	s_branch .LBB42_18
.LBB42_17:                              ;   in Loop: Header=BB42_18 Depth=1
	s_or_b64 exec, exec, s[10:11]
	v_add_u32_e32 v10, s15, v10
	v_cmp_le_i32_e32 vcc, s7, v10
	v_add_u32_e32 v6, s22, v6
	s_or_b64 s[8:9], vcc, s[8:9]
	v_add_u32_e32 v7, s23, v7
	s_andn2_b64 exec, exec, s[8:9]
	s_cbranch_execz .LBB42_20
.LBB42_18:                              ; =>This Inner Loop Header: Depth=1
	v_mul_hi_u32 v3, v6, v9
	v_mul_lo_u32 v4, v3, s12
	v_sub_u32_e32 v4, v6, v4
	v_add_u32_e32 v5, 1, v3
	v_cmp_le_u32_e32 vcc, s12, v4
	v_cndmask_b32_e32 v3, v3, v5, vcc
	v_subrev_u32_e32 v5, s12, v4
	v_cndmask_b32_e32 v4, v4, v5, vcc
	v_add_u32_e32 v5, 1, v3
	v_cmp_le_u32_e32 vcc, s12, v4
	v_cndmask_b32_e32 v3, v3, v5, vcc
	v_xor_b32_e32 v3, s14, v3
	v_subrev_u32_e32 v3, s14, v3
	v_lshl_add_u32 v3, v3, 2, s28
	ds_read_b32 v3, v3
	s_waitcnt lgkmcnt(0)
	v_cmp_neq_f32_e32 vcc, s24, v3
	s_and_saveexec_b64 s[10:11], vcc
	s_cbranch_execz .LBB42_17
; %bb.19:                               ;   in Loop: Header=BB42_18 Depth=1
	v_mov_b32_e32 v3, v2
	v_mov_b32_e32 v4, v2
	;; [unrolled: 1-line block ×3, first 2 shown]
	ds_write_b128 v7, v[2:5]
	s_branch .LBB42_17
.LBB42_20:
	s_or_b64 exec, exec, s[2:3]
	s_cmp_lt_i32 s13, 1
	s_waitcnt lgkmcnt(0)
	s_barrier
	s_cbranch_scc1 .LBB42_27
; %bb.21:
	s_add_u32 s2, s4, 64
	s_addc_u32 s3, s5, 0
	s_mov_b32 s12, 0
	v_mov_b32_e32 v4, 0
	v_mov_b32_e32 v5, 0xff800000
                                        ; implicit-def: $vgpr3
                                        ; implicit-def: $vgpr2
	s_branch .LBB42_23
.LBB42_22:                              ;   in Loop: Header=BB42_23 Depth=1
	s_or_b64 exec, exec, s[8:9]
	v_mov_b32_dpp v10, v7 quad_perm:[1,0,3,2] row_mask:0xf bank_mask:0xf
	v_cmp_lt_f32_e32 vcc, v7, v10
	v_cndmask_b32_e32 v7, v7, v10, vcc
	v_mov_b32_dpp v9, v6 quad_perm:[1,0,3,2] row_mask:0xf bank_mask:0xf
	v_cndmask_b32_e32 v6, v6, v9, vcc
	v_mov_b32_dpp v10, v7 quad_perm:[2,3,0,1] row_mask:0xf bank_mask:0xf
	v_cmp_gt_f32_e32 vcc, v10, v7
	v_cndmask_b32_e32 v7, v7, v10, vcc
	v_mov_b32_dpp v9, v6 quad_perm:[2,3,0,1] row_mask:0xf bank_mask:0xf
	v_cndmask_b32_e32 v6, v6, v9, vcc
	v_mov_b32_dpp v10, v7 row_half_mirror row_mask:0xf bank_mask:0xf
	v_cmp_gt_f32_e32 vcc, v10, v7
	v_cndmask_b32_e32 v7, v7, v10, vcc
	v_mov_b32_dpp v9, v6 row_half_mirror row_mask:0xf bank_mask:0xf
	v_cndmask_b32_e32 v6, v6, v9, vcc
	v_mov_b32_dpp v10, v7 row_mirror row_mask:0xf bank_mask:0xf
	v_cmp_gt_f32_e32 vcc, v10, v7
	v_cndmask_b32_e32 v7, v7, v10, vcc
	v_mov_b32_dpp v9, v6 row_mirror row_mask:0xf bank_mask:0xf
	v_cndmask_b32_e32 v6, v6, v9, vcc
	v_mov_b32_dpp v10, v7 row_bcast:15 row_mask:0xf bank_mask:0xf
	v_cmp_gt_f32_e32 vcc, v10, v7
	v_mov_b32_dpp v9, v6 row_bcast:15 row_mask:0xf bank_mask:0xf
	v_cndmask_b32_e32 v7, v7, v10, vcc
	v_cndmask_b32_e32 v6, v6, v9, vcc
	s_nop 0
	v_mov_b32_dpp v10, v7 row_bcast:31 row_mask:0xf bank_mask:0xf
	v_mov_b32_dpp v9, v6 row_bcast:31 row_mask:0xf bank_mask:0xf
	v_cmp_gt_f32_e32 vcc, v10, v7
	v_cndmask_b32_e32 v6, v6, v9, vcc
	v_readlane_b32 s8, v6, 63
	s_ashr_i32 s9, s8, 31
	s_lshl_b64 s[10:11], s[8:9], 1
	s_add_u32 s10, s16, s10
	s_addc_u32 s11, s17, s11
	global_load_ushort v6, v4, s[10:11]
	v_cndmask_b32_e32 v7, v7, v10, vcc
	v_readlane_b32 s9, v7, 63
	v_mov_b32_e32 v7, s8
	s_lshl_b32 s8, s8, 2
	v_cmp_eq_u32_e32 vcc, s12, v0
	s_add_i32 s8, s8, 0
	v_cndmask_b32_e32 v2, v2, v7, vcc
	v_mov_b32_e32 v7, s8
	ds_write_b32 v7, v5
	s_add_i32 s12, s12, 1
	s_cmp_eq_u32 s12, s13
	s_waitcnt vmcnt(0)
	v_and_b32_e32 v7, 0xff, v6
	v_lshlrev_b32_e32 v6, 16, v6
	v_lshlrev_b32_e32 v7, 16, v7
	v_and_b32_e32 v6, 0xff000000, v6
	v_or_b32_e32 v6, v7, v6
	v_sub_f32_e32 v6, s9, v6
	v_cndmask_b32_e32 v3, v3, v6, vcc
	s_cbranch_scc1 .LBB42_28
.LBB42_23:                              ; =>This Loop Header: Depth=1
                                        ;     Child Loop BB42_25 Depth 2
	v_mov_b32_e32 v6, s12
	v_mov_b32_e32 v7, 0xff800000
	s_and_saveexec_b64 s[8:9], s[0:1]
	s_cbranch_execz .LBB42_22
; %bb.24:                               ;   in Loop: Header=BB42_23 Depth=1
	s_load_dword s14, s[2:3], 0xc
	s_mov_b64 s[10:11], 0
	v_mov_b32_e32 v6, s12
	v_mov_b32_e32 v7, 0xff800000
	;; [unrolled: 1-line block ×3, first 2 shown]
	s_waitcnt lgkmcnt(0)
	s_and_b32 s14, s14, 0xffff
	s_lshl_b32 s15, s14, 2
	s_lshl_b32 s22, s14, 4
	v_mov_b32_e32 v10, v1
	v_mov_b32_e32 v11, v0
.LBB42_25:                              ;   Parent Loop BB42_23 Depth=1
                                        ; =>  This Inner Loop Header: Depth=2
	ds_read_b128 v[12:15], v9
	v_add_u32_e32 v11, s14, v11
	v_cmp_le_i32_e32 vcc, s7, v11
	s_or_b64 s[10:11], vcc, s[10:11]
	v_add_u32_e32 v16, 1, v10
	s_waitcnt lgkmcnt(0)
	v_cmp_gt_f32_e32 vcc, v12, v7
	v_cndmask_b32_e32 v7, v7, v12, vcc
	v_cndmask_b32_e32 v6, v6, v10, vcc
	v_cmp_gt_f32_e32 vcc, v13, v7
	v_cndmask_b32_e32 v7, v7, v13, vcc
	v_cndmask_b32_e32 v6, v6, v16, vcc
	v_cmp_gt_f32_e32 vcc, v14, v7
	v_add_u32_e32 v17, 2, v10
	v_cndmask_b32_e32 v7, v7, v14, vcc
	v_add_u32_e32 v18, 3, v10
	v_cndmask_b32_e32 v6, v6, v17, vcc
	v_cmp_gt_f32_e32 vcc, v15, v7
	v_add_u32_e32 v9, s22, v9
	v_add_u32_e32 v10, s15, v10
	v_cndmask_b32_e32 v7, v7, v15, vcc
	v_cndmask_b32_e32 v6, v6, v18, vcc
	s_andn2_b64 exec, exec, s[10:11]
	s_cbranch_execnz .LBB42_25
; %bb.26:                               ;   in Loop: Header=BB42_23 Depth=1
	s_or_b64 exec, exec, s[10:11]
	s_branch .LBB42_22
.LBB42_27:
                                        ; implicit-def: $vgpr3
                                        ; implicit-def: $vgpr2
.LBB42_28:
	v_cmp_gt_i32_e32 vcc, s13, v0
	s_and_saveexec_b64 s[0:1], vcc
	s_cbranch_execz .LBB42_31
; %bb.29:
	s_load_dword s2, s[4:5], 0x38
	s_load_dwordx2 s[0:1], s[4:5], 0x20
	s_ashr_i32 s3, s6, 31
	s_load_dword s4, s[4:5], 0x4c
	v_mov_b32_e32 v4, s19
	s_waitcnt lgkmcnt(0)
	v_mul_f32_e32 v1, s2, v3
	s_mul_i32 s1, s6, s1
	s_mul_hi_u32 s2, s6, s0
	s_add_i32 s1, s2, s1
	s_mul_i32 s3, s3, s0
	s_add_i32 s5, s1, s3
	s_mul_i32 s2, s6, s0
	s_and_b32 s3, s4, 0xffff
	s_mov_b64 s[0:1], 0
	v_mov_b32_e32 v3, s5
	v_mov_b32_e32 v5, s21
.LBB42_30:                              ; =>This Inner Loop Header: Depth=1
	v_ashrrev_i32_e32 v7, 31, v0
	v_add_co_u32_e32 v6, vcc, s2, v0
	v_addc_co_u32_e32 v7, vcc, v3, v7, vcc
	v_add_u32_e32 v0, s3, v0
	v_cmp_le_i32_e32 vcc, s13, v0
	v_lshlrev_b64 v[6:7], 2, v[6:7]
	s_or_b64 s[0:1], vcc, s[0:1]
	v_add_co_u32_e32 v8, vcc, s18, v6
	v_addc_co_u32_e32 v9, vcc, v4, v7, vcc
	v_add_co_u32_e32 v6, vcc, s20, v6
	v_addc_co_u32_e32 v7, vcc, v5, v7, vcc
	global_store_dword v[8:9], v1, off
	global_store_dword v[6:7], v2, off
	s_andn2_b64 exec, exec, s[0:1]
	s_cbranch_execnz .LBB42_30
.LBB42_31:
	s_endpgm
	.section	.rodata,"a",@progbits
	.p2align	6, 0x0
	.amdhsa_kernel _ZN5aiter19grouped_topk_kernelIN3c108BFloat16EDv4_fLi4ELb0ELb1ELb0EEEvPT_PKS4_PfPimiiiif
		.amdhsa_group_segment_fixed_size 0
		.amdhsa_private_segment_fixed_size 0
		.amdhsa_kernarg_size 320
		.amdhsa_user_sgpr_count 6
		.amdhsa_user_sgpr_private_segment_buffer 1
		.amdhsa_user_sgpr_dispatch_ptr 0
		.amdhsa_user_sgpr_queue_ptr 0
		.amdhsa_user_sgpr_kernarg_segment_ptr 1
		.amdhsa_user_sgpr_dispatch_id 0
		.amdhsa_user_sgpr_flat_scratch_init 0
		.amdhsa_user_sgpr_kernarg_preload_length 0
		.amdhsa_user_sgpr_kernarg_preload_offset 0
		.amdhsa_user_sgpr_private_segment_size 0
		.amdhsa_uses_dynamic_stack 0
		.amdhsa_system_sgpr_private_segment_wavefront_offset 0
		.amdhsa_system_sgpr_workgroup_id_x 1
		.amdhsa_system_sgpr_workgroup_id_y 0
		.amdhsa_system_sgpr_workgroup_id_z 0
		.amdhsa_system_sgpr_workgroup_info 0
		.amdhsa_system_vgpr_workitem_id 0
		.amdhsa_next_free_vgpr 38
		.amdhsa_next_free_sgpr 34
		.amdhsa_accum_offset 40
		.amdhsa_reserve_vcc 1
		.amdhsa_reserve_flat_scratch 0
		.amdhsa_float_round_mode_32 0
		.amdhsa_float_round_mode_16_64 0
		.amdhsa_float_denorm_mode_32 3
		.amdhsa_float_denorm_mode_16_64 3
		.amdhsa_dx10_clamp 1
		.amdhsa_ieee_mode 1
		.amdhsa_fp16_overflow 0
		.amdhsa_tg_split 0
		.amdhsa_exception_fp_ieee_invalid_op 0
		.amdhsa_exception_fp_denorm_src 0
		.amdhsa_exception_fp_ieee_div_zero 0
		.amdhsa_exception_fp_ieee_overflow 0
		.amdhsa_exception_fp_ieee_underflow 0
		.amdhsa_exception_fp_ieee_inexact 0
		.amdhsa_exception_int_div_zero 0
	.end_amdhsa_kernel
	.section	.text._ZN5aiter19grouped_topk_kernelIN3c108BFloat16EDv4_fLi4ELb0ELb1ELb0EEEvPT_PKS4_PfPimiiiif,"axG",@progbits,_ZN5aiter19grouped_topk_kernelIN3c108BFloat16EDv4_fLi4ELb0ELb1ELb0EEEvPT_PKS4_PfPimiiiif,comdat
.Lfunc_end42:
	.size	_ZN5aiter19grouped_topk_kernelIN3c108BFloat16EDv4_fLi4ELb0ELb1ELb0EEEvPT_PKS4_PfPimiiiif, .Lfunc_end42-_ZN5aiter19grouped_topk_kernelIN3c108BFloat16EDv4_fLi4ELb0ELb1ELb0EEEvPT_PKS4_PfPimiiiif
                                        ; -- End function
	.section	.AMDGPU.csdata,"",@progbits
; Kernel info:
; codeLenInByte = 2560
; NumSgprs: 38
; NumVgprs: 38
; NumAgprs: 0
; TotalNumVgprs: 38
; ScratchSize: 0
; MemoryBound: 0
; FloatMode: 240
; IeeeMode: 1
; LDSByteSize: 0 bytes/workgroup (compile time only)
; SGPRBlocks: 4
; VGPRBlocks: 4
; NumSGPRsForWavesPerEU: 38
; NumVGPRsForWavesPerEU: 38
; AccumOffset: 40
; Occupancy: 8
; WaveLimiterHint : 0
; COMPUTE_PGM_RSRC2:SCRATCH_EN: 0
; COMPUTE_PGM_RSRC2:USER_SGPR: 6
; COMPUTE_PGM_RSRC2:TRAP_HANDLER: 0
; COMPUTE_PGM_RSRC2:TGID_X_EN: 1
; COMPUTE_PGM_RSRC2:TGID_Y_EN: 0
; COMPUTE_PGM_RSRC2:TGID_Z_EN: 0
; COMPUTE_PGM_RSRC2:TIDIG_COMP_CNT: 0
; COMPUTE_PGM_RSRC3_GFX90A:ACCUM_OFFSET: 9
; COMPUTE_PGM_RSRC3_GFX90A:TG_SPLIT: 0
	.section	.text._ZN5aiter19grouped_topk_kernelIfDv4_fLi4ELb0ELb0ELb1EEEvPT_PKS2_PfPimiiiif,"axG",@progbits,_ZN5aiter19grouped_topk_kernelIfDv4_fLi4ELb0ELb0ELb1EEEvPT_PKS2_PfPimiiiif,comdat
	.protected	_ZN5aiter19grouped_topk_kernelIfDv4_fLi4ELb0ELb0ELb1EEEvPT_PKS2_PfPimiiiif ; -- Begin function _ZN5aiter19grouped_topk_kernelIfDv4_fLi4ELb0ELb0ELb1EEEvPT_PKS2_PfPimiiiif
	.globl	_ZN5aiter19grouped_topk_kernelIfDv4_fLi4ELb0ELb0ELb1EEEvPT_PKS2_PfPimiiiif
	.p2align	8
	.type	_ZN5aiter19grouped_topk_kernelIfDv4_fLi4ELb0ELb0ELb1EEEvPT_PKS2_PfPimiiiif,@function
_ZN5aiter19grouped_topk_kernelIfDv4_fLi4ELb0ELb0ELb1EEEvPT_PKS2_PfPimiiiif: ; @_ZN5aiter19grouped_topk_kernelIfDv4_fLi4ELb0ELb0ELb1EEEvPT_PKS2_PfPimiiiif
; %bb.0:
	s_load_dwordx4 s[8:11], s[4:5], 0x28
	s_load_dwordx4 s[12:15], s[4:5], 0x10
	v_mov_b32_e32 v1, 0xff800000
	s_waitcnt lgkmcnt(0)
	v_cmp_gt_i32_e32 vcc, s8, v0
	s_and_saveexec_b64 s[2:3], vcc
	s_cbranch_execz .LBB43_4
; %bb.1:
	s_load_dword s0, s[4:5], 0x4c
	s_load_dwordx2 s[16:17], s[4:5], 0x0
	s_mul_i32 s7, s6, s8
	v_lshl_add_u32 v2, v0, 2, 0
	s_mov_b64 s[18:19], 0
	s_waitcnt lgkmcnt(0)
	s_and_b32 s11, s0, 0xffff
	s_lshl_b32 s20, s11, 2
	v_mov_b32_e32 v1, 0xff800000
	v_mov_b32_e32 v3, s17
	v_mov_b32_e32 v4, v0
.LBB43_2:                               ; =>This Inner Loop Header: Depth=1
	v_add_u32_e32 v6, s7, v4
	v_ashrrev_i32_e32 v7, 31, v6
	v_lshlrev_b64 v[6:7], 2, v[6:7]
	v_add_co_u32_e64 v6, s[0:1], s16, v6
	v_addc_co_u32_e64 v7, s[0:1], v3, v7, s[0:1]
	global_load_dword v5, v[6:7], off
	v_add_u32_e32 v4, s11, v4
	v_cmp_le_i32_e64 s[0:1], s8, v4
	s_or_b64 s[18:19], s[0:1], s[18:19]
	s_waitcnt vmcnt(0)
	v_cmp_gt_f32_e64 s[0:1], v5, v1
	ds_write_b32 v2, v5
	v_cndmask_b32_e64 v1, v1, v5, s[0:1]
	v_add_u32_e32 v2, s20, v2
	s_andn2_b64 exec, exec, s[18:19]
	s_cbranch_execnz .LBB43_2
; %bb.3:
	s_or_b64 exec, exec, s[18:19]
.LBB43_4:
	s_or_b64 exec, exec, s[2:3]
	v_mov_b32_dpp v2, v1 quad_perm:[1,0,3,2] row_mask:0xf bank_mask:0xf
	v_cmp_lt_f32_e64 s[0:1], v1, v2
	v_cndmask_b32_e64 v1, v1, v2, s[0:1]
	v_bfrev_b32_e32 v3, 0.5
	s_waitcnt lgkmcnt(0)
	v_mov_b32_dpp v2, v1 quad_perm:[2,3,0,1] row_mask:0xf bank_mask:0xf
	v_cmp_lt_f32_e64 s[0:1], v1, v2
	v_cndmask_b32_e64 v1, v1, v2, s[0:1]
	s_barrier
	s_nop 0
	v_mov_b32_dpp v2, v1 row_half_mirror row_mask:0xf bank_mask:0xf
	v_cmp_lt_f32_e64 s[0:1], v1, v2
	v_cndmask_b32_e64 v1, v1, v2, s[0:1]
	s_nop 1
	v_mov_b32_dpp v2, v1 row_mirror row_mask:0xf bank_mask:0xf
	v_cmp_lt_f32_e64 s[0:1], v1, v2
	v_cndmask_b32_e64 v1, v1, v2, s[0:1]
	s_nop 1
	v_mov_b32_dpp v2, v1 row_bcast:15 row_mask:0xf bank_mask:0xf
	v_cmp_lt_f32_e64 s[0:1], v1, v2
	v_cndmask_b32_e64 v1, v1, v2, s[0:1]
	s_nop 1
	v_mov_b32_dpp v2, v1 row_bcast:31 row_mask:0xf bank_mask:0xf
	v_cmp_lt_f32_e64 s[0:1], v1, v2
	v_cndmask_b32_e64 v2, v1, v2, s[0:1]
	v_mbcnt_lo_u32_b32 v1, -1, 0
	v_mbcnt_hi_u32_b32 v1, -1, v1
	v_lshl_or_b32 v1, v1, 2, v3
	ds_bpermute_b32 v3, v1, v2
	v_mov_b32_e32 v2, 0
	s_and_saveexec_b64 s[2:3], vcc
	s_cbranch_execz .LBB43_8
; %bb.5:
	s_load_dword s0, s[4:5], 0x4c
	v_lshl_add_u32 v4, v0, 2, 0
	s_mov_b64 s[16:17], 0
	v_mov_b32_e32 v2, 0
	s_mov_b32 s7, 0x3fb8aa3b
	s_waitcnt lgkmcnt(0)
	s_and_b32 s11, s0, 0xffff
	s_lshl_b32 s18, s11, 2
	s_mov_b32 s19, 0xc2ce8ed0
	s_mov_b32 s20, 0x42b17218
	v_mov_b32_e32 v5, 0x7f800000
	v_mov_b32_e32 v6, v0
.LBB43_6:                               ; =>This Inner Loop Header: Depth=1
	ds_read_b32 v7, v4
	v_add_u32_e32 v6, s11, v6
	s_waitcnt lgkmcnt(0)
	v_sub_f32_e32 v7, v7, v3
	v_mul_f32_e32 v8, 0x3fb8aa3b, v7
	v_fma_f32 v9, v7, s7, -v8
	v_rndne_f32_e32 v10, v8
	v_fmac_f32_e32 v9, 0x32a5705f, v7
	v_sub_f32_e32 v8, v8, v10
	v_add_f32_e32 v8, v8, v9
	v_cvt_i32_f32_e32 v10, v10
	v_exp_f32_e32 v8, v8
	v_cmp_ngt_f32_e64 s[0:1], s19, v7
	v_ldexp_f32 v8, v8, v10
	v_cndmask_b32_e64 v8, 0, v8, s[0:1]
	v_cmp_nlt_f32_e64 s[0:1], s20, v7
	v_cndmask_b32_e64 v7, v5, v8, s[0:1]
	v_cmp_le_i32_e64 s[0:1], s8, v6
	ds_write_b32 v4, v7
	v_add_f32_e32 v2, v2, v7
	s_or_b64 s[16:17], s[0:1], s[16:17]
	v_add_u32_e32 v4, s18, v4
	s_andn2_b64 exec, exec, s[16:17]
	s_cbranch_execnz .LBB43_6
; %bb.7:
	s_or_b64 exec, exec, s[16:17]
.LBB43_8:
	s_or_b64 exec, exec, s[2:3]
	s_waitcnt lgkmcnt(0)
	v_mov_b32_dpp v3, v2 quad_perm:[1,0,3,2] row_mask:0xf bank_mask:0xf
	v_add_f32_e32 v2, v2, v3
	s_barrier
	s_nop 0
	v_mov_b32_dpp v3, v2 quad_perm:[2,3,0,1] row_mask:0xf bank_mask:0xf
	v_add_f32_e32 v2, v2, v3
	s_nop 1
	v_mov_b32_dpp v3, v2 row_half_mirror row_mask:0xf bank_mask:0xf
	v_add_f32_e32 v2, v2, v3
	s_nop 1
	v_mov_b32_dpp v3, v2 row_mirror row_mask:0xf bank_mask:0xf
	v_add_f32_e32 v2, v2, v3
	s_nop 1
	v_mov_b32_dpp v3, v2 row_bcast:15 row_mask:0xf bank_mask:0xf
	v_add_f32_e32 v2, v2, v3
	s_nop 1
	v_mov_b32_dpp v3, v2 row_bcast:31 row_mask:0xf bank_mask:0xf
	v_add_f32_e32 v2, v2, v3
	ds_bpermute_b32 v1, v1, v2
	s_and_saveexec_b64 s[0:1], vcc
	s_cbranch_execz .LBB43_11
; %bb.9:
	s_load_dword s7, s[4:5], 0x4c
	v_lshl_add_u32 v2, v0, 2, 0
	s_mov_b64 s[2:3], 0
	v_mov_b32_e32 v3, v0
	s_waitcnt lgkmcnt(0)
	s_and_b32 s7, s7, 0xffff
	s_lshl_b32 s11, s7, 2
.LBB43_10:                              ; =>This Inner Loop Header: Depth=1
	ds_read_b32 v4, v2
	v_add_u32_e32 v3, s7, v3
	v_cmp_le_i32_e32 vcc, s8, v3
	s_or_b64 s[2:3], vcc, s[2:3]
	s_waitcnt lgkmcnt(0)
	v_div_scale_f32 v5, s[16:17], v1, v1, v4
	v_rcp_f32_e32 v6, v5
	v_div_scale_f32 v7, vcc, v4, v1, v4
	v_fma_f32 v8, -v5, v6, 1.0
	v_fmac_f32_e32 v6, v8, v6
	v_mul_f32_e32 v8, v7, v6
	v_fma_f32 v9, -v5, v8, v7
	v_fmac_f32_e32 v8, v9, v6
	v_fma_f32 v5, -v5, v8, v7
	v_div_fmas_f32 v5, v5, v6, v8
	v_div_fixup_f32 v4, v5, v1, v4
	ds_write_b32 v2, v4
	v_add_u32_e32 v2, s11, v2
	s_andn2_b64 exec, exec, s[2:3]
	s_cbranch_execnz .LBB43_10
.LBB43_11:
	s_or_b64 exec, exec, s[0:1]
	s_ashr_i32 s0, s8, 31
	s_lshr_b32 s0, s0, 30
	s_add_i32 s0, s8, s0
	s_ashr_i32 s7, s0, 2
	s_lshl_b32 s0, s8, 2
	s_add_i32 s20, s0, 0
	v_cmp_gt_u32_e32 vcc, 4, v0
	s_waitcnt lgkmcnt(0)
	s_barrier
	s_and_saveexec_b64 s[2:3], vcc
	s_cbranch_execz .LBB43_18
; %bb.12:
	s_load_dword s0, s[4:5], 0x4c
	v_mul_lo_u32 v1, v0, s7
	v_lshl_add_u32 v1, v1, 2, 0
	s_mov_b64 s[16:17], 0
	s_waitcnt lgkmcnt(0)
	s_and_b32 s11, s0, 0xffff
	s_cmp_gt_i32 s8, 3
	s_cselect_b64 s[0:1], -1, 0
	s_mul_i32 s8, s7, s11
	v_cndmask_b32_e64 v2, 0, 1, s[0:1]
	s_lshl_b32 s8, s8, 2
	v_cmp_ne_u32_e64 s[0:1], 1, v2
	v_mov_b32_e32 v2, v0
	s_branch .LBB43_14
.LBB43_13:                              ;   in Loop: Header=BB43_14 Depth=1
	v_lshl_add_u32 v4, v2, 2, s20
	v_add_u32_e32 v2, s11, v2
	v_cmp_lt_u32_e32 vcc, 3, v2
	s_or_b64 s[16:17], vcc, s[16:17]
	v_add_u32_e32 v1, s8, v1
	ds_write_b32 v4, v3
	s_andn2_b64 exec, exec, s[16:17]
	s_cbranch_execz .LBB43_18
.LBB43_14:                              ; =>This Loop Header: Depth=1
                                        ;     Child Loop BB43_16 Depth 2
	s_and_b64 vcc, exec, s[0:1]
	v_mov_b32_e32 v3, 0xff800000
	s_cbranch_vccnz .LBB43_13
; %bb.15:                               ;   in Loop: Header=BB43_14 Depth=1
	v_mul_lo_u32 v4, v2, s7
	v_add_u32_e32 v5, s7, v4
	s_mov_b64 s[18:19], 0
	v_mov_b32_e32 v3, 0xff800000
	v_mov_b32_e32 v6, v1
.LBB43_16:                              ;   Parent Loop BB43_14 Depth=1
                                        ; =>  This Inner Loop Header: Depth=2
	ds_read_b32 v7, v6
	v_add_u32_e32 v4, 1, v4
	v_cmp_ge_i32_e32 vcc, v4, v5
	s_or_b64 s[18:19], vcc, s[18:19]
	v_add_u32_e32 v6, 4, v6
	s_waitcnt lgkmcnt(0)
	v_cmp_gt_f32_e32 vcc, v7, v3
	v_cndmask_b32_e32 v3, v3, v7, vcc
	s_andn2_b64 exec, exec, s[18:19]
	s_cbranch_execnz .LBB43_16
; %bb.17:                               ;   in Loop: Header=BB43_14 Depth=1
	s_or_b64 exec, exec, s[18:19]
	s_branch .LBB43_13
.LBB43_18:
	s_or_b64 exec, exec, s[2:3]
	s_cmp_lt_i32 s10, 1
	s_waitcnt lgkmcnt(0)
	s_barrier
	s_cbranch_scc1 .LBB43_21
; %bb.19:
	v_mov_b32_e32 v1, s20
	s_mov_b32 s0, 0xff800000
	v_mov_b32_e32 v2, 0xff800000
.LBB43_20:                              ; =>This Inner Loop Header: Depth=1
	ds_read2_b32 v[4:5], v1 offset1:1
	ds_read2_b32 v[6:7], v1 offset0:2 offset1:3
	s_waitcnt lgkmcnt(1)
	v_cmp_nlg_f32_e32 vcc, s0, v4
	v_cndmask_b32_e64 v3, 0, 1, vcc
	v_cmp_lg_f32_e32 vcc, s0, v4
	v_cndmask_b32_e32 v4, v2, v4, vcc
	v_readfirstlane_b32 s1, v3
	v_cmp_gt_f32_e32 vcc, v5, v4
	s_lshl_b32 s1, s1, 2
	v_cndmask_b32_e32 v3, v4, v5, vcc
	s_and_b64 s[2:3], vcc, exec
	s_waitcnt lgkmcnt(0)
	v_cmp_gt_f32_e32 vcc, v6, v3
	v_cndmask_b32_e32 v3, v3, v6, vcc
	s_cselect_b32 s1, 1, s1
	s_and_b64 s[2:3], vcc, exec
	v_cmp_ngt_f32_e32 vcc, v7, v3
	s_cselect_b32 s1, 2, s1
	s_and_b64 s[2:3], vcc, exec
	s_cselect_b32 s1, s1, 3
	s_lshl_b32 s1, s1, 2
	s_add_i32 s1, s20, s1
	s_add_i32 s10, s10, -1
	v_mov_b32_e32 v3, s1
	s_cmp_lg_u32 s10, 0
	ds_write_b32 v3, v2
	s_cbranch_scc1 .LBB43_20
.LBB43_21:
	v_cmp_gt_i32_e32 vcc, s7, v0
	v_lshlrev_b32_e32 v1, 2, v0
	v_lshl_add_u32 v6, v0, 4, 0
	s_and_saveexec_b64 s[2:3], vcc
	s_cbranch_execz .LBB43_26
; %bb.22:
	s_abs_i32 s8, s7
	v_cvt_f32_u32_e32 v2, s8
	s_load_dword s0, s[4:5], 0x4c
	s_sub_i32 s1, 0, s8
	s_ashr_i32 s18, s7, 31
	v_rcp_iflag_f32_e32 v2, v2
	v_lshlrev_b32_e32 v7, 2, v0
	s_waitcnt lgkmcnt(0)
	s_and_b32 s19, s0, 0xffff
	v_lshl_add_u32 v8, v0, 4, 0
	v_mul_f32_e32 v2, 0x4f7ffffe, v2
	v_cvt_u32_f32_e32 v2, v2
	s_mov_b64 s[10:11], 0
	s_lshl_b32 s21, s19, 2
	s_lshl_b32 s22, s19, 4
	v_mul_lo_u32 v3, s1, v2
	v_mul_hi_u32 v3, v2, v3
	v_add_u32_e32 v9, v2, v3
	s_mov_b32 s23, 0xff800000
	v_mov_b32_e32 v2, 0xff800000
	v_mov_b32_e32 v10, v0
	s_branch .LBB43_24
.LBB43_23:                              ;   in Loop: Header=BB43_24 Depth=1
	s_or_b64 exec, exec, s[16:17]
	v_add_u32_e32 v10, s19, v10
	v_cmp_le_i32_e64 s[0:1], s7, v10
	v_add_u32_e32 v7, s21, v7
	s_or_b64 s[10:11], s[0:1], s[10:11]
	v_add_u32_e32 v8, s22, v8
	s_andn2_b64 exec, exec, s[10:11]
	s_cbranch_execz .LBB43_26
.LBB43_24:                              ; =>This Inner Loop Header: Depth=1
	v_mul_hi_u32 v3, v7, v9
	v_mul_lo_u32 v4, v3, s8
	v_sub_u32_e32 v4, v7, v4
	v_add_u32_e32 v5, 1, v3
	v_cmp_le_u32_e64 s[0:1], s8, v4
	v_cndmask_b32_e64 v3, v3, v5, s[0:1]
	v_subrev_u32_e32 v5, s8, v4
	v_cndmask_b32_e64 v4, v4, v5, s[0:1]
	v_add_u32_e32 v5, 1, v3
	v_cmp_le_u32_e64 s[0:1], s8, v4
	v_cndmask_b32_e64 v3, v3, v5, s[0:1]
	v_xor_b32_e32 v3, s18, v3
	v_subrev_u32_e32 v3, s18, v3
	v_lshl_add_u32 v3, v3, 2, s20
	ds_read_b32 v3, v3
	s_waitcnt lgkmcnt(0)
	v_cmp_neq_f32_e64 s[0:1], s23, v3
	s_and_saveexec_b64 s[16:17], s[0:1]
	s_cbranch_execz .LBB43_23
; %bb.25:                               ;   in Loop: Header=BB43_24 Depth=1
	v_mov_b32_e32 v3, v2
	v_mov_b32_e32 v4, v2
	;; [unrolled: 1-line block ×3, first 2 shown]
	ds_write_b128 v8, v[2:5]
	s_branch .LBB43_23
.LBB43_26:
	s_or_b64 exec, exec, s[2:3]
	s_cmp_lt_i32 s9, 1
	s_waitcnt lgkmcnt(0)
	s_barrier
	s_cbranch_scc1 .LBB43_33
; %bb.27:
	s_add_u32 s2, s4, 64
	s_addc_u32 s3, s5, 0
	s_mov_b32 s8, 0
	v_mov_b32_e32 v4, 0xff800000
                                        ; implicit-def: $vgpr3
                                        ; implicit-def: $vgpr2
	s_branch .LBB43_29
.LBB43_28:                              ;   in Loop: Header=BB43_29 Depth=1
	s_or_b64 exec, exec, s[10:11]
	v_mov_b32_dpp v9, v7 quad_perm:[1,0,3,2] row_mask:0xf bank_mask:0xf
	v_cmp_lt_f32_e64 s[0:1], v7, v9
	v_cndmask_b32_e64 v7, v7, v9, s[0:1]
	v_mov_b32_dpp v8, v5 quad_perm:[1,0,3,2] row_mask:0xf bank_mask:0xf
	v_cndmask_b32_e64 v5, v5, v8, s[0:1]
	v_mov_b32_dpp v9, v7 quad_perm:[2,3,0,1] row_mask:0xf bank_mask:0xf
	v_cmp_gt_f32_e64 s[0:1], v9, v7
	v_cndmask_b32_e64 v7, v7, v9, s[0:1]
	v_mov_b32_dpp v8, v5 quad_perm:[2,3,0,1] row_mask:0xf bank_mask:0xf
	v_cndmask_b32_e64 v5, v5, v8, s[0:1]
	v_mov_b32_dpp v9, v7 row_half_mirror row_mask:0xf bank_mask:0xf
	v_cmp_gt_f32_e64 s[0:1], v9, v7
	v_cndmask_b32_e64 v7, v7, v9, s[0:1]
	v_mov_b32_dpp v8, v5 row_half_mirror row_mask:0xf bank_mask:0xf
	v_cndmask_b32_e64 v5, v5, v8, s[0:1]
	v_mov_b32_dpp v9, v7 row_mirror row_mask:0xf bank_mask:0xf
	v_cmp_gt_f32_e64 s[0:1], v9, v7
	v_cndmask_b32_e64 v7, v7, v9, s[0:1]
	v_mov_b32_dpp v8, v5 row_mirror row_mask:0xf bank_mask:0xf
	v_cndmask_b32_e64 v5, v5, v8, s[0:1]
	v_mov_b32_dpp v9, v7 row_bcast:15 row_mask:0xf bank_mask:0xf
	v_cmp_gt_f32_e64 s[0:1], v9, v7
	v_mov_b32_dpp v8, v5 row_bcast:15 row_mask:0xf bank_mask:0xf
	v_cndmask_b32_e64 v7, v7, v9, s[0:1]
	v_cndmask_b32_e64 v5, v5, v8, s[0:1]
	s_nop 0
	v_mov_b32_dpp v9, v7 row_bcast:31 row_mask:0xf bank_mask:0xf
	v_mov_b32_dpp v8, v5 row_bcast:31 row_mask:0xf bank_mask:0xf
	v_cmp_gt_f32_e64 s[0:1], v9, v7
	v_cndmask_b32_e64 v5, v5, v8, s[0:1]
	v_cndmask_b32_e64 v7, v7, v9, s[0:1]
	v_readlane_b32 s0, v5, 63
	s_lshl_b32 s1, s0, 2
	s_add_i32 s1, s1, 0
	v_mov_b32_e32 v5, s1
	v_readlane_b32 s10, v7, 63
	ds_write_b32 v5, v4
	v_mov_b32_e32 v5, s0
	v_cmp_eq_u32_e64 s[0:1], s8, v0
	v_cndmask_b32_e64 v2, v2, v5, s[0:1]
	v_mov_b32_e32 v5, s10
	s_add_i32 s8, s8, 1
	s_cmp_eq_u32 s8, s9
	v_cndmask_b32_e64 v3, v3, v5, s[0:1]
	s_cbranch_scc1 .LBB43_34
.LBB43_29:                              ; =>This Loop Header: Depth=1
                                        ;     Child Loop BB43_31 Depth 2
	v_mov_b32_e32 v5, s8
	v_mov_b32_e32 v7, 0xff800000
	s_and_saveexec_b64 s[10:11], vcc
	s_cbranch_execz .LBB43_28
; %bb.30:                               ;   in Loop: Header=BB43_29 Depth=1
	s_load_dword s0, s[2:3], 0xc
	s_mov_b64 s[16:17], 0
	v_mov_b32_e32 v5, s8
	v_mov_b32_e32 v7, 0xff800000
	v_mov_b32_e32 v8, v6
	s_waitcnt lgkmcnt(0)
	s_and_b32 s18, s0, 0xffff
	s_lshl_b32 s19, s18, 2
	s_lshl_b32 s20, s18, 4
	v_mov_b32_e32 v9, v1
	v_mov_b32_e32 v10, v0
.LBB43_31:                              ;   Parent Loop BB43_29 Depth=1
                                        ; =>  This Inner Loop Header: Depth=2
	ds_read_b128 v[12:15], v8
	v_add_u32_e32 v10, s18, v10
	v_cmp_le_i32_e64 s[0:1], s7, v10
	s_or_b64 s[16:17], s[0:1], s[16:17]
	v_add_u32_e32 v11, 1, v9
	s_waitcnt lgkmcnt(0)
	v_cmp_gt_f32_e64 s[0:1], v12, v7
	v_cndmask_b32_e64 v7, v7, v12, s[0:1]
	v_cndmask_b32_e64 v5, v5, v9, s[0:1]
	v_cmp_gt_f32_e64 s[0:1], v13, v7
	v_cndmask_b32_e64 v7, v7, v13, s[0:1]
	v_cndmask_b32_e64 v5, v5, v11, s[0:1]
	v_cmp_gt_f32_e64 s[0:1], v14, v7
	v_add_u32_e32 v16, 2, v9
	v_cndmask_b32_e64 v7, v7, v14, s[0:1]
	v_add_u32_e32 v17, 3, v9
	v_cndmask_b32_e64 v5, v5, v16, s[0:1]
	v_cmp_gt_f32_e64 s[0:1], v15, v7
	v_add_u32_e32 v8, s20, v8
	v_add_u32_e32 v9, s19, v9
	v_cndmask_b32_e64 v7, v7, v15, s[0:1]
	v_cndmask_b32_e64 v5, v5, v17, s[0:1]
	s_andn2_b64 exec, exec, s[16:17]
	s_cbranch_execnz .LBB43_31
; %bb.32:                               ;   in Loop: Header=BB43_29 Depth=1
	s_or_b64 exec, exec, s[16:17]
	s_branch .LBB43_28
.LBB43_33:
                                        ; implicit-def: $vgpr3
                                        ; implicit-def: $vgpr2
.LBB43_34:
	v_cmp_gt_i32_e32 vcc, s9, v0
	s_and_saveexec_b64 s[0:1], vcc
	s_cbranch_execz .LBB43_37
; %bb.35:
	s_load_dword s2, s[4:5], 0x38
	s_load_dwordx2 s[0:1], s[4:5], 0x20
	s_ashr_i32 s3, s6, 31
	s_load_dword s4, s[4:5], 0x4c
	v_mov_b32_e32 v4, s13
	s_waitcnt lgkmcnt(0)
	v_mul_f32_e32 v1, s2, v3
	s_mul_i32 s1, s6, s1
	s_mul_hi_u32 s2, s6, s0
	s_add_i32 s1, s2, s1
	s_mul_i32 s3, s3, s0
	s_add_i32 s5, s1, s3
	s_mul_i32 s2, s6, s0
	s_and_b32 s3, s4, 0xffff
	s_mov_b64 s[0:1], 0
	v_mov_b32_e32 v3, s5
	v_mov_b32_e32 v5, s15
.LBB43_36:                              ; =>This Inner Loop Header: Depth=1
	v_ashrrev_i32_e32 v7, 31, v0
	v_add_co_u32_e32 v6, vcc, s2, v0
	v_addc_co_u32_e32 v7, vcc, v3, v7, vcc
	v_add_u32_e32 v0, s3, v0
	v_cmp_le_i32_e32 vcc, s9, v0
	v_lshlrev_b64 v[6:7], 2, v[6:7]
	s_or_b64 s[0:1], vcc, s[0:1]
	v_add_co_u32_e32 v8, vcc, s12, v6
	v_addc_co_u32_e32 v9, vcc, v4, v7, vcc
	v_add_co_u32_e32 v6, vcc, s14, v6
	v_addc_co_u32_e32 v7, vcc, v5, v7, vcc
	global_store_dword v[8:9], v1, off
	global_store_dword v[6:7], v2, off
	s_andn2_b64 exec, exec, s[0:1]
	s_cbranch_execnz .LBB43_36
.LBB43_37:
	s_endpgm
	.section	.rodata,"a",@progbits
	.p2align	6, 0x0
	.amdhsa_kernel _ZN5aiter19grouped_topk_kernelIfDv4_fLi4ELb0ELb0ELb1EEEvPT_PKS2_PfPimiiiif
		.amdhsa_group_segment_fixed_size 0
		.amdhsa_private_segment_fixed_size 0
		.amdhsa_kernarg_size 320
		.amdhsa_user_sgpr_count 6
		.amdhsa_user_sgpr_private_segment_buffer 1
		.amdhsa_user_sgpr_dispatch_ptr 0
		.amdhsa_user_sgpr_queue_ptr 0
		.amdhsa_user_sgpr_kernarg_segment_ptr 1
		.amdhsa_user_sgpr_dispatch_id 0
		.amdhsa_user_sgpr_flat_scratch_init 0
		.amdhsa_user_sgpr_kernarg_preload_length 0
		.amdhsa_user_sgpr_kernarg_preload_offset 0
		.amdhsa_user_sgpr_private_segment_size 0
		.amdhsa_uses_dynamic_stack 0
		.amdhsa_system_sgpr_private_segment_wavefront_offset 0
		.amdhsa_system_sgpr_workgroup_id_x 1
		.amdhsa_system_sgpr_workgroup_id_y 0
		.amdhsa_system_sgpr_workgroup_id_z 0
		.amdhsa_system_sgpr_workgroup_info 0
		.amdhsa_system_vgpr_workitem_id 0
		.amdhsa_next_free_vgpr 18
		.amdhsa_next_free_sgpr 24
		.amdhsa_accum_offset 20
		.amdhsa_reserve_vcc 1
		.amdhsa_reserve_flat_scratch 0
		.amdhsa_float_round_mode_32 0
		.amdhsa_float_round_mode_16_64 0
		.amdhsa_float_denorm_mode_32 3
		.amdhsa_float_denorm_mode_16_64 3
		.amdhsa_dx10_clamp 1
		.amdhsa_ieee_mode 1
		.amdhsa_fp16_overflow 0
		.amdhsa_tg_split 0
		.amdhsa_exception_fp_ieee_invalid_op 0
		.amdhsa_exception_fp_denorm_src 0
		.amdhsa_exception_fp_ieee_div_zero 0
		.amdhsa_exception_fp_ieee_overflow 0
		.amdhsa_exception_fp_ieee_underflow 0
		.amdhsa_exception_fp_ieee_inexact 0
		.amdhsa_exception_int_div_zero 0
	.end_amdhsa_kernel
	.section	.text._ZN5aiter19grouped_topk_kernelIfDv4_fLi4ELb0ELb0ELb1EEEvPT_PKS2_PfPimiiiif,"axG",@progbits,_ZN5aiter19grouped_topk_kernelIfDv4_fLi4ELb0ELb0ELb1EEEvPT_PKS2_PfPimiiiif,comdat
.Lfunc_end43:
	.size	_ZN5aiter19grouped_topk_kernelIfDv4_fLi4ELb0ELb0ELb1EEEvPT_PKS2_PfPimiiiif, .Lfunc_end43-_ZN5aiter19grouped_topk_kernelIfDv4_fLi4ELb0ELb0ELb1EEEvPT_PKS2_PfPimiiiif
                                        ; -- End function
	.section	.AMDGPU.csdata,"",@progbits
; Kernel info:
; codeLenInByte = 2452
; NumSgprs: 28
; NumVgprs: 18
; NumAgprs: 0
; TotalNumVgprs: 18
; ScratchSize: 0
; MemoryBound: 0
; FloatMode: 240
; IeeeMode: 1
; LDSByteSize: 0 bytes/workgroup (compile time only)
; SGPRBlocks: 3
; VGPRBlocks: 2
; NumSGPRsForWavesPerEU: 28
; NumVGPRsForWavesPerEU: 18
; AccumOffset: 20
; Occupancy: 8
; WaveLimiterHint : 0
; COMPUTE_PGM_RSRC2:SCRATCH_EN: 0
; COMPUTE_PGM_RSRC2:USER_SGPR: 6
; COMPUTE_PGM_RSRC2:TRAP_HANDLER: 0
; COMPUTE_PGM_RSRC2:TGID_X_EN: 1
; COMPUTE_PGM_RSRC2:TGID_Y_EN: 0
; COMPUTE_PGM_RSRC2:TGID_Z_EN: 0
; COMPUTE_PGM_RSRC2:TIDIG_COMP_CNT: 0
; COMPUTE_PGM_RSRC3_GFX90A:ACCUM_OFFSET: 4
; COMPUTE_PGM_RSRC3_GFX90A:TG_SPLIT: 0
	.section	.text._ZN5aiter19grouped_topk_kernelIN3c104HalfEDv4_fLi4ELb0ELb0ELb1EEEvPT_PKS4_PfPimiiiif,"axG",@progbits,_ZN5aiter19grouped_topk_kernelIN3c104HalfEDv4_fLi4ELb0ELb0ELb1EEEvPT_PKS4_PfPimiiiif,comdat
	.protected	_ZN5aiter19grouped_topk_kernelIN3c104HalfEDv4_fLi4ELb0ELb0ELb1EEEvPT_PKS4_PfPimiiiif ; -- Begin function _ZN5aiter19grouped_topk_kernelIN3c104HalfEDv4_fLi4ELb0ELb0ELb1EEEvPT_PKS4_PfPimiiiif
	.globl	_ZN5aiter19grouped_topk_kernelIN3c104HalfEDv4_fLi4ELb0ELb0ELb1EEEvPT_PKS4_PfPimiiiif
	.p2align	8
	.type	_ZN5aiter19grouped_topk_kernelIN3c104HalfEDv4_fLi4ELb0ELb0ELb1EEEvPT_PKS4_PfPimiiiif,@function
_ZN5aiter19grouped_topk_kernelIN3c104HalfEDv4_fLi4ELb0ELb0ELb1EEEvPT_PKS4_PfPimiiiif: ; @_ZN5aiter19grouped_topk_kernelIN3c104HalfEDv4_fLi4ELb0ELb0ELb1EEEvPT_PKS4_PfPimiiiif
; %bb.0:
	s_load_dwordx4 s[8:11], s[4:5], 0x28
	s_load_dwordx4 s[12:15], s[4:5], 0x10
	v_mov_b32_e32 v1, 0xff800000
	s_waitcnt lgkmcnt(0)
	v_cmp_gt_i32_e32 vcc, s8, v0
	s_and_saveexec_b64 s[2:3], vcc
	s_cbranch_execz .LBB44_4
; %bb.1:
	s_load_dword s0, s[4:5], 0x4c
	s_load_dwordx2 s[16:17], s[4:5], 0x0
	s_mul_i32 s7, s6, s8
	v_lshl_add_u32 v2, v0, 2, 0
	s_mov_b64 s[18:19], 0
	s_waitcnt lgkmcnt(0)
	s_and_b32 s11, s0, 0xffff
	s_lshl_b32 s20, s11, 2
	v_mov_b32_e32 v1, 0xff800000
	v_mov_b32_e32 v3, s17
	;; [unrolled: 1-line block ×3, first 2 shown]
.LBB44_2:                               ; =>This Inner Loop Header: Depth=1
	v_add_u32_e32 v6, s7, v4
	v_ashrrev_i32_e32 v7, 31, v6
	v_lshlrev_b64 v[6:7], 1, v[6:7]
	v_add_co_u32_e64 v6, s[0:1], s16, v6
	v_addc_co_u32_e64 v7, s[0:1], v3, v7, s[0:1]
	global_load_ushort v5, v[6:7], off
	v_add_u32_e32 v4, s11, v4
	v_cmp_le_i32_e64 s[0:1], s8, v4
	s_or_b64 s[18:19], s[0:1], s[18:19]
	s_waitcnt vmcnt(0)
	v_cvt_f32_f16_e32 v5, v5
	v_cmp_lt_f32_e64 s[0:1], v1, v5
	ds_write_b32 v2, v5
	v_cndmask_b32_e64 v1, v1, v5, s[0:1]
	v_add_u32_e32 v2, s20, v2
	s_andn2_b64 exec, exec, s[18:19]
	s_cbranch_execnz .LBB44_2
; %bb.3:
	s_or_b64 exec, exec, s[18:19]
.LBB44_4:
	s_or_b64 exec, exec, s[2:3]
	v_mov_b32_dpp v2, v1 quad_perm:[1,0,3,2] row_mask:0xf bank_mask:0xf
	v_cmp_lt_f32_e64 s[0:1], v1, v2
	v_cndmask_b32_e64 v1, v1, v2, s[0:1]
	v_bfrev_b32_e32 v3, 0.5
	s_waitcnt lgkmcnt(0)
	v_mov_b32_dpp v2, v1 quad_perm:[2,3,0,1] row_mask:0xf bank_mask:0xf
	v_cmp_lt_f32_e64 s[0:1], v1, v2
	v_cndmask_b32_e64 v1, v1, v2, s[0:1]
	s_barrier
	s_nop 0
	v_mov_b32_dpp v2, v1 row_half_mirror row_mask:0xf bank_mask:0xf
	v_cmp_lt_f32_e64 s[0:1], v1, v2
	v_cndmask_b32_e64 v1, v1, v2, s[0:1]
	s_nop 1
	v_mov_b32_dpp v2, v1 row_mirror row_mask:0xf bank_mask:0xf
	v_cmp_lt_f32_e64 s[0:1], v1, v2
	v_cndmask_b32_e64 v1, v1, v2, s[0:1]
	s_nop 1
	v_mov_b32_dpp v2, v1 row_bcast:15 row_mask:0xf bank_mask:0xf
	v_cmp_lt_f32_e64 s[0:1], v1, v2
	v_cndmask_b32_e64 v1, v1, v2, s[0:1]
	s_nop 1
	v_mov_b32_dpp v2, v1 row_bcast:31 row_mask:0xf bank_mask:0xf
	v_cmp_lt_f32_e64 s[0:1], v1, v2
	v_cndmask_b32_e64 v2, v1, v2, s[0:1]
	v_mbcnt_lo_u32_b32 v1, -1, 0
	v_mbcnt_hi_u32_b32 v1, -1, v1
	v_lshl_or_b32 v1, v1, 2, v3
	ds_bpermute_b32 v3, v1, v2
	v_mov_b32_e32 v2, 0
	s_and_saveexec_b64 s[2:3], vcc
	s_cbranch_execz .LBB44_8
; %bb.5:
	s_load_dword s0, s[4:5], 0x4c
	v_lshl_add_u32 v4, v0, 2, 0
	s_mov_b64 s[16:17], 0
	v_mov_b32_e32 v2, 0
	s_mov_b32 s7, 0x3fb8aa3b
	s_waitcnt lgkmcnt(0)
	s_and_b32 s11, s0, 0xffff
	s_lshl_b32 s18, s11, 2
	s_mov_b32 s19, 0xc2ce8ed0
	s_mov_b32 s20, 0x42b17218
	v_mov_b32_e32 v5, 0x7f800000
	v_mov_b32_e32 v6, v0
.LBB44_6:                               ; =>This Inner Loop Header: Depth=1
	ds_read_b32 v7, v4
	v_add_u32_e32 v6, s11, v6
	s_waitcnt lgkmcnt(0)
	v_sub_f32_e32 v7, v7, v3
	v_mul_f32_e32 v8, 0x3fb8aa3b, v7
	v_fma_f32 v9, v7, s7, -v8
	v_rndne_f32_e32 v10, v8
	v_fmac_f32_e32 v9, 0x32a5705f, v7
	v_sub_f32_e32 v8, v8, v10
	v_add_f32_e32 v8, v8, v9
	v_cvt_i32_f32_e32 v10, v10
	v_exp_f32_e32 v8, v8
	v_cmp_ngt_f32_e64 s[0:1], s19, v7
	v_ldexp_f32 v8, v8, v10
	v_cndmask_b32_e64 v8, 0, v8, s[0:1]
	v_cmp_nlt_f32_e64 s[0:1], s20, v7
	v_cndmask_b32_e64 v7, v5, v8, s[0:1]
	v_cmp_le_i32_e64 s[0:1], s8, v6
	ds_write_b32 v4, v7
	v_add_f32_e32 v2, v2, v7
	s_or_b64 s[16:17], s[0:1], s[16:17]
	v_add_u32_e32 v4, s18, v4
	s_andn2_b64 exec, exec, s[16:17]
	s_cbranch_execnz .LBB44_6
; %bb.7:
	s_or_b64 exec, exec, s[16:17]
.LBB44_8:
	s_or_b64 exec, exec, s[2:3]
	s_waitcnt lgkmcnt(0)
	v_mov_b32_dpp v3, v2 quad_perm:[1,0,3,2] row_mask:0xf bank_mask:0xf
	v_add_f32_e32 v2, v2, v3
	s_barrier
	s_nop 0
	v_mov_b32_dpp v3, v2 quad_perm:[2,3,0,1] row_mask:0xf bank_mask:0xf
	v_add_f32_e32 v2, v2, v3
	s_nop 1
	v_mov_b32_dpp v3, v2 row_half_mirror row_mask:0xf bank_mask:0xf
	v_add_f32_e32 v2, v2, v3
	s_nop 1
	v_mov_b32_dpp v3, v2 row_mirror row_mask:0xf bank_mask:0xf
	v_add_f32_e32 v2, v2, v3
	s_nop 1
	v_mov_b32_dpp v3, v2 row_bcast:15 row_mask:0xf bank_mask:0xf
	v_add_f32_e32 v2, v2, v3
	s_nop 1
	v_mov_b32_dpp v3, v2 row_bcast:31 row_mask:0xf bank_mask:0xf
	v_add_f32_e32 v2, v2, v3
	ds_bpermute_b32 v1, v1, v2
	s_and_saveexec_b64 s[0:1], vcc
	s_cbranch_execz .LBB44_11
; %bb.9:
	s_load_dword s7, s[4:5], 0x4c
	v_lshl_add_u32 v2, v0, 2, 0
	s_mov_b64 s[2:3], 0
	v_mov_b32_e32 v3, v0
	s_waitcnt lgkmcnt(0)
	s_and_b32 s7, s7, 0xffff
	s_lshl_b32 s11, s7, 2
.LBB44_10:                              ; =>This Inner Loop Header: Depth=1
	ds_read_b32 v4, v2
	v_add_u32_e32 v3, s7, v3
	v_cmp_le_i32_e32 vcc, s8, v3
	s_or_b64 s[2:3], vcc, s[2:3]
	s_waitcnt lgkmcnt(0)
	v_div_scale_f32 v5, s[16:17], v1, v1, v4
	v_rcp_f32_e32 v6, v5
	v_div_scale_f32 v7, vcc, v4, v1, v4
	v_fma_f32 v8, -v5, v6, 1.0
	v_fmac_f32_e32 v6, v8, v6
	v_mul_f32_e32 v8, v7, v6
	v_fma_f32 v9, -v5, v8, v7
	v_fmac_f32_e32 v8, v9, v6
	v_fma_f32 v5, -v5, v8, v7
	v_div_fmas_f32 v5, v5, v6, v8
	v_div_fixup_f32 v4, v5, v1, v4
	ds_write_b32 v2, v4
	v_add_u32_e32 v2, s11, v2
	s_andn2_b64 exec, exec, s[2:3]
	s_cbranch_execnz .LBB44_10
.LBB44_11:
	s_or_b64 exec, exec, s[0:1]
	s_ashr_i32 s0, s8, 31
	s_lshr_b32 s0, s0, 30
	s_add_i32 s0, s8, s0
	s_ashr_i32 s7, s0, 2
	s_lshl_b32 s0, s8, 2
	s_add_i32 s20, s0, 0
	v_cmp_gt_u32_e32 vcc, 4, v0
	s_waitcnt lgkmcnt(0)
	s_barrier
	s_and_saveexec_b64 s[2:3], vcc
	s_cbranch_execz .LBB44_18
; %bb.12:
	s_load_dword s0, s[4:5], 0x4c
	v_mul_lo_u32 v1, v0, s7
	v_lshl_add_u32 v1, v1, 2, 0
	s_mov_b64 s[16:17], 0
	s_waitcnt lgkmcnt(0)
	s_and_b32 s11, s0, 0xffff
	s_cmp_gt_i32 s8, 3
	s_cselect_b64 s[0:1], -1, 0
	s_mul_i32 s8, s7, s11
	v_cndmask_b32_e64 v2, 0, 1, s[0:1]
	s_lshl_b32 s8, s8, 2
	v_cmp_ne_u32_e64 s[0:1], 1, v2
	v_mov_b32_e32 v2, v0
	s_branch .LBB44_14
.LBB44_13:                              ;   in Loop: Header=BB44_14 Depth=1
	v_lshl_add_u32 v4, v2, 2, s20
	v_add_u32_e32 v2, s11, v2
	v_cmp_lt_u32_e32 vcc, 3, v2
	s_or_b64 s[16:17], vcc, s[16:17]
	v_add_u32_e32 v1, s8, v1
	ds_write_b32 v4, v3
	s_andn2_b64 exec, exec, s[16:17]
	s_cbranch_execz .LBB44_18
.LBB44_14:                              ; =>This Loop Header: Depth=1
                                        ;     Child Loop BB44_16 Depth 2
	s_and_b64 vcc, exec, s[0:1]
	v_mov_b32_e32 v3, 0xff800000
	s_cbranch_vccnz .LBB44_13
; %bb.15:                               ;   in Loop: Header=BB44_14 Depth=1
	v_mul_lo_u32 v4, v2, s7
	v_add_u32_e32 v5, s7, v4
	s_mov_b64 s[18:19], 0
	v_mov_b32_e32 v3, 0xff800000
	v_mov_b32_e32 v6, v1
.LBB44_16:                              ;   Parent Loop BB44_14 Depth=1
                                        ; =>  This Inner Loop Header: Depth=2
	ds_read_b32 v7, v6
	v_add_u32_e32 v4, 1, v4
	v_cmp_ge_i32_e32 vcc, v4, v5
	s_or_b64 s[18:19], vcc, s[18:19]
	v_add_u32_e32 v6, 4, v6
	s_waitcnt lgkmcnt(0)
	v_cmp_gt_f32_e32 vcc, v7, v3
	v_cndmask_b32_e32 v3, v3, v7, vcc
	s_andn2_b64 exec, exec, s[18:19]
	s_cbranch_execnz .LBB44_16
; %bb.17:                               ;   in Loop: Header=BB44_14 Depth=1
	s_or_b64 exec, exec, s[18:19]
	s_branch .LBB44_13
.LBB44_18:
	s_or_b64 exec, exec, s[2:3]
	s_cmp_lt_i32 s10, 1
	s_waitcnt lgkmcnt(0)
	s_barrier
	s_cbranch_scc1 .LBB44_21
; %bb.19:
	v_mov_b32_e32 v1, s20
	s_mov_b32 s0, 0xff800000
	v_mov_b32_e32 v2, 0xff800000
.LBB44_20:                              ; =>This Inner Loop Header: Depth=1
	ds_read2_b32 v[4:5], v1 offset1:1
	ds_read2_b32 v[6:7], v1 offset0:2 offset1:3
	s_waitcnt lgkmcnt(1)
	v_cmp_nlg_f32_e32 vcc, s0, v4
	v_cndmask_b32_e64 v3, 0, 1, vcc
	v_cmp_lg_f32_e32 vcc, s0, v4
	v_cndmask_b32_e32 v4, v2, v4, vcc
	v_readfirstlane_b32 s1, v3
	v_cmp_gt_f32_e32 vcc, v5, v4
	s_lshl_b32 s1, s1, 2
	v_cndmask_b32_e32 v3, v4, v5, vcc
	s_and_b64 s[2:3], vcc, exec
	s_waitcnt lgkmcnt(0)
	v_cmp_gt_f32_e32 vcc, v6, v3
	v_cndmask_b32_e32 v3, v3, v6, vcc
	s_cselect_b32 s1, 1, s1
	s_and_b64 s[2:3], vcc, exec
	v_cmp_ngt_f32_e32 vcc, v7, v3
	s_cselect_b32 s1, 2, s1
	s_and_b64 s[2:3], vcc, exec
	s_cselect_b32 s1, s1, 3
	s_lshl_b32 s1, s1, 2
	s_add_i32 s1, s20, s1
	s_add_i32 s10, s10, -1
	v_mov_b32_e32 v3, s1
	s_cmp_lg_u32 s10, 0
	ds_write_b32 v3, v2
	s_cbranch_scc1 .LBB44_20
.LBB44_21:
	v_cmp_gt_i32_e32 vcc, s7, v0
	v_lshlrev_b32_e32 v1, 2, v0
	v_lshl_add_u32 v6, v0, 4, 0
	s_and_saveexec_b64 s[2:3], vcc
	s_cbranch_execz .LBB44_26
; %bb.22:
	s_abs_i32 s8, s7
	v_cvt_f32_u32_e32 v2, s8
	s_load_dword s0, s[4:5], 0x4c
	s_sub_i32 s1, 0, s8
	s_ashr_i32 s18, s7, 31
	v_rcp_iflag_f32_e32 v2, v2
	v_lshlrev_b32_e32 v7, 2, v0
	s_waitcnt lgkmcnt(0)
	s_and_b32 s19, s0, 0xffff
	v_lshl_add_u32 v8, v0, 4, 0
	v_mul_f32_e32 v2, 0x4f7ffffe, v2
	v_cvt_u32_f32_e32 v2, v2
	s_mov_b64 s[10:11], 0
	s_lshl_b32 s21, s19, 2
	s_lshl_b32 s22, s19, 4
	v_mul_lo_u32 v3, s1, v2
	v_mul_hi_u32 v3, v2, v3
	v_add_u32_e32 v9, v2, v3
	s_mov_b32 s23, 0xff800000
	v_mov_b32_e32 v2, 0xff800000
	v_mov_b32_e32 v10, v0
	s_branch .LBB44_24
.LBB44_23:                              ;   in Loop: Header=BB44_24 Depth=1
	s_or_b64 exec, exec, s[16:17]
	v_add_u32_e32 v10, s19, v10
	v_cmp_le_i32_e64 s[0:1], s7, v10
	v_add_u32_e32 v7, s21, v7
	s_or_b64 s[10:11], s[0:1], s[10:11]
	v_add_u32_e32 v8, s22, v8
	s_andn2_b64 exec, exec, s[10:11]
	s_cbranch_execz .LBB44_26
.LBB44_24:                              ; =>This Inner Loop Header: Depth=1
	v_mul_hi_u32 v3, v7, v9
	v_mul_lo_u32 v4, v3, s8
	v_sub_u32_e32 v4, v7, v4
	v_add_u32_e32 v5, 1, v3
	v_cmp_le_u32_e64 s[0:1], s8, v4
	v_cndmask_b32_e64 v3, v3, v5, s[0:1]
	v_subrev_u32_e32 v5, s8, v4
	v_cndmask_b32_e64 v4, v4, v5, s[0:1]
	v_add_u32_e32 v5, 1, v3
	v_cmp_le_u32_e64 s[0:1], s8, v4
	v_cndmask_b32_e64 v3, v3, v5, s[0:1]
	v_xor_b32_e32 v3, s18, v3
	v_subrev_u32_e32 v3, s18, v3
	v_lshl_add_u32 v3, v3, 2, s20
	ds_read_b32 v3, v3
	s_waitcnt lgkmcnt(0)
	v_cmp_neq_f32_e64 s[0:1], s23, v3
	s_and_saveexec_b64 s[16:17], s[0:1]
	s_cbranch_execz .LBB44_23
; %bb.25:                               ;   in Loop: Header=BB44_24 Depth=1
	v_mov_b32_e32 v3, v2
	v_mov_b32_e32 v4, v2
	;; [unrolled: 1-line block ×3, first 2 shown]
	ds_write_b128 v8, v[2:5]
	s_branch .LBB44_23
.LBB44_26:
	s_or_b64 exec, exec, s[2:3]
	s_cmp_lt_i32 s9, 1
	s_waitcnt lgkmcnt(0)
	s_barrier
	s_cbranch_scc1 .LBB44_33
; %bb.27:
	s_add_u32 s2, s4, 64
	s_addc_u32 s3, s5, 0
	s_mov_b32 s8, 0
	v_mov_b32_e32 v4, 0xff800000
                                        ; implicit-def: $vgpr3
                                        ; implicit-def: $vgpr2
	s_branch .LBB44_29
.LBB44_28:                              ;   in Loop: Header=BB44_29 Depth=1
	s_or_b64 exec, exec, s[10:11]
	v_mov_b32_dpp v9, v7 quad_perm:[1,0,3,2] row_mask:0xf bank_mask:0xf
	v_cmp_lt_f32_e64 s[0:1], v7, v9
	v_cndmask_b32_e64 v7, v7, v9, s[0:1]
	v_mov_b32_dpp v8, v5 quad_perm:[1,0,3,2] row_mask:0xf bank_mask:0xf
	v_cndmask_b32_e64 v5, v5, v8, s[0:1]
	v_mov_b32_dpp v9, v7 quad_perm:[2,3,0,1] row_mask:0xf bank_mask:0xf
	v_cmp_gt_f32_e64 s[0:1], v9, v7
	v_cndmask_b32_e64 v7, v7, v9, s[0:1]
	v_mov_b32_dpp v8, v5 quad_perm:[2,3,0,1] row_mask:0xf bank_mask:0xf
	v_cndmask_b32_e64 v5, v5, v8, s[0:1]
	v_mov_b32_dpp v9, v7 row_half_mirror row_mask:0xf bank_mask:0xf
	v_cmp_gt_f32_e64 s[0:1], v9, v7
	v_cndmask_b32_e64 v7, v7, v9, s[0:1]
	v_mov_b32_dpp v8, v5 row_half_mirror row_mask:0xf bank_mask:0xf
	v_cndmask_b32_e64 v5, v5, v8, s[0:1]
	v_mov_b32_dpp v9, v7 row_mirror row_mask:0xf bank_mask:0xf
	v_cmp_gt_f32_e64 s[0:1], v9, v7
	v_cndmask_b32_e64 v7, v7, v9, s[0:1]
	v_mov_b32_dpp v8, v5 row_mirror row_mask:0xf bank_mask:0xf
	v_cndmask_b32_e64 v5, v5, v8, s[0:1]
	v_mov_b32_dpp v9, v7 row_bcast:15 row_mask:0xf bank_mask:0xf
	v_cmp_gt_f32_e64 s[0:1], v9, v7
	v_mov_b32_dpp v8, v5 row_bcast:15 row_mask:0xf bank_mask:0xf
	v_cndmask_b32_e64 v7, v7, v9, s[0:1]
	v_cndmask_b32_e64 v5, v5, v8, s[0:1]
	s_nop 0
	v_mov_b32_dpp v9, v7 row_bcast:31 row_mask:0xf bank_mask:0xf
	v_mov_b32_dpp v8, v5 row_bcast:31 row_mask:0xf bank_mask:0xf
	v_cmp_gt_f32_e64 s[0:1], v9, v7
	v_cndmask_b32_e64 v5, v5, v8, s[0:1]
	v_cndmask_b32_e64 v7, v7, v9, s[0:1]
	v_readlane_b32 s0, v5, 63
	s_lshl_b32 s1, s0, 2
	s_add_i32 s1, s1, 0
	v_mov_b32_e32 v5, s1
	v_readlane_b32 s10, v7, 63
	ds_write_b32 v5, v4
	v_mov_b32_e32 v5, s0
	v_cmp_eq_u32_e64 s[0:1], s8, v0
	v_cndmask_b32_e64 v2, v2, v5, s[0:1]
	v_mov_b32_e32 v5, s10
	s_add_i32 s8, s8, 1
	s_cmp_eq_u32 s8, s9
	v_cndmask_b32_e64 v3, v3, v5, s[0:1]
	s_cbranch_scc1 .LBB44_34
.LBB44_29:                              ; =>This Loop Header: Depth=1
                                        ;     Child Loop BB44_31 Depth 2
	v_mov_b32_e32 v5, s8
	v_mov_b32_e32 v7, 0xff800000
	s_and_saveexec_b64 s[10:11], vcc
	s_cbranch_execz .LBB44_28
; %bb.30:                               ;   in Loop: Header=BB44_29 Depth=1
	s_load_dword s0, s[2:3], 0xc
	s_mov_b64 s[16:17], 0
	v_mov_b32_e32 v5, s8
	v_mov_b32_e32 v7, 0xff800000
	;; [unrolled: 1-line block ×3, first 2 shown]
	s_waitcnt lgkmcnt(0)
	s_and_b32 s18, s0, 0xffff
	s_lshl_b32 s19, s18, 2
	s_lshl_b32 s20, s18, 4
	v_mov_b32_e32 v9, v1
	v_mov_b32_e32 v10, v0
.LBB44_31:                              ;   Parent Loop BB44_29 Depth=1
                                        ; =>  This Inner Loop Header: Depth=2
	ds_read_b128 v[12:15], v8
	v_add_u32_e32 v10, s18, v10
	v_cmp_le_i32_e64 s[0:1], s7, v10
	s_or_b64 s[16:17], s[0:1], s[16:17]
	v_add_u32_e32 v11, 1, v9
	s_waitcnt lgkmcnt(0)
	v_cmp_gt_f32_e64 s[0:1], v12, v7
	v_cndmask_b32_e64 v7, v7, v12, s[0:1]
	v_cndmask_b32_e64 v5, v5, v9, s[0:1]
	v_cmp_gt_f32_e64 s[0:1], v13, v7
	v_cndmask_b32_e64 v7, v7, v13, s[0:1]
	v_cndmask_b32_e64 v5, v5, v11, s[0:1]
	v_cmp_gt_f32_e64 s[0:1], v14, v7
	v_add_u32_e32 v16, 2, v9
	v_cndmask_b32_e64 v7, v7, v14, s[0:1]
	v_add_u32_e32 v17, 3, v9
	v_cndmask_b32_e64 v5, v5, v16, s[0:1]
	v_cmp_gt_f32_e64 s[0:1], v15, v7
	v_add_u32_e32 v8, s20, v8
	v_add_u32_e32 v9, s19, v9
	v_cndmask_b32_e64 v7, v7, v15, s[0:1]
	v_cndmask_b32_e64 v5, v5, v17, s[0:1]
	s_andn2_b64 exec, exec, s[16:17]
	s_cbranch_execnz .LBB44_31
; %bb.32:                               ;   in Loop: Header=BB44_29 Depth=1
	s_or_b64 exec, exec, s[16:17]
	s_branch .LBB44_28
.LBB44_33:
                                        ; implicit-def: $vgpr3
                                        ; implicit-def: $vgpr2
.LBB44_34:
	v_cmp_gt_i32_e32 vcc, s9, v0
	s_and_saveexec_b64 s[0:1], vcc
	s_cbranch_execz .LBB44_37
; %bb.35:
	s_load_dword s2, s[4:5], 0x38
	s_load_dwordx2 s[0:1], s[4:5], 0x20
	s_ashr_i32 s3, s6, 31
	s_load_dword s4, s[4:5], 0x4c
	v_mov_b32_e32 v4, s13
	s_waitcnt lgkmcnt(0)
	v_mul_f32_e32 v1, s2, v3
	s_mul_i32 s1, s6, s1
	s_mul_hi_u32 s2, s6, s0
	s_add_i32 s1, s2, s1
	s_mul_i32 s3, s3, s0
	s_add_i32 s5, s1, s3
	s_mul_i32 s2, s6, s0
	s_and_b32 s3, s4, 0xffff
	s_mov_b64 s[0:1], 0
	v_mov_b32_e32 v3, s5
	v_mov_b32_e32 v5, s15
.LBB44_36:                              ; =>This Inner Loop Header: Depth=1
	v_ashrrev_i32_e32 v7, 31, v0
	v_add_co_u32_e32 v6, vcc, s2, v0
	v_addc_co_u32_e32 v7, vcc, v3, v7, vcc
	v_add_u32_e32 v0, s3, v0
	v_cmp_le_i32_e32 vcc, s9, v0
	v_lshlrev_b64 v[6:7], 2, v[6:7]
	s_or_b64 s[0:1], vcc, s[0:1]
	v_add_co_u32_e32 v8, vcc, s12, v6
	v_addc_co_u32_e32 v9, vcc, v4, v7, vcc
	v_add_co_u32_e32 v6, vcc, s14, v6
	v_addc_co_u32_e32 v7, vcc, v5, v7, vcc
	global_store_dword v[8:9], v1, off
	global_store_dword v[6:7], v2, off
	s_andn2_b64 exec, exec, s[0:1]
	s_cbranch_execnz .LBB44_36
.LBB44_37:
	s_endpgm
	.section	.rodata,"a",@progbits
	.p2align	6, 0x0
	.amdhsa_kernel _ZN5aiter19grouped_topk_kernelIN3c104HalfEDv4_fLi4ELb0ELb0ELb1EEEvPT_PKS4_PfPimiiiif
		.amdhsa_group_segment_fixed_size 0
		.amdhsa_private_segment_fixed_size 0
		.amdhsa_kernarg_size 320
		.amdhsa_user_sgpr_count 6
		.amdhsa_user_sgpr_private_segment_buffer 1
		.amdhsa_user_sgpr_dispatch_ptr 0
		.amdhsa_user_sgpr_queue_ptr 0
		.amdhsa_user_sgpr_kernarg_segment_ptr 1
		.amdhsa_user_sgpr_dispatch_id 0
		.amdhsa_user_sgpr_flat_scratch_init 0
		.amdhsa_user_sgpr_kernarg_preload_length 0
		.amdhsa_user_sgpr_kernarg_preload_offset 0
		.amdhsa_user_sgpr_private_segment_size 0
		.amdhsa_uses_dynamic_stack 0
		.amdhsa_system_sgpr_private_segment_wavefront_offset 0
		.amdhsa_system_sgpr_workgroup_id_x 1
		.amdhsa_system_sgpr_workgroup_id_y 0
		.amdhsa_system_sgpr_workgroup_id_z 0
		.amdhsa_system_sgpr_workgroup_info 0
		.amdhsa_system_vgpr_workitem_id 0
		.amdhsa_next_free_vgpr 18
		.amdhsa_next_free_sgpr 24
		.amdhsa_accum_offset 20
		.amdhsa_reserve_vcc 1
		.amdhsa_reserve_flat_scratch 0
		.amdhsa_float_round_mode_32 0
		.amdhsa_float_round_mode_16_64 0
		.amdhsa_float_denorm_mode_32 3
		.amdhsa_float_denorm_mode_16_64 3
		.amdhsa_dx10_clamp 1
		.amdhsa_ieee_mode 1
		.amdhsa_fp16_overflow 0
		.amdhsa_tg_split 0
		.amdhsa_exception_fp_ieee_invalid_op 0
		.amdhsa_exception_fp_denorm_src 0
		.amdhsa_exception_fp_ieee_div_zero 0
		.amdhsa_exception_fp_ieee_overflow 0
		.amdhsa_exception_fp_ieee_underflow 0
		.amdhsa_exception_fp_ieee_inexact 0
		.amdhsa_exception_int_div_zero 0
	.end_amdhsa_kernel
	.section	.text._ZN5aiter19grouped_topk_kernelIN3c104HalfEDv4_fLi4ELb0ELb0ELb1EEEvPT_PKS4_PfPimiiiif,"axG",@progbits,_ZN5aiter19grouped_topk_kernelIN3c104HalfEDv4_fLi4ELb0ELb0ELb1EEEvPT_PKS4_PfPimiiiif,comdat
.Lfunc_end44:
	.size	_ZN5aiter19grouped_topk_kernelIN3c104HalfEDv4_fLi4ELb0ELb0ELb1EEEvPT_PKS4_PfPimiiiif, .Lfunc_end44-_ZN5aiter19grouped_topk_kernelIN3c104HalfEDv4_fLi4ELb0ELb0ELb1EEEvPT_PKS4_PfPimiiiif
                                        ; -- End function
	.section	.AMDGPU.csdata,"",@progbits
; Kernel info:
; codeLenInByte = 2456
; NumSgprs: 28
; NumVgprs: 18
; NumAgprs: 0
; TotalNumVgprs: 18
; ScratchSize: 0
; MemoryBound: 0
; FloatMode: 240
; IeeeMode: 1
; LDSByteSize: 0 bytes/workgroup (compile time only)
; SGPRBlocks: 3
; VGPRBlocks: 2
; NumSGPRsForWavesPerEU: 28
; NumVGPRsForWavesPerEU: 18
; AccumOffset: 20
; Occupancy: 8
; WaveLimiterHint : 0
; COMPUTE_PGM_RSRC2:SCRATCH_EN: 0
; COMPUTE_PGM_RSRC2:USER_SGPR: 6
; COMPUTE_PGM_RSRC2:TRAP_HANDLER: 0
; COMPUTE_PGM_RSRC2:TGID_X_EN: 1
; COMPUTE_PGM_RSRC2:TGID_Y_EN: 0
; COMPUTE_PGM_RSRC2:TGID_Z_EN: 0
; COMPUTE_PGM_RSRC2:TIDIG_COMP_CNT: 0
; COMPUTE_PGM_RSRC3_GFX90A:ACCUM_OFFSET: 4
; COMPUTE_PGM_RSRC3_GFX90A:TG_SPLIT: 0
	.section	.text._ZN5aiter19grouped_topk_kernelIN3c108BFloat16EDv4_fLi4ELb0ELb0ELb1EEEvPT_PKS4_PfPimiiiif,"axG",@progbits,_ZN5aiter19grouped_topk_kernelIN3c108BFloat16EDv4_fLi4ELb0ELb0ELb1EEEvPT_PKS4_PfPimiiiif,comdat
	.protected	_ZN5aiter19grouped_topk_kernelIN3c108BFloat16EDv4_fLi4ELb0ELb0ELb1EEEvPT_PKS4_PfPimiiiif ; -- Begin function _ZN5aiter19grouped_topk_kernelIN3c108BFloat16EDv4_fLi4ELb0ELb0ELb1EEEvPT_PKS4_PfPimiiiif
	.globl	_ZN5aiter19grouped_topk_kernelIN3c108BFloat16EDv4_fLi4ELb0ELb0ELb1EEEvPT_PKS4_PfPimiiiif
	.p2align	8
	.type	_ZN5aiter19grouped_topk_kernelIN3c108BFloat16EDv4_fLi4ELb0ELb0ELb1EEEvPT_PKS4_PfPimiiiif,@function
_ZN5aiter19grouped_topk_kernelIN3c108BFloat16EDv4_fLi4ELb0ELb0ELb1EEEvPT_PKS4_PfPimiiiif: ; @_ZN5aiter19grouped_topk_kernelIN3c108BFloat16EDv4_fLi4ELb0ELb0ELb1EEEvPT_PKS4_PfPimiiiif
; %bb.0:
	s_load_dwordx4 s[8:11], s[4:5], 0x28
	s_load_dwordx4 s[12:15], s[4:5], 0x10
	v_mov_b32_e32 v1, 0xff800000
	s_waitcnt lgkmcnt(0)
	v_cmp_gt_i32_e32 vcc, s8, v0
	s_and_saveexec_b64 s[2:3], vcc
	s_cbranch_execz .LBB45_4
; %bb.1:
	s_load_dword s0, s[4:5], 0x4c
	s_load_dwordx2 s[16:17], s[4:5], 0x0
	s_mul_i32 s7, s6, s8
	v_lshl_add_u32 v2, v0, 2, 0
	s_mov_b64 s[18:19], 0
	s_waitcnt lgkmcnt(0)
	s_and_b32 s11, s0, 0xffff
	s_lshl_b32 s20, s11, 2
	v_mov_b32_e32 v1, 0xff800000
	v_mov_b32_e32 v3, s17
	;; [unrolled: 1-line block ×3, first 2 shown]
.LBB45_2:                               ; =>This Inner Loop Header: Depth=1
	v_add_u32_e32 v6, s7, v4
	v_ashrrev_i32_e32 v7, 31, v6
	v_lshlrev_b64 v[6:7], 1, v[6:7]
	v_add_co_u32_e64 v6, s[0:1], s16, v6
	v_addc_co_u32_e64 v7, s[0:1], v3, v7, s[0:1]
	global_load_ushort v5, v[6:7], off
	v_add_u32_e32 v4, s11, v4
	v_cmp_le_i32_e64 s[0:1], s8, v4
	s_or_b64 s[18:19], s[0:1], s[18:19]
	s_waitcnt vmcnt(0)
	v_lshrrev_b16_e32 v6, 8, v5
	v_and_b32_e32 v5, 0xff, v5
	v_lshlrev_b32_e32 v5, 16, v5
	v_lshl_or_b32 v5, v6, 24, v5
	v_cmp_lt_f32_e64 s[0:1], v1, v5
	ds_write_b32 v2, v5
	v_cndmask_b32_e64 v1, v1, v5, s[0:1]
	v_add_u32_e32 v2, s20, v2
	s_andn2_b64 exec, exec, s[18:19]
	s_cbranch_execnz .LBB45_2
; %bb.3:
	s_or_b64 exec, exec, s[18:19]
.LBB45_4:
	s_or_b64 exec, exec, s[2:3]
	v_mov_b32_dpp v2, v1 quad_perm:[1,0,3,2] row_mask:0xf bank_mask:0xf
	v_cmp_lt_f32_e64 s[0:1], v1, v2
	v_cndmask_b32_e64 v1, v1, v2, s[0:1]
	v_bfrev_b32_e32 v3, 0.5
	s_waitcnt lgkmcnt(0)
	v_mov_b32_dpp v2, v1 quad_perm:[2,3,0,1] row_mask:0xf bank_mask:0xf
	v_cmp_lt_f32_e64 s[0:1], v1, v2
	v_cndmask_b32_e64 v1, v1, v2, s[0:1]
	s_barrier
	s_nop 0
	v_mov_b32_dpp v2, v1 row_half_mirror row_mask:0xf bank_mask:0xf
	v_cmp_lt_f32_e64 s[0:1], v1, v2
	v_cndmask_b32_e64 v1, v1, v2, s[0:1]
	s_nop 1
	v_mov_b32_dpp v2, v1 row_mirror row_mask:0xf bank_mask:0xf
	v_cmp_lt_f32_e64 s[0:1], v1, v2
	v_cndmask_b32_e64 v1, v1, v2, s[0:1]
	s_nop 1
	v_mov_b32_dpp v2, v1 row_bcast:15 row_mask:0xf bank_mask:0xf
	v_cmp_lt_f32_e64 s[0:1], v1, v2
	v_cndmask_b32_e64 v1, v1, v2, s[0:1]
	s_nop 1
	v_mov_b32_dpp v2, v1 row_bcast:31 row_mask:0xf bank_mask:0xf
	v_cmp_lt_f32_e64 s[0:1], v1, v2
	v_cndmask_b32_e64 v2, v1, v2, s[0:1]
	v_mbcnt_lo_u32_b32 v1, -1, 0
	v_mbcnt_hi_u32_b32 v1, -1, v1
	v_lshl_or_b32 v1, v1, 2, v3
	ds_bpermute_b32 v3, v1, v2
	v_mov_b32_e32 v2, 0
	s_and_saveexec_b64 s[2:3], vcc
	s_cbranch_execz .LBB45_8
; %bb.5:
	s_load_dword s0, s[4:5], 0x4c
	v_lshl_add_u32 v4, v0, 2, 0
	s_mov_b64 s[16:17], 0
	v_mov_b32_e32 v2, 0
	s_mov_b32 s7, 0x3fb8aa3b
	s_waitcnt lgkmcnt(0)
	s_and_b32 s11, s0, 0xffff
	s_lshl_b32 s18, s11, 2
	s_mov_b32 s19, 0xc2ce8ed0
	s_mov_b32 s20, 0x42b17218
	v_mov_b32_e32 v5, 0x7f800000
	v_mov_b32_e32 v6, v0
.LBB45_6:                               ; =>This Inner Loop Header: Depth=1
	ds_read_b32 v7, v4
	v_add_u32_e32 v6, s11, v6
	s_waitcnt lgkmcnt(0)
	v_sub_f32_e32 v7, v7, v3
	v_mul_f32_e32 v8, 0x3fb8aa3b, v7
	v_fma_f32 v9, v7, s7, -v8
	v_rndne_f32_e32 v10, v8
	v_fmac_f32_e32 v9, 0x32a5705f, v7
	v_sub_f32_e32 v8, v8, v10
	v_add_f32_e32 v8, v8, v9
	v_cvt_i32_f32_e32 v10, v10
	v_exp_f32_e32 v8, v8
	v_cmp_ngt_f32_e64 s[0:1], s19, v7
	v_ldexp_f32 v8, v8, v10
	v_cndmask_b32_e64 v8, 0, v8, s[0:1]
	v_cmp_nlt_f32_e64 s[0:1], s20, v7
	v_cndmask_b32_e64 v7, v5, v8, s[0:1]
	v_cmp_le_i32_e64 s[0:1], s8, v6
	ds_write_b32 v4, v7
	v_add_f32_e32 v2, v2, v7
	s_or_b64 s[16:17], s[0:1], s[16:17]
	v_add_u32_e32 v4, s18, v4
	s_andn2_b64 exec, exec, s[16:17]
	s_cbranch_execnz .LBB45_6
; %bb.7:
	s_or_b64 exec, exec, s[16:17]
.LBB45_8:
	s_or_b64 exec, exec, s[2:3]
	s_waitcnt lgkmcnt(0)
	v_mov_b32_dpp v3, v2 quad_perm:[1,0,3,2] row_mask:0xf bank_mask:0xf
	v_add_f32_e32 v2, v2, v3
	s_barrier
	s_nop 0
	v_mov_b32_dpp v3, v2 quad_perm:[2,3,0,1] row_mask:0xf bank_mask:0xf
	v_add_f32_e32 v2, v2, v3
	s_nop 1
	v_mov_b32_dpp v3, v2 row_half_mirror row_mask:0xf bank_mask:0xf
	v_add_f32_e32 v2, v2, v3
	s_nop 1
	v_mov_b32_dpp v3, v2 row_mirror row_mask:0xf bank_mask:0xf
	v_add_f32_e32 v2, v2, v3
	s_nop 1
	v_mov_b32_dpp v3, v2 row_bcast:15 row_mask:0xf bank_mask:0xf
	v_add_f32_e32 v2, v2, v3
	s_nop 1
	v_mov_b32_dpp v3, v2 row_bcast:31 row_mask:0xf bank_mask:0xf
	v_add_f32_e32 v2, v2, v3
	ds_bpermute_b32 v1, v1, v2
	s_and_saveexec_b64 s[0:1], vcc
	s_cbranch_execz .LBB45_11
; %bb.9:
	s_load_dword s7, s[4:5], 0x4c
	v_lshl_add_u32 v2, v0, 2, 0
	s_mov_b64 s[2:3], 0
	v_mov_b32_e32 v3, v0
	s_waitcnt lgkmcnt(0)
	s_and_b32 s7, s7, 0xffff
	s_lshl_b32 s11, s7, 2
.LBB45_10:                              ; =>This Inner Loop Header: Depth=1
	ds_read_b32 v4, v2
	v_add_u32_e32 v3, s7, v3
	v_cmp_le_i32_e32 vcc, s8, v3
	s_or_b64 s[2:3], vcc, s[2:3]
	s_waitcnt lgkmcnt(0)
	v_div_scale_f32 v5, s[16:17], v1, v1, v4
	v_rcp_f32_e32 v6, v5
	v_div_scale_f32 v7, vcc, v4, v1, v4
	v_fma_f32 v8, -v5, v6, 1.0
	v_fmac_f32_e32 v6, v8, v6
	v_mul_f32_e32 v8, v7, v6
	v_fma_f32 v9, -v5, v8, v7
	v_fmac_f32_e32 v8, v9, v6
	v_fma_f32 v5, -v5, v8, v7
	v_div_fmas_f32 v5, v5, v6, v8
	v_div_fixup_f32 v4, v5, v1, v4
	ds_write_b32 v2, v4
	v_add_u32_e32 v2, s11, v2
	s_andn2_b64 exec, exec, s[2:3]
	s_cbranch_execnz .LBB45_10
.LBB45_11:
	s_or_b64 exec, exec, s[0:1]
	s_ashr_i32 s0, s8, 31
	s_lshr_b32 s0, s0, 30
	s_add_i32 s0, s8, s0
	s_ashr_i32 s7, s0, 2
	s_lshl_b32 s0, s8, 2
	s_add_i32 s20, s0, 0
	v_cmp_gt_u32_e32 vcc, 4, v0
	s_waitcnt lgkmcnt(0)
	s_barrier
	s_and_saveexec_b64 s[2:3], vcc
	s_cbranch_execz .LBB45_18
; %bb.12:
	s_load_dword s0, s[4:5], 0x4c
	v_mul_lo_u32 v1, v0, s7
	v_lshl_add_u32 v1, v1, 2, 0
	s_mov_b64 s[16:17], 0
	s_waitcnt lgkmcnt(0)
	s_and_b32 s11, s0, 0xffff
	s_cmp_gt_i32 s8, 3
	s_cselect_b64 s[0:1], -1, 0
	s_mul_i32 s8, s7, s11
	v_cndmask_b32_e64 v2, 0, 1, s[0:1]
	s_lshl_b32 s8, s8, 2
	v_cmp_ne_u32_e64 s[0:1], 1, v2
	v_mov_b32_e32 v2, v0
	s_branch .LBB45_14
.LBB45_13:                              ;   in Loop: Header=BB45_14 Depth=1
	v_lshl_add_u32 v4, v2, 2, s20
	v_add_u32_e32 v2, s11, v2
	v_cmp_lt_u32_e32 vcc, 3, v2
	s_or_b64 s[16:17], vcc, s[16:17]
	v_add_u32_e32 v1, s8, v1
	ds_write_b32 v4, v3
	s_andn2_b64 exec, exec, s[16:17]
	s_cbranch_execz .LBB45_18
.LBB45_14:                              ; =>This Loop Header: Depth=1
                                        ;     Child Loop BB45_16 Depth 2
	s_and_b64 vcc, exec, s[0:1]
	v_mov_b32_e32 v3, 0xff800000
	s_cbranch_vccnz .LBB45_13
; %bb.15:                               ;   in Loop: Header=BB45_14 Depth=1
	v_mul_lo_u32 v4, v2, s7
	v_add_u32_e32 v5, s7, v4
	s_mov_b64 s[18:19], 0
	v_mov_b32_e32 v3, 0xff800000
	v_mov_b32_e32 v6, v1
.LBB45_16:                              ;   Parent Loop BB45_14 Depth=1
                                        ; =>  This Inner Loop Header: Depth=2
	ds_read_b32 v7, v6
	v_add_u32_e32 v4, 1, v4
	v_cmp_ge_i32_e32 vcc, v4, v5
	s_or_b64 s[18:19], vcc, s[18:19]
	v_add_u32_e32 v6, 4, v6
	s_waitcnt lgkmcnt(0)
	v_cmp_gt_f32_e32 vcc, v7, v3
	v_cndmask_b32_e32 v3, v3, v7, vcc
	s_andn2_b64 exec, exec, s[18:19]
	s_cbranch_execnz .LBB45_16
; %bb.17:                               ;   in Loop: Header=BB45_14 Depth=1
	s_or_b64 exec, exec, s[18:19]
	s_branch .LBB45_13
.LBB45_18:
	s_or_b64 exec, exec, s[2:3]
	s_cmp_lt_i32 s10, 1
	s_waitcnt lgkmcnt(0)
	s_barrier
	s_cbranch_scc1 .LBB45_21
; %bb.19:
	v_mov_b32_e32 v1, s20
	s_mov_b32 s0, 0xff800000
	v_mov_b32_e32 v2, 0xff800000
.LBB45_20:                              ; =>This Inner Loop Header: Depth=1
	ds_read2_b32 v[4:5], v1 offset1:1
	ds_read2_b32 v[6:7], v1 offset0:2 offset1:3
	s_waitcnt lgkmcnt(1)
	v_cmp_nlg_f32_e32 vcc, s0, v4
	v_cndmask_b32_e64 v3, 0, 1, vcc
	v_cmp_lg_f32_e32 vcc, s0, v4
	v_cndmask_b32_e32 v4, v2, v4, vcc
	v_readfirstlane_b32 s1, v3
	v_cmp_gt_f32_e32 vcc, v5, v4
	s_lshl_b32 s1, s1, 2
	v_cndmask_b32_e32 v3, v4, v5, vcc
	s_and_b64 s[2:3], vcc, exec
	s_waitcnt lgkmcnt(0)
	v_cmp_gt_f32_e32 vcc, v6, v3
	v_cndmask_b32_e32 v3, v3, v6, vcc
	s_cselect_b32 s1, 1, s1
	s_and_b64 s[2:3], vcc, exec
	v_cmp_ngt_f32_e32 vcc, v7, v3
	s_cselect_b32 s1, 2, s1
	s_and_b64 s[2:3], vcc, exec
	s_cselect_b32 s1, s1, 3
	s_lshl_b32 s1, s1, 2
	s_add_i32 s1, s20, s1
	s_add_i32 s10, s10, -1
	v_mov_b32_e32 v3, s1
	s_cmp_lg_u32 s10, 0
	ds_write_b32 v3, v2
	s_cbranch_scc1 .LBB45_20
.LBB45_21:
	v_cmp_gt_i32_e32 vcc, s7, v0
	v_lshlrev_b32_e32 v1, 2, v0
	v_lshl_add_u32 v6, v0, 4, 0
	s_and_saveexec_b64 s[2:3], vcc
	s_cbranch_execz .LBB45_26
; %bb.22:
	s_abs_i32 s8, s7
	v_cvt_f32_u32_e32 v2, s8
	s_load_dword s0, s[4:5], 0x4c
	s_sub_i32 s1, 0, s8
	s_ashr_i32 s18, s7, 31
	v_rcp_iflag_f32_e32 v2, v2
	v_lshlrev_b32_e32 v7, 2, v0
	s_waitcnt lgkmcnt(0)
	s_and_b32 s19, s0, 0xffff
	v_lshl_add_u32 v8, v0, 4, 0
	v_mul_f32_e32 v2, 0x4f7ffffe, v2
	v_cvt_u32_f32_e32 v2, v2
	s_mov_b64 s[10:11], 0
	s_lshl_b32 s21, s19, 2
	s_lshl_b32 s22, s19, 4
	v_mul_lo_u32 v3, s1, v2
	v_mul_hi_u32 v3, v2, v3
	v_add_u32_e32 v9, v2, v3
	s_mov_b32 s23, 0xff800000
	v_mov_b32_e32 v2, 0xff800000
	v_mov_b32_e32 v10, v0
	s_branch .LBB45_24
.LBB45_23:                              ;   in Loop: Header=BB45_24 Depth=1
	s_or_b64 exec, exec, s[16:17]
	v_add_u32_e32 v10, s19, v10
	v_cmp_le_i32_e64 s[0:1], s7, v10
	v_add_u32_e32 v7, s21, v7
	s_or_b64 s[10:11], s[0:1], s[10:11]
	v_add_u32_e32 v8, s22, v8
	s_andn2_b64 exec, exec, s[10:11]
	s_cbranch_execz .LBB45_26
.LBB45_24:                              ; =>This Inner Loop Header: Depth=1
	v_mul_hi_u32 v3, v7, v9
	v_mul_lo_u32 v4, v3, s8
	v_sub_u32_e32 v4, v7, v4
	v_add_u32_e32 v5, 1, v3
	v_cmp_le_u32_e64 s[0:1], s8, v4
	v_cndmask_b32_e64 v3, v3, v5, s[0:1]
	v_subrev_u32_e32 v5, s8, v4
	v_cndmask_b32_e64 v4, v4, v5, s[0:1]
	v_add_u32_e32 v5, 1, v3
	v_cmp_le_u32_e64 s[0:1], s8, v4
	v_cndmask_b32_e64 v3, v3, v5, s[0:1]
	v_xor_b32_e32 v3, s18, v3
	v_subrev_u32_e32 v3, s18, v3
	v_lshl_add_u32 v3, v3, 2, s20
	ds_read_b32 v3, v3
	s_waitcnt lgkmcnt(0)
	v_cmp_neq_f32_e64 s[0:1], s23, v3
	s_and_saveexec_b64 s[16:17], s[0:1]
	s_cbranch_execz .LBB45_23
; %bb.25:                               ;   in Loop: Header=BB45_24 Depth=1
	v_mov_b32_e32 v3, v2
	v_mov_b32_e32 v4, v2
	v_mov_b32_e32 v5, v2
	ds_write_b128 v8, v[2:5]
	s_branch .LBB45_23
.LBB45_26:
	s_or_b64 exec, exec, s[2:3]
	s_cmp_lt_i32 s9, 1
	s_waitcnt lgkmcnt(0)
	s_barrier
	s_cbranch_scc1 .LBB45_33
; %bb.27:
	s_add_u32 s2, s4, 64
	s_addc_u32 s3, s5, 0
	s_mov_b32 s8, 0
	v_mov_b32_e32 v4, 0xff800000
                                        ; implicit-def: $vgpr3
                                        ; implicit-def: $vgpr2
	s_branch .LBB45_29
.LBB45_28:                              ;   in Loop: Header=BB45_29 Depth=1
	s_or_b64 exec, exec, s[10:11]
	v_mov_b32_dpp v9, v7 quad_perm:[1,0,3,2] row_mask:0xf bank_mask:0xf
	v_cmp_lt_f32_e64 s[0:1], v7, v9
	v_cndmask_b32_e64 v7, v7, v9, s[0:1]
	v_mov_b32_dpp v8, v5 quad_perm:[1,0,3,2] row_mask:0xf bank_mask:0xf
	v_cndmask_b32_e64 v5, v5, v8, s[0:1]
	v_mov_b32_dpp v9, v7 quad_perm:[2,3,0,1] row_mask:0xf bank_mask:0xf
	v_cmp_gt_f32_e64 s[0:1], v9, v7
	v_cndmask_b32_e64 v7, v7, v9, s[0:1]
	v_mov_b32_dpp v8, v5 quad_perm:[2,3,0,1] row_mask:0xf bank_mask:0xf
	v_cndmask_b32_e64 v5, v5, v8, s[0:1]
	v_mov_b32_dpp v9, v7 row_half_mirror row_mask:0xf bank_mask:0xf
	v_cmp_gt_f32_e64 s[0:1], v9, v7
	v_cndmask_b32_e64 v7, v7, v9, s[0:1]
	v_mov_b32_dpp v8, v5 row_half_mirror row_mask:0xf bank_mask:0xf
	v_cndmask_b32_e64 v5, v5, v8, s[0:1]
	v_mov_b32_dpp v9, v7 row_mirror row_mask:0xf bank_mask:0xf
	v_cmp_gt_f32_e64 s[0:1], v9, v7
	v_cndmask_b32_e64 v7, v7, v9, s[0:1]
	v_mov_b32_dpp v8, v5 row_mirror row_mask:0xf bank_mask:0xf
	v_cndmask_b32_e64 v5, v5, v8, s[0:1]
	v_mov_b32_dpp v9, v7 row_bcast:15 row_mask:0xf bank_mask:0xf
	v_cmp_gt_f32_e64 s[0:1], v9, v7
	v_mov_b32_dpp v8, v5 row_bcast:15 row_mask:0xf bank_mask:0xf
	v_cndmask_b32_e64 v7, v7, v9, s[0:1]
	v_cndmask_b32_e64 v5, v5, v8, s[0:1]
	s_nop 0
	v_mov_b32_dpp v9, v7 row_bcast:31 row_mask:0xf bank_mask:0xf
	v_mov_b32_dpp v8, v5 row_bcast:31 row_mask:0xf bank_mask:0xf
	v_cmp_gt_f32_e64 s[0:1], v9, v7
	v_cndmask_b32_e64 v5, v5, v8, s[0:1]
	v_cndmask_b32_e64 v7, v7, v9, s[0:1]
	v_readlane_b32 s0, v5, 63
	s_lshl_b32 s1, s0, 2
	s_add_i32 s1, s1, 0
	v_mov_b32_e32 v5, s1
	v_readlane_b32 s10, v7, 63
	ds_write_b32 v5, v4
	v_mov_b32_e32 v5, s0
	v_cmp_eq_u32_e64 s[0:1], s8, v0
	v_cndmask_b32_e64 v2, v2, v5, s[0:1]
	v_mov_b32_e32 v5, s10
	s_add_i32 s8, s8, 1
	s_cmp_eq_u32 s8, s9
	v_cndmask_b32_e64 v3, v3, v5, s[0:1]
	s_cbranch_scc1 .LBB45_34
.LBB45_29:                              ; =>This Loop Header: Depth=1
                                        ;     Child Loop BB45_31 Depth 2
	v_mov_b32_e32 v5, s8
	v_mov_b32_e32 v7, 0xff800000
	s_and_saveexec_b64 s[10:11], vcc
	s_cbranch_execz .LBB45_28
; %bb.30:                               ;   in Loop: Header=BB45_29 Depth=1
	s_load_dword s0, s[2:3], 0xc
	s_mov_b64 s[16:17], 0
	v_mov_b32_e32 v5, s8
	v_mov_b32_e32 v7, 0xff800000
	;; [unrolled: 1-line block ×3, first 2 shown]
	s_waitcnt lgkmcnt(0)
	s_and_b32 s18, s0, 0xffff
	s_lshl_b32 s19, s18, 2
	s_lshl_b32 s20, s18, 4
	v_mov_b32_e32 v9, v1
	v_mov_b32_e32 v10, v0
.LBB45_31:                              ;   Parent Loop BB45_29 Depth=1
                                        ; =>  This Inner Loop Header: Depth=2
	ds_read_b128 v[12:15], v8
	v_add_u32_e32 v10, s18, v10
	v_cmp_le_i32_e64 s[0:1], s7, v10
	s_or_b64 s[16:17], s[0:1], s[16:17]
	v_add_u32_e32 v11, 1, v9
	s_waitcnt lgkmcnt(0)
	v_cmp_gt_f32_e64 s[0:1], v12, v7
	v_cndmask_b32_e64 v7, v7, v12, s[0:1]
	v_cndmask_b32_e64 v5, v5, v9, s[0:1]
	v_cmp_gt_f32_e64 s[0:1], v13, v7
	v_cndmask_b32_e64 v7, v7, v13, s[0:1]
	v_cndmask_b32_e64 v5, v5, v11, s[0:1]
	v_cmp_gt_f32_e64 s[0:1], v14, v7
	v_add_u32_e32 v16, 2, v9
	v_cndmask_b32_e64 v7, v7, v14, s[0:1]
	v_add_u32_e32 v17, 3, v9
	v_cndmask_b32_e64 v5, v5, v16, s[0:1]
	v_cmp_gt_f32_e64 s[0:1], v15, v7
	v_add_u32_e32 v8, s20, v8
	v_add_u32_e32 v9, s19, v9
	v_cndmask_b32_e64 v7, v7, v15, s[0:1]
	v_cndmask_b32_e64 v5, v5, v17, s[0:1]
	s_andn2_b64 exec, exec, s[16:17]
	s_cbranch_execnz .LBB45_31
; %bb.32:                               ;   in Loop: Header=BB45_29 Depth=1
	s_or_b64 exec, exec, s[16:17]
	s_branch .LBB45_28
.LBB45_33:
                                        ; implicit-def: $vgpr3
                                        ; implicit-def: $vgpr2
.LBB45_34:
	v_cmp_gt_i32_e32 vcc, s9, v0
	s_and_saveexec_b64 s[0:1], vcc
	s_cbranch_execz .LBB45_37
; %bb.35:
	s_load_dword s2, s[4:5], 0x38
	s_load_dwordx2 s[0:1], s[4:5], 0x20
	s_ashr_i32 s3, s6, 31
	s_load_dword s4, s[4:5], 0x4c
	v_mov_b32_e32 v4, s13
	s_waitcnt lgkmcnt(0)
	v_mul_f32_e32 v1, s2, v3
	s_mul_i32 s1, s6, s1
	s_mul_hi_u32 s2, s6, s0
	s_add_i32 s1, s2, s1
	s_mul_i32 s3, s3, s0
	s_add_i32 s5, s1, s3
	s_mul_i32 s2, s6, s0
	s_and_b32 s3, s4, 0xffff
	s_mov_b64 s[0:1], 0
	v_mov_b32_e32 v3, s5
	v_mov_b32_e32 v5, s15
.LBB45_36:                              ; =>This Inner Loop Header: Depth=1
	v_ashrrev_i32_e32 v7, 31, v0
	v_add_co_u32_e32 v6, vcc, s2, v0
	v_addc_co_u32_e32 v7, vcc, v3, v7, vcc
	v_add_u32_e32 v0, s3, v0
	v_cmp_le_i32_e32 vcc, s9, v0
	v_lshlrev_b64 v[6:7], 2, v[6:7]
	s_or_b64 s[0:1], vcc, s[0:1]
	v_add_co_u32_e32 v8, vcc, s12, v6
	v_addc_co_u32_e32 v9, vcc, v4, v7, vcc
	v_add_co_u32_e32 v6, vcc, s14, v6
	v_addc_co_u32_e32 v7, vcc, v5, v7, vcc
	global_store_dword v[8:9], v1, off
	global_store_dword v[6:7], v2, off
	s_andn2_b64 exec, exec, s[0:1]
	s_cbranch_execnz .LBB45_36
.LBB45_37:
	s_endpgm
	.section	.rodata,"a",@progbits
	.p2align	6, 0x0
	.amdhsa_kernel _ZN5aiter19grouped_topk_kernelIN3c108BFloat16EDv4_fLi4ELb0ELb0ELb1EEEvPT_PKS4_PfPimiiiif
		.amdhsa_group_segment_fixed_size 0
		.amdhsa_private_segment_fixed_size 0
		.amdhsa_kernarg_size 320
		.amdhsa_user_sgpr_count 6
		.amdhsa_user_sgpr_private_segment_buffer 1
		.amdhsa_user_sgpr_dispatch_ptr 0
		.amdhsa_user_sgpr_queue_ptr 0
		.amdhsa_user_sgpr_kernarg_segment_ptr 1
		.amdhsa_user_sgpr_dispatch_id 0
		.amdhsa_user_sgpr_flat_scratch_init 0
		.amdhsa_user_sgpr_kernarg_preload_length 0
		.amdhsa_user_sgpr_kernarg_preload_offset 0
		.amdhsa_user_sgpr_private_segment_size 0
		.amdhsa_uses_dynamic_stack 0
		.amdhsa_system_sgpr_private_segment_wavefront_offset 0
		.amdhsa_system_sgpr_workgroup_id_x 1
		.amdhsa_system_sgpr_workgroup_id_y 0
		.amdhsa_system_sgpr_workgroup_id_z 0
		.amdhsa_system_sgpr_workgroup_info 0
		.amdhsa_system_vgpr_workitem_id 0
		.amdhsa_next_free_vgpr 18
		.amdhsa_next_free_sgpr 24
		.amdhsa_accum_offset 20
		.amdhsa_reserve_vcc 1
		.amdhsa_reserve_flat_scratch 0
		.amdhsa_float_round_mode_32 0
		.amdhsa_float_round_mode_16_64 0
		.amdhsa_float_denorm_mode_32 3
		.amdhsa_float_denorm_mode_16_64 3
		.amdhsa_dx10_clamp 1
		.amdhsa_ieee_mode 1
		.amdhsa_fp16_overflow 0
		.amdhsa_tg_split 0
		.amdhsa_exception_fp_ieee_invalid_op 0
		.amdhsa_exception_fp_denorm_src 0
		.amdhsa_exception_fp_ieee_div_zero 0
		.amdhsa_exception_fp_ieee_overflow 0
		.amdhsa_exception_fp_ieee_underflow 0
		.amdhsa_exception_fp_ieee_inexact 0
		.amdhsa_exception_int_div_zero 0
	.end_amdhsa_kernel
	.section	.text._ZN5aiter19grouped_topk_kernelIN3c108BFloat16EDv4_fLi4ELb0ELb0ELb1EEEvPT_PKS4_PfPimiiiif,"axG",@progbits,_ZN5aiter19grouped_topk_kernelIN3c108BFloat16EDv4_fLi4ELb0ELb0ELb1EEEvPT_PKS4_PfPimiiiif,comdat
.Lfunc_end45:
	.size	_ZN5aiter19grouped_topk_kernelIN3c108BFloat16EDv4_fLi4ELb0ELb0ELb1EEEvPT_PKS4_PfPimiiiif, .Lfunc_end45-_ZN5aiter19grouped_topk_kernelIN3c108BFloat16EDv4_fLi4ELb0ELb0ELb1EEEvPT_PKS4_PfPimiiiif
                                        ; -- End function
	.section	.AMDGPU.csdata,"",@progbits
; Kernel info:
; codeLenInByte = 2476
; NumSgprs: 28
; NumVgprs: 18
; NumAgprs: 0
; TotalNumVgprs: 18
; ScratchSize: 0
; MemoryBound: 0
; FloatMode: 240
; IeeeMode: 1
; LDSByteSize: 0 bytes/workgroup (compile time only)
; SGPRBlocks: 3
; VGPRBlocks: 2
; NumSGPRsForWavesPerEU: 28
; NumVGPRsForWavesPerEU: 18
; AccumOffset: 20
; Occupancy: 8
; WaveLimiterHint : 0
; COMPUTE_PGM_RSRC2:SCRATCH_EN: 0
; COMPUTE_PGM_RSRC2:USER_SGPR: 6
; COMPUTE_PGM_RSRC2:TRAP_HANDLER: 0
; COMPUTE_PGM_RSRC2:TGID_X_EN: 1
; COMPUTE_PGM_RSRC2:TGID_Y_EN: 0
; COMPUTE_PGM_RSRC2:TGID_Z_EN: 0
; COMPUTE_PGM_RSRC2:TIDIG_COMP_CNT: 0
; COMPUTE_PGM_RSRC3_GFX90A:ACCUM_OFFSET: 4
; COMPUTE_PGM_RSRC3_GFX90A:TG_SPLIT: 0
	.section	.text._ZN5aiter19grouped_topk_kernelIfDv4_fLi4ELb0ELb0ELb0EEEvPT_PKS2_PfPimiiiif,"axG",@progbits,_ZN5aiter19grouped_topk_kernelIfDv4_fLi4ELb0ELb0ELb0EEEvPT_PKS2_PfPimiiiif,comdat
	.protected	_ZN5aiter19grouped_topk_kernelIfDv4_fLi4ELb0ELb0ELb0EEEvPT_PKS2_PfPimiiiif ; -- Begin function _ZN5aiter19grouped_topk_kernelIfDv4_fLi4ELb0ELb0ELb0EEEvPT_PKS2_PfPimiiiif
	.globl	_ZN5aiter19grouped_topk_kernelIfDv4_fLi4ELb0ELb0ELb0EEEvPT_PKS2_PfPimiiiif
	.p2align	8
	.type	_ZN5aiter19grouped_topk_kernelIfDv4_fLi4ELb0ELb0ELb0EEEvPT_PKS2_PfPimiiiif,@function
_ZN5aiter19grouped_topk_kernelIfDv4_fLi4ELb0ELb0ELb0EEEvPT_PKS2_PfPimiiiif: ; @_ZN5aiter19grouped_topk_kernelIfDv4_fLi4ELb0ELb0ELb0EEEvPT_PKS2_PfPimiiiif
; %bb.0:
	s_load_dwordx4 s[12:15], s[4:5], 0x28
	s_load_dwordx4 s[16:19], s[4:5], 0x10
	s_waitcnt lgkmcnt(0)
	s_ashr_i32 s0, s12, 31
	s_lshr_b32 s0, s0, 30
	s_add_i32 s0, s12, s0
	s_ashr_i32 s7, s0, 2
	v_cmp_gt_i32_e64 s[0:1], s7, v0
	s_and_saveexec_b64 s[20:21], s[0:1]
	s_cbranch_execz .LBB46_3
; %bb.1:
	s_load_dword s10, s[4:5], 0x4c
	s_load_dwordx2 s[2:3], s[4:5], 0x0
	s_mul_i32 s8, s6, s12
	s_ashr_i32 s9, s8, 31
	s_lshl_b64 s[8:9], s[8:9], 2
	s_waitcnt lgkmcnt(0)
	s_and_b32 s15, s10, 0xffff
	s_add_u32 s2, s2, s8
	v_lshlrev_b32_e32 v1, 4, v0
	s_addc_u32 s3, s3, s9
	s_mov_b32 s11, 0
	v_mov_b32_e32 v2, s3
	v_add_co_u32_e32 v6, vcc, s2, v1
	v_addc_co_u32_e32 v7, vcc, 0, v2, vcc
	s_lshl_b32 s24, s15, 4
	v_add_u32_e32 v1, 0, v1
	s_mov_b64 s[22:23], 0
	s_mov_b32 s25, 0xbfb8aa3b
	s_mov_b32 s26, 0x42ce8ed0
	;; [unrolled: 1-line block ×3, first 2 shown]
	v_mov_b32_e32 v8, 0x7f800000
	v_mov_b32_e32 v9, s11
	;; [unrolled: 1-line block ×3, first 2 shown]
.LBB46_2:                               ; =>This Inner Loop Header: Depth=1
	global_load_dwordx4 v[2:5], v[6:7], off
	v_add_co_u32_e32 v6, vcc, s24, v6
	v_add_u32_e32 v10, s15, v10
	v_addc_co_u32_e32 v7, vcc, v7, v9, vcc
	v_cmp_le_i32_e32 vcc, s7, v10
	s_or_b64 s[22:23], vcc, s[22:23]
	s_waitcnt vmcnt(0)
	v_mul_f32_e32 v11, 0xbfb8aa3b, v3
	v_mul_f32_e32 v12, 0xbfb8aa3b, v2
	v_rndne_f32_e32 v15, v11
	v_fma_f32 v16, v3, s25, -v11
	v_rndne_f32_e32 v17, v12
	v_fma_f32 v18, v2, s25, -v12
	v_mul_f32_e32 v13, 0xbfb8aa3b, v5
	v_mul_f32_e32 v14, 0xbfb8aa3b, v4
	v_sub_f32_e32 v11, v11, v15
	v_fmac_f32_e32 v16, 0xb2a5705f, v3
	v_sub_f32_e32 v12, v12, v17
	v_fmac_f32_e32 v18, 0xb2a5705f, v2
	v_rndne_f32_e32 v19, v13
	v_fma_f32 v20, v5, s25, -v13
	v_rndne_f32_e32 v21, v14
	v_fma_f32 v22, v4, s25, -v14
	v_add_f32_e32 v11, v11, v16
	v_add_f32_e32 v12, v12, v18
	v_cvt_i32_f32_e32 v15, v15
	v_cvt_i32_f32_e32 v17, v17
	v_sub_f32_e32 v13, v13, v19
	v_fmac_f32_e32 v20, 0xb2a5705f, v5
	v_sub_f32_e32 v14, v14, v21
	v_fmac_f32_e32 v22, 0xb2a5705f, v4
	v_exp_f32_e32 v11, v11
	v_exp_f32_e32 v12, v12
	v_add_f32_e32 v13, v13, v20
	v_add_f32_e32 v14, v14, v22
	v_cvt_i32_f32_e32 v19, v19
	v_cvt_i32_f32_e32 v21, v21
	v_exp_f32_e32 v13, v13
	v_exp_f32_e32 v14, v14
	v_ldexp_f32 v11, v11, v15
	v_ldexp_f32 v12, v12, v17
	v_cmp_nlt_f32_e32 vcc, s26, v2
	v_cmp_nlt_f32_e64 s[10:11], s26, v3
	v_cndmask_b32_e64 v11, 0, v11, s[10:11]
	v_cndmask_b32_e32 v12, 0, v12, vcc
	v_cmp_ngt_f32_e32 vcc, s27, v2
	v_cmp_ngt_f32_e64 s[10:11], s27, v3
	v_ldexp_f32 v13, v13, v19
	v_cmp_nlt_f32_e64 s[2:3], s26, v5
	v_ldexp_f32 v14, v14, v21
	v_cmp_nlt_f32_e64 s[8:9], s26, v4
	v_cndmask_b32_e64 v3, v8, v11, s[10:11]
	v_cndmask_b32_e32 v2, v8, v12, vcc
	v_cndmask_b32_e64 v13, 0, v13, s[2:3]
	v_cmp_ngt_f32_e64 s[2:3], s27, v5
	v_cndmask_b32_e64 v14, 0, v14, s[8:9]
	v_cmp_ngt_f32_e64 s[8:9], s27, v4
	v_pk_add_f32 v[2:3], v[2:3], 1.0 op_sel_hi:[1,0]
	v_cndmask_b32_e64 v5, v8, v13, s[2:3]
	v_cndmask_b32_e64 v4, v8, v14, s[8:9]
	v_div_scale_f32 v11, s[2:3], v3, v3, 1.0
	v_pk_add_f32 v[4:5], v[4:5], 1.0 op_sel_hi:[1,0]
	v_div_scale_f32 v13, s[2:3], v2, v2, 1.0
	v_rcp_f32_e32 v19, v11
	v_div_scale_f32 v15, s[8:9], v5, v5, 1.0
	v_rcp_f32_e32 v20, v13
	;; [unrolled: 2-line block ×3, first 2 shown]
	v_rcp_f32_e32 v22, v17
	v_fma_f32 v23, -v11, v19, 1.0
	v_div_scale_f32 v12, vcc, 1.0, v3, 1.0
	v_fma_f32 v24, -v13, v20, 1.0
	v_fmac_f32_e32 v19, v23, v19
	v_div_scale_f32 v14, s[2:3], 1.0, v2, 1.0
	v_fma_f32 v25, -v15, v21, 1.0
	v_fmac_f32_e32 v20, v24, v20
	v_mul_f32_e32 v23, v12, v19
	v_div_scale_f32 v16, s[8:9], 1.0, v5, 1.0
	v_fma_f32 v26, -v17, v22, 1.0
	v_fmac_f32_e32 v21, v25, v21
	v_mul_f32_e32 v24, v14, v20
	v_fma_f32 v27, -v11, v23, v12
	v_div_scale_f32 v18, s[10:11], 1.0, v4, 1.0
	v_fmac_f32_e32 v22, v26, v22
	v_mul_f32_e32 v25, v16, v21
	v_fma_f32 v28, -v13, v24, v14
	v_fmac_f32_e32 v23, v27, v19
	v_mul_f32_e32 v26, v18, v22
	v_fma_f32 v29, -v15, v25, v16
	v_fmac_f32_e32 v24, v28, v20
	v_fma_f32 v11, -v11, v23, v12
	v_fma_f32 v30, -v17, v26, v18
	v_fmac_f32_e32 v25, v29, v21
	v_fma_f32 v12, -v13, v24, v14
	v_div_fmas_f32 v11, v11, v19, v23
	s_mov_b64 vcc, s[2:3]
	v_fmac_f32_e32 v26, v30, v22
	v_fma_f32 v13, -v15, v25, v16
	v_div_fixup_f32 v3, v11, v3, 1.0
	v_div_fmas_f32 v11, v12, v20, v24
	s_mov_b64 vcc, s[8:9]
	v_fma_f32 v14, -v17, v26, v18
	v_div_fixup_f32 v2, v11, v2, 1.0
	v_div_fmas_f32 v11, v13, v21, v25
	s_mov_b64 vcc, s[10:11]
	v_div_fixup_f32 v5, v11, v5, 1.0
	v_div_fmas_f32 v11, v14, v22, v26
	v_div_fixup_f32 v4, v11, v4, 1.0
	ds_write_b128 v1, v[2:5]
	v_add_u32_e32 v1, s24, v1
	s_andn2_b64 exec, exec, s[22:23]
	s_cbranch_execnz .LBB46_2
.LBB46_3:
	s_or_b64 exec, exec, s[20:21]
	s_lshl_b32 s2, s12, 2
	s_add_i32 s15, s2, 0
	v_cmp_gt_u32_e32 vcc, 4, v0
	s_waitcnt lgkmcnt(0)
	s_barrier
	s_and_saveexec_b64 s[8:9], vcc
	s_cbranch_execz .LBB46_10
; %bb.4:
	s_load_dword s2, s[4:5], 0x4c
	v_mul_lo_u32 v1, v0, s7
	v_lshl_add_u32 v1, v1, 2, 0
	s_waitcnt lgkmcnt(0)
	s_and_b32 s22, s2, 0xffff
	s_cmp_gt_i32 s12, 3
	s_cselect_b64 s[2:3], -1, 0
	s_mul_i32 s10, s7, s22
	v_cndmask_b32_e64 v2, 0, 1, s[2:3]
	s_lshl_b32 s12, s10, 2
	s_mov_b64 s[10:11], 0
	v_cmp_ne_u32_e64 s[2:3], 1, v2
	v_mov_b32_e32 v2, v0
	s_branch .LBB46_6
.LBB46_5:                               ;   in Loop: Header=BB46_6 Depth=1
	v_lshl_add_u32 v4, v2, 2, s15
	v_add_u32_e32 v2, s22, v2
	v_cmp_lt_u32_e32 vcc, 3, v2
	s_or_b64 s[10:11], vcc, s[10:11]
	v_add_u32_e32 v1, s12, v1
	ds_write_b32 v4, v3
	s_andn2_b64 exec, exec, s[10:11]
	s_cbranch_execz .LBB46_10
.LBB46_6:                               ; =>This Loop Header: Depth=1
                                        ;     Child Loop BB46_8 Depth 2
	s_and_b64 vcc, exec, s[2:3]
	v_mov_b32_e32 v3, 0xff800000
	s_cbranch_vccnz .LBB46_5
; %bb.7:                                ;   in Loop: Header=BB46_6 Depth=1
	v_mul_lo_u32 v4, v2, s7
	v_add_u32_e32 v5, s7, v4
	s_mov_b64 s[20:21], 0
	v_mov_b32_e32 v3, 0xff800000
	v_mov_b32_e32 v6, v1
.LBB46_8:                               ;   Parent Loop BB46_6 Depth=1
                                        ; =>  This Inner Loop Header: Depth=2
	ds_read_b32 v7, v6
	v_add_u32_e32 v4, 1, v4
	v_cmp_ge_i32_e32 vcc, v4, v5
	s_or_b64 s[20:21], vcc, s[20:21]
	v_add_u32_e32 v6, 4, v6
	s_waitcnt lgkmcnt(0)
	v_cmp_gt_f32_e32 vcc, v7, v3
	v_cndmask_b32_e32 v3, v3, v7, vcc
	s_andn2_b64 exec, exec, s[20:21]
	s_cbranch_execnz .LBB46_8
; %bb.9:                                ;   in Loop: Header=BB46_6 Depth=1
	s_or_b64 exec, exec, s[20:21]
	s_branch .LBB46_5
.LBB46_10:
	s_or_b64 exec, exec, s[8:9]
	s_cmp_lt_i32 s14, 1
	s_waitcnt lgkmcnt(0)
	s_barrier
	s_cbranch_scc1 .LBB46_13
; %bb.11:
	v_mov_b32_e32 v1, s15
	s_mov_b32 s2, 0xff800000
	v_mov_b32_e32 v2, 0xff800000
.LBB46_12:                              ; =>This Inner Loop Header: Depth=1
	ds_read2_b32 v[4:5], v1 offset1:1
	ds_read2_b32 v[6:7], v1 offset0:2 offset1:3
	s_waitcnt lgkmcnt(1)
	v_cmp_nlg_f32_e32 vcc, s2, v4
	v_cndmask_b32_e64 v3, 0, 1, vcc
	v_cmp_lg_f32_e32 vcc, s2, v4
	v_cndmask_b32_e32 v4, v2, v4, vcc
	v_readfirstlane_b32 s3, v3
	v_cmp_gt_f32_e32 vcc, v5, v4
	s_lshl_b32 s3, s3, 2
	v_cndmask_b32_e32 v3, v4, v5, vcc
	s_and_b64 s[8:9], vcc, exec
	s_waitcnt lgkmcnt(0)
	v_cmp_gt_f32_e32 vcc, v6, v3
	v_cndmask_b32_e32 v3, v3, v6, vcc
	s_cselect_b32 s3, 1, s3
	s_and_b64 s[8:9], vcc, exec
	v_cmp_ngt_f32_e32 vcc, v7, v3
	s_cselect_b32 s3, 2, s3
	s_and_b64 s[8:9], vcc, exec
	s_cselect_b32 s3, s3, 3
	s_lshl_b32 s3, s3, 2
	s_add_i32 s3, s15, s3
	s_add_i32 s14, s14, -1
	v_mov_b32_e32 v3, s3
	s_cmp_lg_u32 s14, 0
	ds_write_b32 v3, v2
	s_cbranch_scc1 .LBB46_12
.LBB46_13:
	v_lshlrev_b32_e32 v1, 2, v0
	v_lshl_add_u32 v6, v0, 4, 0
	s_and_saveexec_b64 s[2:3], s[0:1]
	s_cbranch_execz .LBB46_18
; %bb.14:
	s_abs_i32 s12, s7
	v_cvt_f32_u32_e32 v2, s12
	s_load_dword s10, s[4:5], 0x4c
	s_sub_i32 s11, 0, s12
	s_ashr_i32 s14, s7, 31
	v_rcp_iflag_f32_e32 v2, v2
	v_lshlrev_b32_e32 v7, 2, v0
	s_waitcnt lgkmcnt(0)
	s_and_b32 s20, s10, 0xffff
	v_lshl_add_u32 v8, v0, 4, 0
	v_mul_f32_e32 v2, 0x4f7ffffe, v2
	v_cvt_u32_f32_e32 v2, v2
	s_mov_b64 s[8:9], 0
	s_lshl_b32 s21, s20, 2
	s_lshl_b32 s22, s20, 4
	v_mul_lo_u32 v3, s11, v2
	v_mul_hi_u32 v3, v2, v3
	v_add_u32_e32 v9, v2, v3
	s_mov_b32 s23, 0xff800000
	v_mov_b32_e32 v2, 0xff800000
	v_mov_b32_e32 v10, v0
	s_branch .LBB46_16
.LBB46_15:                              ;   in Loop: Header=BB46_16 Depth=1
	s_or_b64 exec, exec, s[10:11]
	v_add_u32_e32 v10, s20, v10
	v_cmp_le_i32_e32 vcc, s7, v10
	v_add_u32_e32 v7, s21, v7
	s_or_b64 s[8:9], vcc, s[8:9]
	v_add_u32_e32 v8, s22, v8
	s_andn2_b64 exec, exec, s[8:9]
	s_cbranch_execz .LBB46_18
.LBB46_16:                              ; =>This Inner Loop Header: Depth=1
	v_mul_hi_u32 v3, v7, v9
	v_mul_lo_u32 v4, v3, s12
	v_sub_u32_e32 v4, v7, v4
	v_add_u32_e32 v5, 1, v3
	v_cmp_le_u32_e32 vcc, s12, v4
	v_cndmask_b32_e32 v3, v3, v5, vcc
	v_subrev_u32_e32 v5, s12, v4
	v_cndmask_b32_e32 v4, v4, v5, vcc
	v_add_u32_e32 v5, 1, v3
	v_cmp_le_u32_e32 vcc, s12, v4
	v_cndmask_b32_e32 v3, v3, v5, vcc
	v_xor_b32_e32 v3, s14, v3
	v_subrev_u32_e32 v3, s14, v3
	v_lshl_add_u32 v3, v3, 2, s15
	ds_read_b32 v3, v3
	s_waitcnt lgkmcnt(0)
	v_cmp_neq_f32_e32 vcc, s23, v3
	s_and_saveexec_b64 s[10:11], vcc
	s_cbranch_execz .LBB46_15
; %bb.17:                               ;   in Loop: Header=BB46_16 Depth=1
	v_mov_b32_e32 v3, v2
	v_mov_b32_e32 v4, v2
	;; [unrolled: 1-line block ×3, first 2 shown]
	ds_write_b128 v8, v[2:5]
	s_branch .LBB46_15
.LBB46_18:
	s_or_b64 exec, exec, s[2:3]
	s_cmp_lt_i32 s13, 1
	s_waitcnt lgkmcnt(0)
	s_barrier
	s_cbranch_scc1 .LBB46_25
; %bb.19:
	s_add_u32 s2, s4, 64
	s_addc_u32 s3, s5, 0
	s_mov_b32 s12, 0
	v_mov_b32_e32 v4, 0xff800000
                                        ; implicit-def: $vgpr3
                                        ; implicit-def: $vgpr2
	s_branch .LBB46_21
.LBB46_20:                              ;   in Loop: Header=BB46_21 Depth=1
	s_or_b64 exec, exec, s[8:9]
	v_mov_b32_dpp v9, v7 quad_perm:[1,0,3,2] row_mask:0xf bank_mask:0xf
	v_cmp_lt_f32_e32 vcc, v7, v9
	v_cndmask_b32_e32 v7, v7, v9, vcc
	v_mov_b32_dpp v8, v5 quad_perm:[1,0,3,2] row_mask:0xf bank_mask:0xf
	v_cndmask_b32_e32 v5, v5, v8, vcc
	v_mov_b32_dpp v9, v7 quad_perm:[2,3,0,1] row_mask:0xf bank_mask:0xf
	v_cmp_gt_f32_e32 vcc, v9, v7
	v_cndmask_b32_e32 v7, v7, v9, vcc
	v_mov_b32_dpp v8, v5 quad_perm:[2,3,0,1] row_mask:0xf bank_mask:0xf
	v_cndmask_b32_e32 v5, v5, v8, vcc
	v_mov_b32_dpp v9, v7 row_half_mirror row_mask:0xf bank_mask:0xf
	v_cmp_gt_f32_e32 vcc, v9, v7
	v_cndmask_b32_e32 v7, v7, v9, vcc
	v_mov_b32_dpp v8, v5 row_half_mirror row_mask:0xf bank_mask:0xf
	v_cndmask_b32_e32 v5, v5, v8, vcc
	v_mov_b32_dpp v9, v7 row_mirror row_mask:0xf bank_mask:0xf
	v_cmp_gt_f32_e32 vcc, v9, v7
	v_cndmask_b32_e32 v7, v7, v9, vcc
	v_mov_b32_dpp v8, v5 row_mirror row_mask:0xf bank_mask:0xf
	v_cndmask_b32_e32 v5, v5, v8, vcc
	v_mov_b32_dpp v9, v7 row_bcast:15 row_mask:0xf bank_mask:0xf
	v_cmp_gt_f32_e32 vcc, v9, v7
	v_mov_b32_dpp v8, v5 row_bcast:15 row_mask:0xf bank_mask:0xf
	v_cndmask_b32_e32 v7, v7, v9, vcc
	v_cndmask_b32_e32 v5, v5, v8, vcc
	s_nop 0
	v_mov_b32_dpp v9, v7 row_bcast:31 row_mask:0xf bank_mask:0xf
	v_mov_b32_dpp v8, v5 row_bcast:31 row_mask:0xf bank_mask:0xf
	v_cmp_gt_f32_e32 vcc, v9, v7
	v_cndmask_b32_e32 v5, v5, v8, vcc
	v_readlane_b32 s9, v5, 63
	s_lshl_b32 s10, s9, 2
	s_add_i32 s10, s10, 0
	v_cndmask_b32_e32 v7, v7, v9, vcc
	v_mov_b32_e32 v5, s10
	v_readlane_b32 s8, v7, 63
	ds_write_b32 v5, v4
	v_mov_b32_e32 v5, s9
	v_cmp_eq_u32_e32 vcc, s12, v0
	v_cndmask_b32_e32 v2, v2, v5, vcc
	v_mov_b32_e32 v5, s8
	s_add_i32 s12, s12, 1
	s_cmp_eq_u32 s12, s13
	v_cndmask_b32_e32 v3, v3, v5, vcc
	s_cbranch_scc1 .LBB46_26
.LBB46_21:                              ; =>This Loop Header: Depth=1
                                        ;     Child Loop BB46_23 Depth 2
	v_mov_b32_e32 v5, s12
	v_mov_b32_e32 v7, 0xff800000
	s_and_saveexec_b64 s[8:9], s[0:1]
	s_cbranch_execz .LBB46_20
; %bb.22:                               ;   in Loop: Header=BB46_21 Depth=1
	s_load_dword s14, s[2:3], 0xc
	s_mov_b64 s[10:11], 0
	v_mov_b32_e32 v5, s12
	v_mov_b32_e32 v7, 0xff800000
	;; [unrolled: 1-line block ×3, first 2 shown]
	s_waitcnt lgkmcnt(0)
	s_and_b32 s14, s14, 0xffff
	s_lshl_b32 s15, s14, 2
	s_lshl_b32 s20, s14, 4
	v_mov_b32_e32 v9, v1
	v_mov_b32_e32 v10, v0
.LBB46_23:                              ;   Parent Loop BB46_21 Depth=1
                                        ; =>  This Inner Loop Header: Depth=2
	ds_read_b128 v[12:15], v8
	v_add_u32_e32 v10, s14, v10
	v_cmp_le_i32_e32 vcc, s7, v10
	s_or_b64 s[10:11], vcc, s[10:11]
	v_add_u32_e32 v11, 1, v9
	s_waitcnt lgkmcnt(0)
	v_cmp_gt_f32_e32 vcc, v12, v7
	v_cndmask_b32_e32 v7, v7, v12, vcc
	v_cndmask_b32_e32 v5, v5, v9, vcc
	v_cmp_gt_f32_e32 vcc, v13, v7
	v_cndmask_b32_e32 v7, v7, v13, vcc
	v_cndmask_b32_e32 v5, v5, v11, vcc
	v_cmp_gt_f32_e32 vcc, v14, v7
	v_add_u32_e32 v16, 2, v9
	v_cndmask_b32_e32 v7, v7, v14, vcc
	v_add_u32_e32 v17, 3, v9
	v_cndmask_b32_e32 v5, v5, v16, vcc
	v_cmp_gt_f32_e32 vcc, v15, v7
	v_add_u32_e32 v8, s20, v8
	v_add_u32_e32 v9, s15, v9
	v_cndmask_b32_e32 v7, v7, v15, vcc
	v_cndmask_b32_e32 v5, v5, v17, vcc
	s_andn2_b64 exec, exec, s[10:11]
	s_cbranch_execnz .LBB46_23
; %bb.24:                               ;   in Loop: Header=BB46_21 Depth=1
	s_or_b64 exec, exec, s[10:11]
	s_branch .LBB46_20
.LBB46_25:
                                        ; implicit-def: $vgpr3
                                        ; implicit-def: $vgpr2
.LBB46_26:
	v_cmp_gt_i32_e32 vcc, s13, v0
	s_and_saveexec_b64 s[0:1], vcc
	s_cbranch_execz .LBB46_29
; %bb.27:
	s_load_dword s2, s[4:5], 0x38
	s_load_dwordx2 s[0:1], s[4:5], 0x20
	s_ashr_i32 s3, s6, 31
	s_load_dword s4, s[4:5], 0x4c
	v_mov_b32_e32 v4, s17
	s_waitcnt lgkmcnt(0)
	v_mul_f32_e32 v1, s2, v3
	s_mul_i32 s1, s6, s1
	s_mul_hi_u32 s2, s6, s0
	s_add_i32 s1, s2, s1
	s_mul_i32 s3, s3, s0
	s_add_i32 s5, s1, s3
	s_mul_i32 s2, s6, s0
	s_and_b32 s3, s4, 0xffff
	s_mov_b64 s[0:1], 0
	v_mov_b32_e32 v3, s5
	v_mov_b32_e32 v5, s19
.LBB46_28:                              ; =>This Inner Loop Header: Depth=1
	v_ashrrev_i32_e32 v7, 31, v0
	v_add_co_u32_e32 v6, vcc, s2, v0
	v_addc_co_u32_e32 v7, vcc, v3, v7, vcc
	v_add_u32_e32 v0, s3, v0
	v_cmp_le_i32_e32 vcc, s13, v0
	v_lshlrev_b64 v[6:7], 2, v[6:7]
	s_or_b64 s[0:1], vcc, s[0:1]
	v_add_co_u32_e32 v8, vcc, s16, v6
	v_addc_co_u32_e32 v9, vcc, v4, v7, vcc
	v_add_co_u32_e32 v6, vcc, s18, v6
	v_addc_co_u32_e32 v7, vcc, v5, v7, vcc
	global_store_dword v[8:9], v1, off
	global_store_dword v[6:7], v2, off
	s_andn2_b64 exec, exec, s[0:1]
	s_cbranch_execnz .LBB46_28
.LBB46_29:
	s_endpgm
	.section	.rodata,"a",@progbits
	.p2align	6, 0x0
	.amdhsa_kernel _ZN5aiter19grouped_topk_kernelIfDv4_fLi4ELb0ELb0ELb0EEEvPT_PKS2_PfPimiiiif
		.amdhsa_group_segment_fixed_size 0
		.amdhsa_private_segment_fixed_size 0
		.amdhsa_kernarg_size 320
		.amdhsa_user_sgpr_count 6
		.amdhsa_user_sgpr_private_segment_buffer 1
		.amdhsa_user_sgpr_dispatch_ptr 0
		.amdhsa_user_sgpr_queue_ptr 0
		.amdhsa_user_sgpr_kernarg_segment_ptr 1
		.amdhsa_user_sgpr_dispatch_id 0
		.amdhsa_user_sgpr_flat_scratch_init 0
		.amdhsa_user_sgpr_kernarg_preload_length 0
		.amdhsa_user_sgpr_kernarg_preload_offset 0
		.amdhsa_user_sgpr_private_segment_size 0
		.amdhsa_uses_dynamic_stack 0
		.amdhsa_system_sgpr_private_segment_wavefront_offset 0
		.amdhsa_system_sgpr_workgroup_id_x 1
		.amdhsa_system_sgpr_workgroup_id_y 0
		.amdhsa_system_sgpr_workgroup_id_z 0
		.amdhsa_system_sgpr_workgroup_info 0
		.amdhsa_system_vgpr_workitem_id 0
		.amdhsa_next_free_vgpr 31
		.amdhsa_next_free_sgpr 28
		.amdhsa_accum_offset 32
		.amdhsa_reserve_vcc 1
		.amdhsa_reserve_flat_scratch 0
		.amdhsa_float_round_mode_32 0
		.amdhsa_float_round_mode_16_64 0
		.amdhsa_float_denorm_mode_32 3
		.amdhsa_float_denorm_mode_16_64 3
		.amdhsa_dx10_clamp 1
		.amdhsa_ieee_mode 1
		.amdhsa_fp16_overflow 0
		.amdhsa_tg_split 0
		.amdhsa_exception_fp_ieee_invalid_op 0
		.amdhsa_exception_fp_denorm_src 0
		.amdhsa_exception_fp_ieee_div_zero 0
		.amdhsa_exception_fp_ieee_overflow 0
		.amdhsa_exception_fp_ieee_underflow 0
		.amdhsa_exception_fp_ieee_inexact 0
		.amdhsa_exception_int_div_zero 0
	.end_amdhsa_kernel
	.section	.text._ZN5aiter19grouped_topk_kernelIfDv4_fLi4ELb0ELb0ELb0EEEvPT_PKS2_PfPimiiiif,"axG",@progbits,_ZN5aiter19grouped_topk_kernelIfDv4_fLi4ELb0ELb0ELb0EEEvPT_PKS2_PfPimiiiif,comdat
.Lfunc_end46:
	.size	_ZN5aiter19grouped_topk_kernelIfDv4_fLi4ELb0ELb0ELb0EEEvPT_PKS2_PfPimiiiif, .Lfunc_end46-_ZN5aiter19grouped_topk_kernelIfDv4_fLi4ELb0ELb0ELb0EEEvPT_PKS2_PfPimiiiif
                                        ; -- End function
	.section	.AMDGPU.csdata,"",@progbits
; Kernel info:
; codeLenInByte = 2208
; NumSgprs: 32
; NumVgprs: 31
; NumAgprs: 0
; TotalNumVgprs: 31
; ScratchSize: 0
; MemoryBound: 0
; FloatMode: 240
; IeeeMode: 1
; LDSByteSize: 0 bytes/workgroup (compile time only)
; SGPRBlocks: 3
; VGPRBlocks: 3
; NumSGPRsForWavesPerEU: 32
; NumVGPRsForWavesPerEU: 31
; AccumOffset: 32
; Occupancy: 8
; WaveLimiterHint : 0
; COMPUTE_PGM_RSRC2:SCRATCH_EN: 0
; COMPUTE_PGM_RSRC2:USER_SGPR: 6
; COMPUTE_PGM_RSRC2:TRAP_HANDLER: 0
; COMPUTE_PGM_RSRC2:TGID_X_EN: 1
; COMPUTE_PGM_RSRC2:TGID_Y_EN: 0
; COMPUTE_PGM_RSRC2:TGID_Z_EN: 0
; COMPUTE_PGM_RSRC2:TIDIG_COMP_CNT: 0
; COMPUTE_PGM_RSRC3_GFX90A:ACCUM_OFFSET: 7
; COMPUTE_PGM_RSRC3_GFX90A:TG_SPLIT: 0
	.section	.text._ZN5aiter19grouped_topk_kernelIN3c104HalfEDv4_fLi4ELb0ELb0ELb0EEEvPT_PKS4_PfPimiiiif,"axG",@progbits,_ZN5aiter19grouped_topk_kernelIN3c104HalfEDv4_fLi4ELb0ELb0ELb0EEEvPT_PKS4_PfPimiiiif,comdat
	.protected	_ZN5aiter19grouped_topk_kernelIN3c104HalfEDv4_fLi4ELb0ELb0ELb0EEEvPT_PKS4_PfPimiiiif ; -- Begin function _ZN5aiter19grouped_topk_kernelIN3c104HalfEDv4_fLi4ELb0ELb0ELb0EEEvPT_PKS4_PfPimiiiif
	.globl	_ZN5aiter19grouped_topk_kernelIN3c104HalfEDv4_fLi4ELb0ELb0ELb0EEEvPT_PKS4_PfPimiiiif
	.p2align	8
	.type	_ZN5aiter19grouped_topk_kernelIN3c104HalfEDv4_fLi4ELb0ELb0ELb0EEEvPT_PKS4_PfPimiiiif,@function
_ZN5aiter19grouped_topk_kernelIN3c104HalfEDv4_fLi4ELb0ELb0ELb0EEEvPT_PKS4_PfPimiiiif: ; @_ZN5aiter19grouped_topk_kernelIN3c104HalfEDv4_fLi4ELb0ELb0ELb0EEEvPT_PKS4_PfPimiiiif
; %bb.0:
	s_load_dwordx4 s[12:15], s[4:5], 0x28
	s_load_dwordx4 s[16:19], s[4:5], 0x10
	v_lshl_add_u32 v1, v0, 4, 0
	s_waitcnt lgkmcnt(0)
	s_ashr_i32 s0, s12, 31
	s_lshr_b32 s0, s0, 30
	s_add_i32 s0, s12, s0
	s_ashr_i32 s7, s0, 2
	v_cmp_gt_i32_e64 s[0:1], s7, v0
	s_and_saveexec_b64 s[20:21], s[0:1]
	s_cbranch_execz .LBB47_3
; %bb.1:
	s_load_dword s10, s[4:5], 0x4c
	s_load_dwordx2 s[2:3], s[4:5], 0x0
	s_mul_i32 s8, s6, s12
	s_ashr_i32 s9, s8, 31
	s_lshl_b64 s[8:9], s[8:9], 1
	s_waitcnt lgkmcnt(0)
	s_and_b32 s15, s10, 0xffff
	s_add_u32 s2, s2, s8
	v_lshlrev_b32_e32 v2, 3, v0
	s_addc_u32 s3, s3, s9
	s_mov_b32 s10, 0
	v_mov_b32_e32 v3, s3
	v_add_co_u32_e32 v2, vcc, s2, v2
	v_addc_co_u32_e32 v3, vcc, 0, v3, vcc
	s_lshl_b32 s24, s15, 3
	v_lshl_add_u32 v6, v0, 4, 0
	s_lshl_b32 s25, s15, 4
	s_mov_b64 s[22:23], 0
	s_mov_b32 s26, 0x3fb8aa3b
	s_mov_b32 s27, 0x32a5705f
	;; [unrolled: 1-line block ×4, first 2 shown]
	v_mov_b32_e32 v7, 0x7f800000
	v_mov_b32_e32 v8, s10
	;; [unrolled: 1-line block ×3, first 2 shown]
.LBB47_2:                               ; =>This Inner Loop Header: Depth=1
	global_load_dwordx2 v[4:5], v[2:3], off
	v_add_co_u32_e32 v2, vcc, s24, v2
	v_add_u32_e32 v9, s15, v9
	v_addc_co_u32_e32 v3, vcc, v3, v8, vcc
	v_cmp_le_i32_e32 vcc, s7, v9
	s_or_b64 s[22:23], vcc, s[22:23]
	s_waitcnt vmcnt(0)
	v_cvt_f32_f16_e64 v10, -v5
	v_cvt_f32_f16_sdwa v11, -v5 dst_sel:DWORD dst_unused:UNUSED_PAD src0_sel:WORD_1
	v_cvt_f32_f16_e64 v12, -v4
	v_cvt_f32_f16_sdwa v13, -v4 dst_sel:DWORD dst_unused:UNUSED_PAD src0_sel:WORD_1
	v_mul_f32_e32 v14, 0x3fb8aa3b, v10
	v_mul_f32_e32 v15, 0x3fb8aa3b, v11
	;; [unrolled: 1-line block ×4, first 2 shown]
	v_rndne_f32_e32 v18, v14
	v_fma_mix_f32 v19, -v5, s26, -v14 op_sel_hi:[1,0,0]
	v_rndne_f32_e32 v20, v15
	v_fma_mix_f32 v21, -v5, s26, -v15 op_sel:[1,0,0] op_sel_hi:[1,0,0]
	v_rndne_f32_e32 v22, v16
	v_fma_mix_f32 v23, -v4, s26, -v16 op_sel_hi:[1,0,0]
	v_rndne_f32_e32 v24, v17
	v_fma_mix_f32 v25, -v4, s26, -v17 op_sel:[1,0,0] op_sel_hi:[1,0,0]
	v_sub_f32_e32 v14, v14, v18
	v_fma_mix_f32 v19, -v5, s27, v19 op_sel_hi:[1,0,0]
	v_sub_f32_e32 v15, v15, v20
	v_fma_mix_f32 v5, -v5, s27, v21 op_sel:[1,0,0] op_sel_hi:[1,0,0]
	v_sub_f32_e32 v16, v16, v22
	v_fma_mix_f32 v21, -v4, s27, v23 op_sel_hi:[1,0,0]
	v_sub_f32_e32 v17, v17, v24
	v_fma_mix_f32 v4, -v4, s27, v25 op_sel:[1,0,0] op_sel_hi:[1,0,0]
	v_add_f32_e32 v14, v14, v19
	v_add_f32_e32 v5, v15, v5
	v_cvt_i32_f32_e32 v18, v18
	v_cvt_i32_f32_e32 v20, v20
	v_add_f32_e32 v15, v16, v21
	v_add_f32_e32 v4, v17, v4
	v_exp_f32_e32 v14, v14
	v_exp_f32_e32 v5, v5
	v_cvt_i32_f32_e32 v22, v22
	v_cvt_i32_f32_e32 v23, v24
	v_exp_f32_e32 v15, v15
	v_exp_f32_e32 v4, v4
	v_ldexp_f32 v14, v14, v18
	v_ldexp_f32 v5, v5, v20
	v_cmp_ngt_f32_e32 vcc, s28, v11
	v_cmp_ngt_f32_e64 s[10:11], s28, v10
	v_ldexp_f32 v15, v15, v22
	v_cmp_ngt_f32_e64 s[2:3], s28, v12
	v_ldexp_f32 v4, v4, v23
	v_cmp_ngt_f32_e64 s[8:9], s28, v13
	v_cndmask_b32_e64 v14, 0, v14, s[10:11]
	v_cndmask_b32_e32 v5, 0, v5, vcc
	v_cmp_nlt_f32_e32 vcc, s29, v11
	v_cmp_nlt_f32_e64 s[10:11], s29, v10
	v_cndmask_b32_e64 v11, 0, v15, s[2:3]
	v_cmp_nlt_f32_e64 s[2:3], s29, v12
	v_cndmask_b32_e64 v12, 0, v4, s[8:9]
	v_cndmask_b32_e64 v4, v7, v14, s[10:11]
	v_cndmask_b32_e32 v5, v7, v5, vcc
	v_cmp_nlt_f32_e64 s[8:9], s29, v13
	v_pk_add_f32 v[4:5], v[4:5], 1.0 op_sel_hi:[1,0]
	v_cndmask_b32_e64 v10, v7, v11, s[2:3]
	v_cndmask_b32_e64 v11, v7, v12, s[8:9]
	v_div_scale_f32 v12, s[2:3], v5, v5, 1.0
	v_pk_add_f32 v[10:11], v[10:11], 1.0 op_sel_hi:[1,0]
	v_div_scale_f32 v14, s[2:3], v4, v4, 1.0
	v_rcp_f32_e32 v20, v12
	v_div_scale_f32 v16, s[8:9], v11, v11, 1.0
	v_rcp_f32_e32 v21, v14
	;; [unrolled: 2-line block ×3, first 2 shown]
	v_rcp_f32_e32 v23, v18
	v_fma_f32 v24, -v12, v20, 1.0
	v_div_scale_f32 v13, vcc, 1.0, v5, 1.0
	v_fma_f32 v25, -v14, v21, 1.0
	v_fmac_f32_e32 v20, v24, v20
	v_div_scale_f32 v15, s[2:3], 1.0, v4, 1.0
	v_fma_f32 v26, -v16, v22, 1.0
	v_fmac_f32_e32 v21, v25, v21
	v_mul_f32_e32 v24, v13, v20
	v_div_scale_f32 v17, s[8:9], 1.0, v11, 1.0
	v_fma_f32 v27, -v18, v23, 1.0
	v_fmac_f32_e32 v22, v26, v22
	v_mul_f32_e32 v25, v15, v21
	v_fma_f32 v28, -v12, v24, v13
	v_div_scale_f32 v19, s[10:11], 1.0, v10, 1.0
	v_fmac_f32_e32 v23, v27, v23
	v_mul_f32_e32 v26, v17, v22
	v_fma_f32 v29, -v14, v25, v15
	v_fmac_f32_e32 v24, v28, v20
	v_mul_f32_e32 v27, v19, v23
	v_fma_f32 v30, -v16, v26, v17
	v_fmac_f32_e32 v25, v29, v21
	v_fma_f32 v12, -v12, v24, v13
	v_fma_f32 v31, -v18, v27, v19
	v_fmac_f32_e32 v26, v30, v22
	v_fma_f32 v14, -v14, v25, v15
	v_div_fmas_f32 v12, v12, v20, v24
	s_mov_b64 vcc, s[2:3]
	v_fmac_f32_e32 v27, v31, v23
	v_fma_f32 v15, -v16, v26, v17
	v_div_fixup_f32 v13, v12, v5, 1.0
	v_div_fmas_f32 v5, v14, v21, v25
	s_mov_b64 vcc, s[8:9]
	v_fma_f32 v16, -v18, v27, v19
	v_div_fixup_f32 v12, v5, v4, 1.0
	v_div_fmas_f32 v4, v15, v22, v26
	s_mov_b64 vcc, s[10:11]
	v_div_fixup_f32 v11, v4, v11, 1.0
	v_div_fmas_f32 v4, v16, v23, v27
	v_div_fixup_f32 v10, v4, v10, 1.0
	ds_write_b128 v6, v[10:13]
	v_add_u32_e32 v6, s25, v6
	s_andn2_b64 exec, exec, s[22:23]
	s_cbranch_execnz .LBB47_2
.LBB47_3:
	s_or_b64 exec, exec, s[20:21]
	s_lshl_b32 s2, s12, 2
	s_add_i32 s15, s2, 0
	v_cmp_gt_u32_e32 vcc, 4, v0
	s_waitcnt lgkmcnt(0)
	s_barrier
	s_and_saveexec_b64 s[8:9], vcc
	s_cbranch_execz .LBB47_10
; %bb.4:
	s_load_dword s2, s[4:5], 0x4c
	v_mul_lo_u32 v2, v0, s7
	v_lshl_add_u32 v2, v2, 2, 0
	s_waitcnt lgkmcnt(0)
	s_and_b32 s22, s2, 0xffff
	s_cmp_gt_i32 s12, 3
	s_cselect_b64 s[2:3], -1, 0
	s_mul_i32 s10, s7, s22
	v_cndmask_b32_e64 v3, 0, 1, s[2:3]
	s_lshl_b32 s12, s10, 2
	s_mov_b64 s[10:11], 0
	v_cmp_ne_u32_e64 s[2:3], 1, v3
	v_mov_b32_e32 v3, v0
	s_branch .LBB47_6
.LBB47_5:                               ;   in Loop: Header=BB47_6 Depth=1
	v_lshl_add_u32 v5, v3, 2, s15
	v_add_u32_e32 v3, s22, v3
	v_cmp_lt_u32_e32 vcc, 3, v3
	s_or_b64 s[10:11], vcc, s[10:11]
	v_add_u32_e32 v2, s12, v2
	ds_write_b32 v5, v4
	s_andn2_b64 exec, exec, s[10:11]
	s_cbranch_execz .LBB47_10
.LBB47_6:                               ; =>This Loop Header: Depth=1
                                        ;     Child Loop BB47_8 Depth 2
	s_and_b64 vcc, exec, s[2:3]
	v_mov_b32_e32 v4, 0xff800000
	s_cbranch_vccnz .LBB47_5
; %bb.7:                                ;   in Loop: Header=BB47_6 Depth=1
	v_mul_lo_u32 v5, v3, s7
	v_add_u32_e32 v6, s7, v5
	s_mov_b64 s[20:21], 0
	v_mov_b32_e32 v4, 0xff800000
	v_mov_b32_e32 v7, v2
.LBB47_8:                               ;   Parent Loop BB47_6 Depth=1
                                        ; =>  This Inner Loop Header: Depth=2
	ds_read_b32 v8, v7
	v_add_u32_e32 v5, 1, v5
	v_cmp_ge_i32_e32 vcc, v5, v6
	s_or_b64 s[20:21], vcc, s[20:21]
	v_add_u32_e32 v7, 4, v7
	s_waitcnt lgkmcnt(0)
	v_cmp_gt_f32_e32 vcc, v8, v4
	v_cndmask_b32_e32 v4, v4, v8, vcc
	s_andn2_b64 exec, exec, s[20:21]
	s_cbranch_execnz .LBB47_8
; %bb.9:                                ;   in Loop: Header=BB47_6 Depth=1
	s_or_b64 exec, exec, s[20:21]
	s_branch .LBB47_5
.LBB47_10:
	s_or_b64 exec, exec, s[8:9]
	s_cmp_lt_i32 s14, 1
	s_waitcnt lgkmcnt(0)
	s_barrier
	s_cbranch_scc1 .LBB47_13
; %bb.11:
	v_mov_b32_e32 v2, s15
	s_mov_b32 s2, 0xff800000
	v_mov_b32_e32 v3, 0xff800000
.LBB47_12:                              ; =>This Inner Loop Header: Depth=1
	ds_read2_b32 v[4:5], v2 offset1:1
	ds_read2_b32 v[6:7], v2 offset0:2 offset1:3
	s_waitcnt lgkmcnt(1)
	v_cmp_nlg_f32_e32 vcc, s2, v4
	v_cndmask_b32_e64 v8, 0, 1, vcc
	v_cmp_lg_f32_e32 vcc, s2, v4
	v_cndmask_b32_e32 v4, v3, v4, vcc
	v_readfirstlane_b32 s3, v8
	v_cmp_gt_f32_e32 vcc, v5, v4
	s_lshl_b32 s3, s3, 2
	v_cndmask_b32_e32 v4, v4, v5, vcc
	s_and_b64 s[8:9], vcc, exec
	s_waitcnt lgkmcnt(0)
	v_cmp_gt_f32_e32 vcc, v6, v4
	v_cndmask_b32_e32 v4, v4, v6, vcc
	s_cselect_b32 s3, 1, s3
	s_and_b64 s[8:9], vcc, exec
	v_cmp_ngt_f32_e32 vcc, v7, v4
	s_cselect_b32 s3, 2, s3
	s_and_b64 s[8:9], vcc, exec
	s_cselect_b32 s3, s3, 3
	s_lshl_b32 s3, s3, 2
	s_add_i32 s3, s15, s3
	s_add_i32 s14, s14, -1
	v_mov_b32_e32 v4, s3
	s_cmp_lg_u32 s14, 0
	ds_write_b32 v4, v3
	s_cbranch_scc1 .LBB47_12
.LBB47_13:
	v_lshlrev_b32_e32 v6, 2, v0
	s_and_saveexec_b64 s[2:3], s[0:1]
	s_cbranch_execz .LBB47_18
; %bb.14:
	s_abs_i32 s12, s7
	v_cvt_f32_u32_e32 v2, s12
	s_load_dword s10, s[4:5], 0x4c
	s_sub_i32 s11, 0, s12
	s_ashr_i32 s14, s7, 31
	v_rcp_iflag_f32_e32 v2, v2
	v_lshlrev_b32_e32 v7, 2, v0
	s_waitcnt lgkmcnt(0)
	s_and_b32 s20, s10, 0xffff
	v_lshl_add_u32 v8, v0, 4, 0
	v_mul_f32_e32 v2, 0x4f7ffffe, v2
	v_cvt_u32_f32_e32 v2, v2
	s_mov_b64 s[8:9], 0
	s_lshl_b32 s21, s20, 2
	s_lshl_b32 s22, s20, 4
	v_mul_lo_u32 v3, s11, v2
	v_mul_hi_u32 v3, v2, v3
	v_add_u32_e32 v9, v2, v3
	s_mov_b32 s23, 0xff800000
	v_mov_b32_e32 v2, 0xff800000
	v_mov_b32_e32 v10, v0
	s_branch .LBB47_16
.LBB47_15:                              ;   in Loop: Header=BB47_16 Depth=1
	s_or_b64 exec, exec, s[10:11]
	v_add_u32_e32 v10, s20, v10
	v_cmp_le_i32_e32 vcc, s7, v10
	v_add_u32_e32 v7, s21, v7
	s_or_b64 s[8:9], vcc, s[8:9]
	v_add_u32_e32 v8, s22, v8
	s_andn2_b64 exec, exec, s[8:9]
	s_cbranch_execz .LBB47_18
.LBB47_16:                              ; =>This Inner Loop Header: Depth=1
	v_mul_hi_u32 v3, v7, v9
	v_mul_lo_u32 v4, v3, s12
	v_sub_u32_e32 v4, v7, v4
	v_add_u32_e32 v5, 1, v3
	v_cmp_le_u32_e32 vcc, s12, v4
	v_cndmask_b32_e32 v3, v3, v5, vcc
	v_subrev_u32_e32 v5, s12, v4
	v_cndmask_b32_e32 v4, v4, v5, vcc
	v_add_u32_e32 v5, 1, v3
	v_cmp_le_u32_e32 vcc, s12, v4
	v_cndmask_b32_e32 v3, v3, v5, vcc
	v_xor_b32_e32 v3, s14, v3
	v_subrev_u32_e32 v3, s14, v3
	v_lshl_add_u32 v3, v3, 2, s15
	ds_read_b32 v3, v3
	s_waitcnt lgkmcnt(0)
	v_cmp_neq_f32_e32 vcc, s23, v3
	s_and_saveexec_b64 s[10:11], vcc
	s_cbranch_execz .LBB47_15
; %bb.17:                               ;   in Loop: Header=BB47_16 Depth=1
	v_mov_b32_e32 v3, v2
	v_mov_b32_e32 v4, v2
	v_mov_b32_e32 v5, v2
	ds_write_b128 v8, v[2:5]
	s_branch .LBB47_15
.LBB47_18:
	s_or_b64 exec, exec, s[2:3]
	s_cmp_lt_i32 s13, 1
	s_waitcnt lgkmcnt(0)
	s_barrier
	s_cbranch_scc1 .LBB47_25
; %bb.19:
	s_add_u32 s2, s4, 64
	s_addc_u32 s3, s5, 0
	s_mov_b32 s12, 0
	v_mov_b32_e32 v4, 0xff800000
                                        ; implicit-def: $vgpr3
                                        ; implicit-def: $vgpr2
	s_branch .LBB47_21
.LBB47_20:                              ;   in Loop: Header=BB47_21 Depth=1
	s_or_b64 exec, exec, s[8:9]
	v_mov_b32_dpp v9, v7 quad_perm:[1,0,3,2] row_mask:0xf bank_mask:0xf
	v_cmp_lt_f32_e32 vcc, v7, v9
	v_cndmask_b32_e32 v7, v7, v9, vcc
	v_mov_b32_dpp v8, v5 quad_perm:[1,0,3,2] row_mask:0xf bank_mask:0xf
	v_cndmask_b32_e32 v5, v5, v8, vcc
	v_mov_b32_dpp v9, v7 quad_perm:[2,3,0,1] row_mask:0xf bank_mask:0xf
	v_cmp_gt_f32_e32 vcc, v9, v7
	v_cndmask_b32_e32 v7, v7, v9, vcc
	v_mov_b32_dpp v8, v5 quad_perm:[2,3,0,1] row_mask:0xf bank_mask:0xf
	v_cndmask_b32_e32 v5, v5, v8, vcc
	v_mov_b32_dpp v9, v7 row_half_mirror row_mask:0xf bank_mask:0xf
	v_cmp_gt_f32_e32 vcc, v9, v7
	v_cndmask_b32_e32 v7, v7, v9, vcc
	v_mov_b32_dpp v8, v5 row_half_mirror row_mask:0xf bank_mask:0xf
	v_cndmask_b32_e32 v5, v5, v8, vcc
	v_mov_b32_dpp v9, v7 row_mirror row_mask:0xf bank_mask:0xf
	v_cmp_gt_f32_e32 vcc, v9, v7
	v_cndmask_b32_e32 v7, v7, v9, vcc
	v_mov_b32_dpp v8, v5 row_mirror row_mask:0xf bank_mask:0xf
	v_cndmask_b32_e32 v5, v5, v8, vcc
	v_mov_b32_dpp v9, v7 row_bcast:15 row_mask:0xf bank_mask:0xf
	v_cmp_gt_f32_e32 vcc, v9, v7
	v_mov_b32_dpp v8, v5 row_bcast:15 row_mask:0xf bank_mask:0xf
	v_cndmask_b32_e32 v7, v7, v9, vcc
	v_cndmask_b32_e32 v5, v5, v8, vcc
	s_nop 0
	v_mov_b32_dpp v9, v7 row_bcast:31 row_mask:0xf bank_mask:0xf
	v_mov_b32_dpp v8, v5 row_bcast:31 row_mask:0xf bank_mask:0xf
	v_cmp_gt_f32_e32 vcc, v9, v7
	v_cndmask_b32_e32 v5, v5, v8, vcc
	v_readlane_b32 s9, v5, 63
	s_lshl_b32 s10, s9, 2
	s_add_i32 s10, s10, 0
	v_cndmask_b32_e32 v7, v7, v9, vcc
	v_mov_b32_e32 v5, s10
	v_readlane_b32 s8, v7, 63
	ds_write_b32 v5, v4
	v_mov_b32_e32 v5, s9
	v_cmp_eq_u32_e32 vcc, s12, v0
	v_cndmask_b32_e32 v2, v2, v5, vcc
	v_mov_b32_e32 v5, s8
	s_add_i32 s12, s12, 1
	s_cmp_eq_u32 s12, s13
	v_cndmask_b32_e32 v3, v3, v5, vcc
	s_cbranch_scc1 .LBB47_26
.LBB47_21:                              ; =>This Loop Header: Depth=1
                                        ;     Child Loop BB47_23 Depth 2
	v_mov_b32_e32 v5, s12
	v_mov_b32_e32 v7, 0xff800000
	s_and_saveexec_b64 s[8:9], s[0:1]
	s_cbranch_execz .LBB47_20
; %bb.22:                               ;   in Loop: Header=BB47_21 Depth=1
	s_load_dword s14, s[2:3], 0xc
	s_mov_b64 s[10:11], 0
	v_mov_b32_e32 v5, s12
	v_mov_b32_e32 v7, 0xff800000
	;; [unrolled: 1-line block ×3, first 2 shown]
	s_waitcnt lgkmcnt(0)
	s_and_b32 s14, s14, 0xffff
	s_lshl_b32 s15, s14, 2
	s_lshl_b32 s20, s14, 4
	v_mov_b32_e32 v9, v6
	v_mov_b32_e32 v10, v0
.LBB47_23:                              ;   Parent Loop BB47_21 Depth=1
                                        ; =>  This Inner Loop Header: Depth=2
	ds_read_b128 v[12:15], v8
	v_add_u32_e32 v10, s14, v10
	v_cmp_le_i32_e32 vcc, s7, v10
	s_or_b64 s[10:11], vcc, s[10:11]
	v_add_u32_e32 v11, 1, v9
	s_waitcnt lgkmcnt(0)
	v_cmp_gt_f32_e32 vcc, v12, v7
	v_cndmask_b32_e32 v7, v7, v12, vcc
	v_cndmask_b32_e32 v5, v5, v9, vcc
	v_cmp_gt_f32_e32 vcc, v13, v7
	v_cndmask_b32_e32 v7, v7, v13, vcc
	v_cndmask_b32_e32 v5, v5, v11, vcc
	v_cmp_gt_f32_e32 vcc, v14, v7
	v_add_u32_e32 v16, 2, v9
	v_cndmask_b32_e32 v7, v7, v14, vcc
	v_add_u32_e32 v17, 3, v9
	v_cndmask_b32_e32 v5, v5, v16, vcc
	v_cmp_gt_f32_e32 vcc, v15, v7
	v_add_u32_e32 v8, s20, v8
	v_add_u32_e32 v9, s15, v9
	v_cndmask_b32_e32 v7, v7, v15, vcc
	v_cndmask_b32_e32 v5, v5, v17, vcc
	s_andn2_b64 exec, exec, s[10:11]
	s_cbranch_execnz .LBB47_23
; %bb.24:                               ;   in Loop: Header=BB47_21 Depth=1
	s_or_b64 exec, exec, s[10:11]
	s_branch .LBB47_20
.LBB47_25:
                                        ; implicit-def: $vgpr3
                                        ; implicit-def: $vgpr2
.LBB47_26:
	v_cmp_gt_i32_e32 vcc, s13, v0
	s_and_saveexec_b64 s[0:1], vcc
	s_cbranch_execz .LBB47_29
; %bb.27:
	s_load_dword s2, s[4:5], 0x38
	s_load_dwordx2 s[0:1], s[4:5], 0x20
	s_ashr_i32 s3, s6, 31
	s_load_dword s4, s[4:5], 0x4c
	v_mov_b32_e32 v4, s17
	s_waitcnt lgkmcnt(0)
	v_mul_f32_e32 v1, s2, v3
	s_mul_i32 s1, s6, s1
	s_mul_hi_u32 s2, s6, s0
	s_add_i32 s1, s2, s1
	s_mul_i32 s3, s3, s0
	s_add_i32 s5, s1, s3
	s_mul_i32 s2, s6, s0
	s_and_b32 s3, s4, 0xffff
	s_mov_b64 s[0:1], 0
	v_mov_b32_e32 v3, s5
	v_mov_b32_e32 v5, s19
.LBB47_28:                              ; =>This Inner Loop Header: Depth=1
	v_ashrrev_i32_e32 v7, 31, v0
	v_add_co_u32_e32 v6, vcc, s2, v0
	v_addc_co_u32_e32 v7, vcc, v3, v7, vcc
	v_add_u32_e32 v0, s3, v0
	v_cmp_le_i32_e32 vcc, s13, v0
	v_lshlrev_b64 v[6:7], 2, v[6:7]
	s_or_b64 s[0:1], vcc, s[0:1]
	v_add_co_u32_e32 v8, vcc, s16, v6
	v_addc_co_u32_e32 v9, vcc, v4, v7, vcc
	v_add_co_u32_e32 v6, vcc, s18, v6
	v_addc_co_u32_e32 v7, vcc, v5, v7, vcc
	global_store_dword v[8:9], v1, off
	global_store_dword v[6:7], v2, off
	s_andn2_b64 exec, exec, s[0:1]
	s_cbranch_execnz .LBB47_28
.LBB47_29:
	s_endpgm
	.section	.rodata,"a",@progbits
	.p2align	6, 0x0
	.amdhsa_kernel _ZN5aiter19grouped_topk_kernelIN3c104HalfEDv4_fLi4ELb0ELb0ELb0EEEvPT_PKS4_PfPimiiiif
		.amdhsa_group_segment_fixed_size 0
		.amdhsa_private_segment_fixed_size 0
		.amdhsa_kernarg_size 320
		.amdhsa_user_sgpr_count 6
		.amdhsa_user_sgpr_private_segment_buffer 1
		.amdhsa_user_sgpr_dispatch_ptr 0
		.amdhsa_user_sgpr_queue_ptr 0
		.amdhsa_user_sgpr_kernarg_segment_ptr 1
		.amdhsa_user_sgpr_dispatch_id 0
		.amdhsa_user_sgpr_flat_scratch_init 0
		.amdhsa_user_sgpr_kernarg_preload_length 0
		.amdhsa_user_sgpr_kernarg_preload_offset 0
		.amdhsa_user_sgpr_private_segment_size 0
		.amdhsa_uses_dynamic_stack 0
		.amdhsa_system_sgpr_private_segment_wavefront_offset 0
		.amdhsa_system_sgpr_workgroup_id_x 1
		.amdhsa_system_sgpr_workgroup_id_y 0
		.amdhsa_system_sgpr_workgroup_id_z 0
		.amdhsa_system_sgpr_workgroup_info 0
		.amdhsa_system_vgpr_workitem_id 0
		.amdhsa_next_free_vgpr 32
		.amdhsa_next_free_sgpr 30
		.amdhsa_accum_offset 32
		.amdhsa_reserve_vcc 1
		.amdhsa_reserve_flat_scratch 0
		.amdhsa_float_round_mode_32 0
		.amdhsa_float_round_mode_16_64 0
		.amdhsa_float_denorm_mode_32 3
		.amdhsa_float_denorm_mode_16_64 3
		.amdhsa_dx10_clamp 1
		.amdhsa_ieee_mode 1
		.amdhsa_fp16_overflow 0
		.amdhsa_tg_split 0
		.amdhsa_exception_fp_ieee_invalid_op 0
		.amdhsa_exception_fp_denorm_src 0
		.amdhsa_exception_fp_ieee_div_zero 0
		.amdhsa_exception_fp_ieee_overflow 0
		.amdhsa_exception_fp_ieee_underflow 0
		.amdhsa_exception_fp_ieee_inexact 0
		.amdhsa_exception_int_div_zero 0
	.end_amdhsa_kernel
	.section	.text._ZN5aiter19grouped_topk_kernelIN3c104HalfEDv4_fLi4ELb0ELb0ELb0EEEvPT_PKS4_PfPimiiiif,"axG",@progbits,_ZN5aiter19grouped_topk_kernelIN3c104HalfEDv4_fLi4ELb0ELb0ELb0EEEvPT_PKS4_PfPimiiiif,comdat
.Lfunc_end47:
	.size	_ZN5aiter19grouped_topk_kernelIN3c104HalfEDv4_fLi4ELb0ELb0ELb0EEEvPT_PKS4_PfPimiiiif, .Lfunc_end47-_ZN5aiter19grouped_topk_kernelIN3c104HalfEDv4_fLi4ELb0ELb0ELb0EEEvPT_PKS4_PfPimiiiif
                                        ; -- End function
	.section	.AMDGPU.csdata,"",@progbits
; Kernel info:
; codeLenInByte = 2256
; NumSgprs: 34
; NumVgprs: 32
; NumAgprs: 0
; TotalNumVgprs: 32
; ScratchSize: 0
; MemoryBound: 0
; FloatMode: 240
; IeeeMode: 1
; LDSByteSize: 0 bytes/workgroup (compile time only)
; SGPRBlocks: 4
; VGPRBlocks: 3
; NumSGPRsForWavesPerEU: 34
; NumVGPRsForWavesPerEU: 32
; AccumOffset: 32
; Occupancy: 8
; WaveLimiterHint : 0
; COMPUTE_PGM_RSRC2:SCRATCH_EN: 0
; COMPUTE_PGM_RSRC2:USER_SGPR: 6
; COMPUTE_PGM_RSRC2:TRAP_HANDLER: 0
; COMPUTE_PGM_RSRC2:TGID_X_EN: 1
; COMPUTE_PGM_RSRC2:TGID_Y_EN: 0
; COMPUTE_PGM_RSRC2:TGID_Z_EN: 0
; COMPUTE_PGM_RSRC2:TIDIG_COMP_CNT: 0
; COMPUTE_PGM_RSRC3_GFX90A:ACCUM_OFFSET: 7
; COMPUTE_PGM_RSRC3_GFX90A:TG_SPLIT: 0
	.section	.text._ZN5aiter19grouped_topk_kernelIN3c108BFloat16EDv4_fLi4ELb0ELb0ELb0EEEvPT_PKS4_PfPimiiiif,"axG",@progbits,_ZN5aiter19grouped_topk_kernelIN3c108BFloat16EDv4_fLi4ELb0ELb0ELb0EEEvPT_PKS4_PfPimiiiif,comdat
	.protected	_ZN5aiter19grouped_topk_kernelIN3c108BFloat16EDv4_fLi4ELb0ELb0ELb0EEEvPT_PKS4_PfPimiiiif ; -- Begin function _ZN5aiter19grouped_topk_kernelIN3c108BFloat16EDv4_fLi4ELb0ELb0ELb0EEEvPT_PKS4_PfPimiiiif
	.globl	_ZN5aiter19grouped_topk_kernelIN3c108BFloat16EDv4_fLi4ELb0ELb0ELb0EEEvPT_PKS4_PfPimiiiif
	.p2align	8
	.type	_ZN5aiter19grouped_topk_kernelIN3c108BFloat16EDv4_fLi4ELb0ELb0ELb0EEEvPT_PKS4_PfPimiiiif,@function
_ZN5aiter19grouped_topk_kernelIN3c108BFloat16EDv4_fLi4ELb0ELb0ELb0EEEvPT_PKS4_PfPimiiiif: ; @_ZN5aiter19grouped_topk_kernelIN3c108BFloat16EDv4_fLi4ELb0ELb0ELb0EEEvPT_PKS4_PfPimiiiif
; %bb.0:
	s_load_dwordx4 s[12:15], s[4:5], 0x28
	s_load_dwordx4 s[16:19], s[4:5], 0x10
	v_lshl_add_u32 v1, v0, 4, 0
	s_waitcnt lgkmcnt(0)
	s_ashr_i32 s0, s12, 31
	s_lshr_b32 s0, s0, 30
	s_add_i32 s0, s12, s0
	s_ashr_i32 s7, s0, 2
	v_cmp_gt_i32_e64 s[0:1], s7, v0
	s_and_saveexec_b64 s[20:21], s[0:1]
	s_cbranch_execz .LBB48_3
; %bb.1:
	s_load_dword s10, s[4:5], 0x4c
	s_load_dwordx2 s[2:3], s[4:5], 0x0
	s_mul_i32 s8, s6, s12
	s_ashr_i32 s9, s8, 31
	s_lshl_b64 s[8:9], s[8:9], 1
	s_waitcnt lgkmcnt(0)
	s_and_b32 s15, s10, 0xffff
	s_add_u32 s2, s2, s8
	v_lshlrev_b32_e32 v2, 3, v0
	s_addc_u32 s3, s3, s9
	s_mov_b32 s10, 0
	v_mov_b32_e32 v3, s3
	v_add_co_u32_e32 v2, vcc, s2, v2
	v_addc_co_u32_e32 v3, vcc, 0, v3, vcc
	s_lshl_b32 s24, s15, 3
	v_lshl_add_u32 v6, v0, 4, 0
	s_lshl_b32 s25, s15, 4
	s_mov_b64 s[22:23], 0
	s_mov_b32 s26, 0xbfb8aa3b
	s_mov_b32 s27, 0x42ce8ed0
	;; [unrolled: 1-line block ×3, first 2 shown]
	v_mov_b32_e32 v7, 0x7f800000
	v_mov_b32_e32 v8, s10
	;; [unrolled: 1-line block ×3, first 2 shown]
.LBB48_2:                               ; =>This Inner Loop Header: Depth=1
	global_load_dwordx2 v[4:5], v[2:3], off
	v_add_co_u32_e32 v2, vcc, s24, v2
	v_add_u32_e32 v9, s15, v9
	v_addc_co_u32_e32 v3, vcc, v3, v8, vcc
	v_cmp_le_i32_e32 vcc, s7, v9
	s_or_b64 s[22:23], vcc, s[22:23]
	s_waitcnt vmcnt(0)
	v_cvt_f32_u32_sdwa v10, v5 dst_sel:DWORD dst_unused:UNUSED_PAD src0_sel:WORD_1
	v_cvt_f32_u32_sdwa v5, v5 dst_sel:DWORD dst_unused:UNUSED_PAD src0_sel:WORD_0
	v_cvt_f32_u32_sdwa v11, v4 dst_sel:DWORD dst_unused:UNUSED_PAD src0_sel:WORD_1
	v_cvt_f32_u32_sdwa v4, v4 dst_sel:DWORD dst_unused:UNUSED_PAD src0_sel:WORD_0
	v_mul_f32_e32 v12, 0xbfb8aa3b, v10
	v_mul_f32_e32 v13, 0xbfb8aa3b, v5
	v_fma_f32 v16, v10, s26, -v12
	v_mul_f32_e32 v15, 0xbfb8aa3b, v4
	v_rndne_f32_e32 v17, v12
	v_fma_f32 v18, v5, s26, -v13
	v_rndne_f32_e32 v19, v13
	v_mul_f32_e32 v14, 0xbfb8aa3b, v11
	v_fma_f32 v22, v4, s26, -v15
	v_rndne_f32_e32 v23, v15
	v_fmac_f32_e32 v16, 0xb2a5705f, v10
	v_sub_f32_e32 v12, v12, v17
	v_fmac_f32_e32 v18, 0xb2a5705f, v5
	v_sub_f32_e32 v13, v13, v19
	v_fma_f32 v20, v11, s26, -v14
	v_rndne_f32_e32 v21, v14
	v_fmac_f32_e32 v22, 0xb2a5705f, v4
	v_sub_f32_e32 v15, v15, v23
	v_add_f32_e32 v12, v12, v16
	v_add_f32_e32 v13, v13, v18
	v_cvt_i32_f32_e32 v17, v17
	v_cvt_i32_f32_e32 v19, v19
	v_fmac_f32_e32 v20, 0xb2a5705f, v11
	v_sub_f32_e32 v14, v14, v21
	v_add_f32_e32 v15, v15, v22
	v_exp_f32_e32 v12, v12
	v_exp_f32_e32 v13, v13
	v_cvt_i32_f32_e32 v23, v23
	v_add_f32_e32 v14, v14, v20
	v_exp_f32_e32 v15, v15
	v_cvt_i32_f32_e32 v21, v21
	v_exp_f32_e32 v14, v14
	v_ldexp_f32 v12, v12, v17
	v_ldexp_f32 v13, v13, v19
	v_cmp_nlt_f32_e32 vcc, s27, v5
	v_cmp_nlt_f32_e64 s[10:11], s27, v10
	v_ldexp_f32 v15, v15, v23
	v_cmp_nlt_f32_e64 s[8:9], s27, v4
	v_cndmask_b32_e64 v12, 0, v12, s[10:11]
	v_cndmask_b32_e32 v13, 0, v13, vcc
	v_cmp_ngt_f32_e32 vcc, s28, v5
	v_cmp_ngt_f32_e64 s[10:11], s28, v10
	v_ldexp_f32 v14, v14, v21
	v_cmp_nlt_f32_e64 s[2:3], s27, v11
	v_cndmask_b32_e64 v15, 0, v15, s[8:9]
	v_cmp_ngt_f32_e64 s[8:9], s28, v4
	v_cndmask_b32_e64 v5, v7, v12, s[10:11]
	v_cndmask_b32_e32 v4, v7, v13, vcc
	v_cndmask_b32_e64 v14, 0, v14, s[2:3]
	v_cmp_ngt_f32_e64 s[2:3], s28, v11
	v_pk_add_f32 v[4:5], v[4:5], 1.0 op_sel_hi:[1,0]
	v_cndmask_b32_e64 v11, v7, v14, s[2:3]
	v_cndmask_b32_e64 v10, v7, v15, s[8:9]
	v_div_scale_f32 v12, s[2:3], v5, v5, 1.0
	v_pk_add_f32 v[10:11], v[10:11], 1.0 op_sel_hi:[1,0]
	v_div_scale_f32 v14, s[2:3], v4, v4, 1.0
	v_rcp_f32_e32 v20, v12
	v_div_scale_f32 v16, s[8:9], v11, v11, 1.0
	v_rcp_f32_e32 v21, v14
	;; [unrolled: 2-line block ×3, first 2 shown]
	v_rcp_f32_e32 v23, v18
	v_fma_f32 v24, -v12, v20, 1.0
	v_div_scale_f32 v13, vcc, 1.0, v5, 1.0
	v_fma_f32 v25, -v14, v21, 1.0
	v_fmac_f32_e32 v20, v24, v20
	v_div_scale_f32 v15, s[2:3], 1.0, v4, 1.0
	v_fma_f32 v26, -v16, v22, 1.0
	v_fmac_f32_e32 v21, v25, v21
	v_mul_f32_e32 v24, v13, v20
	v_div_scale_f32 v17, s[8:9], 1.0, v11, 1.0
	v_fma_f32 v27, -v18, v23, 1.0
	v_fmac_f32_e32 v22, v26, v22
	v_mul_f32_e32 v25, v15, v21
	v_fma_f32 v28, -v12, v24, v13
	v_div_scale_f32 v19, s[10:11], 1.0, v10, 1.0
	v_fmac_f32_e32 v23, v27, v23
	v_mul_f32_e32 v26, v17, v22
	v_fma_f32 v29, -v14, v25, v15
	v_fmac_f32_e32 v24, v28, v20
	v_mul_f32_e32 v27, v19, v23
	v_fma_f32 v30, -v16, v26, v17
	v_fmac_f32_e32 v25, v29, v21
	v_fma_f32 v12, -v12, v24, v13
	v_fma_f32 v31, -v18, v27, v19
	v_fmac_f32_e32 v26, v30, v22
	v_fma_f32 v14, -v14, v25, v15
	v_div_fmas_f32 v12, v12, v20, v24
	s_mov_b64 vcc, s[2:3]
	v_fmac_f32_e32 v27, v31, v23
	v_fma_f32 v15, -v16, v26, v17
	v_div_fixup_f32 v13, v12, v5, 1.0
	v_div_fmas_f32 v5, v14, v21, v25
	s_mov_b64 vcc, s[8:9]
	v_fma_f32 v16, -v18, v27, v19
	v_div_fixup_f32 v12, v5, v4, 1.0
	v_div_fmas_f32 v4, v15, v22, v26
	s_mov_b64 vcc, s[10:11]
	v_div_fixup_f32 v11, v4, v11, 1.0
	v_div_fmas_f32 v4, v16, v23, v27
	v_div_fixup_f32 v10, v4, v10, 1.0
	ds_write_b128 v6, v[10:13]
	v_add_u32_e32 v6, s25, v6
	s_andn2_b64 exec, exec, s[22:23]
	s_cbranch_execnz .LBB48_2
.LBB48_3:
	s_or_b64 exec, exec, s[20:21]
	s_lshl_b32 s2, s12, 2
	s_add_i32 s15, s2, 0
	v_cmp_gt_u32_e32 vcc, 4, v0
	s_waitcnt lgkmcnt(0)
	s_barrier
	s_and_saveexec_b64 s[8:9], vcc
	s_cbranch_execz .LBB48_10
; %bb.4:
	s_load_dword s2, s[4:5], 0x4c
	v_mul_lo_u32 v2, v0, s7
	v_lshl_add_u32 v2, v2, 2, 0
	s_waitcnt lgkmcnt(0)
	s_and_b32 s22, s2, 0xffff
	s_cmp_gt_i32 s12, 3
	s_cselect_b64 s[2:3], -1, 0
	s_mul_i32 s10, s7, s22
	v_cndmask_b32_e64 v3, 0, 1, s[2:3]
	s_lshl_b32 s12, s10, 2
	s_mov_b64 s[10:11], 0
	v_cmp_ne_u32_e64 s[2:3], 1, v3
	v_mov_b32_e32 v3, v0
	s_branch .LBB48_6
.LBB48_5:                               ;   in Loop: Header=BB48_6 Depth=1
	v_lshl_add_u32 v5, v3, 2, s15
	v_add_u32_e32 v3, s22, v3
	v_cmp_lt_u32_e32 vcc, 3, v3
	s_or_b64 s[10:11], vcc, s[10:11]
	v_add_u32_e32 v2, s12, v2
	ds_write_b32 v5, v4
	s_andn2_b64 exec, exec, s[10:11]
	s_cbranch_execz .LBB48_10
.LBB48_6:                               ; =>This Loop Header: Depth=1
                                        ;     Child Loop BB48_8 Depth 2
	s_and_b64 vcc, exec, s[2:3]
	v_mov_b32_e32 v4, 0xff800000
	s_cbranch_vccnz .LBB48_5
; %bb.7:                                ;   in Loop: Header=BB48_6 Depth=1
	v_mul_lo_u32 v5, v3, s7
	v_add_u32_e32 v6, s7, v5
	s_mov_b64 s[20:21], 0
	v_mov_b32_e32 v4, 0xff800000
	v_mov_b32_e32 v7, v2
.LBB48_8:                               ;   Parent Loop BB48_6 Depth=1
                                        ; =>  This Inner Loop Header: Depth=2
	ds_read_b32 v8, v7
	v_add_u32_e32 v5, 1, v5
	v_cmp_ge_i32_e32 vcc, v5, v6
	s_or_b64 s[20:21], vcc, s[20:21]
	v_add_u32_e32 v7, 4, v7
	s_waitcnt lgkmcnt(0)
	v_cmp_gt_f32_e32 vcc, v8, v4
	v_cndmask_b32_e32 v4, v4, v8, vcc
	s_andn2_b64 exec, exec, s[20:21]
	s_cbranch_execnz .LBB48_8
; %bb.9:                                ;   in Loop: Header=BB48_6 Depth=1
	s_or_b64 exec, exec, s[20:21]
	s_branch .LBB48_5
.LBB48_10:
	s_or_b64 exec, exec, s[8:9]
	s_cmp_lt_i32 s14, 1
	s_waitcnt lgkmcnt(0)
	s_barrier
	s_cbranch_scc1 .LBB48_13
; %bb.11:
	v_mov_b32_e32 v2, s15
	s_mov_b32 s2, 0xff800000
	v_mov_b32_e32 v3, 0xff800000
.LBB48_12:                              ; =>This Inner Loop Header: Depth=1
	ds_read2_b32 v[4:5], v2 offset1:1
	ds_read2_b32 v[6:7], v2 offset0:2 offset1:3
	s_waitcnt lgkmcnt(1)
	v_cmp_nlg_f32_e32 vcc, s2, v4
	v_cndmask_b32_e64 v8, 0, 1, vcc
	v_cmp_lg_f32_e32 vcc, s2, v4
	v_cndmask_b32_e32 v4, v3, v4, vcc
	v_readfirstlane_b32 s3, v8
	v_cmp_gt_f32_e32 vcc, v5, v4
	s_lshl_b32 s3, s3, 2
	v_cndmask_b32_e32 v4, v4, v5, vcc
	s_and_b64 s[8:9], vcc, exec
	s_waitcnt lgkmcnt(0)
	v_cmp_gt_f32_e32 vcc, v6, v4
	v_cndmask_b32_e32 v4, v4, v6, vcc
	s_cselect_b32 s3, 1, s3
	s_and_b64 s[8:9], vcc, exec
	v_cmp_ngt_f32_e32 vcc, v7, v4
	s_cselect_b32 s3, 2, s3
	s_and_b64 s[8:9], vcc, exec
	s_cselect_b32 s3, s3, 3
	s_lshl_b32 s3, s3, 2
	s_add_i32 s3, s15, s3
	s_add_i32 s14, s14, -1
	v_mov_b32_e32 v4, s3
	s_cmp_lg_u32 s14, 0
	ds_write_b32 v4, v3
	s_cbranch_scc1 .LBB48_12
.LBB48_13:
	v_lshlrev_b32_e32 v6, 2, v0
	s_and_saveexec_b64 s[2:3], s[0:1]
	s_cbranch_execz .LBB48_18
; %bb.14:
	s_abs_i32 s12, s7
	v_cvt_f32_u32_e32 v2, s12
	s_load_dword s10, s[4:5], 0x4c
	s_sub_i32 s11, 0, s12
	s_ashr_i32 s14, s7, 31
	v_rcp_iflag_f32_e32 v2, v2
	v_lshlrev_b32_e32 v7, 2, v0
	s_waitcnt lgkmcnt(0)
	s_and_b32 s20, s10, 0xffff
	v_lshl_add_u32 v8, v0, 4, 0
	v_mul_f32_e32 v2, 0x4f7ffffe, v2
	v_cvt_u32_f32_e32 v2, v2
	s_mov_b64 s[8:9], 0
	s_lshl_b32 s21, s20, 2
	s_lshl_b32 s22, s20, 4
	v_mul_lo_u32 v3, s11, v2
	v_mul_hi_u32 v3, v2, v3
	v_add_u32_e32 v9, v2, v3
	s_mov_b32 s23, 0xff800000
	v_mov_b32_e32 v2, 0xff800000
	v_mov_b32_e32 v10, v0
	s_branch .LBB48_16
.LBB48_15:                              ;   in Loop: Header=BB48_16 Depth=1
	s_or_b64 exec, exec, s[10:11]
	v_add_u32_e32 v10, s20, v10
	v_cmp_le_i32_e32 vcc, s7, v10
	v_add_u32_e32 v7, s21, v7
	s_or_b64 s[8:9], vcc, s[8:9]
	v_add_u32_e32 v8, s22, v8
	s_andn2_b64 exec, exec, s[8:9]
	s_cbranch_execz .LBB48_18
.LBB48_16:                              ; =>This Inner Loop Header: Depth=1
	v_mul_hi_u32 v3, v7, v9
	v_mul_lo_u32 v4, v3, s12
	v_sub_u32_e32 v4, v7, v4
	v_add_u32_e32 v5, 1, v3
	v_cmp_le_u32_e32 vcc, s12, v4
	v_cndmask_b32_e32 v3, v3, v5, vcc
	v_subrev_u32_e32 v5, s12, v4
	v_cndmask_b32_e32 v4, v4, v5, vcc
	v_add_u32_e32 v5, 1, v3
	v_cmp_le_u32_e32 vcc, s12, v4
	v_cndmask_b32_e32 v3, v3, v5, vcc
	v_xor_b32_e32 v3, s14, v3
	v_subrev_u32_e32 v3, s14, v3
	v_lshl_add_u32 v3, v3, 2, s15
	ds_read_b32 v3, v3
	s_waitcnt lgkmcnt(0)
	v_cmp_neq_f32_e32 vcc, s23, v3
	s_and_saveexec_b64 s[10:11], vcc
	s_cbranch_execz .LBB48_15
; %bb.17:                               ;   in Loop: Header=BB48_16 Depth=1
	v_mov_b32_e32 v3, v2
	v_mov_b32_e32 v4, v2
	;; [unrolled: 1-line block ×3, first 2 shown]
	ds_write_b128 v8, v[2:5]
	s_branch .LBB48_15
.LBB48_18:
	s_or_b64 exec, exec, s[2:3]
	s_cmp_lt_i32 s13, 1
	s_waitcnt lgkmcnt(0)
	s_barrier
	s_cbranch_scc1 .LBB48_25
; %bb.19:
	s_add_u32 s2, s4, 64
	s_addc_u32 s3, s5, 0
	s_mov_b32 s12, 0
	v_mov_b32_e32 v4, 0xff800000
                                        ; implicit-def: $vgpr3
                                        ; implicit-def: $vgpr2
	s_branch .LBB48_21
.LBB48_20:                              ;   in Loop: Header=BB48_21 Depth=1
	s_or_b64 exec, exec, s[8:9]
	v_mov_b32_dpp v9, v7 quad_perm:[1,0,3,2] row_mask:0xf bank_mask:0xf
	v_cmp_lt_f32_e32 vcc, v7, v9
	v_cndmask_b32_e32 v7, v7, v9, vcc
	v_mov_b32_dpp v8, v5 quad_perm:[1,0,3,2] row_mask:0xf bank_mask:0xf
	v_cndmask_b32_e32 v5, v5, v8, vcc
	v_mov_b32_dpp v9, v7 quad_perm:[2,3,0,1] row_mask:0xf bank_mask:0xf
	v_cmp_gt_f32_e32 vcc, v9, v7
	v_cndmask_b32_e32 v7, v7, v9, vcc
	v_mov_b32_dpp v8, v5 quad_perm:[2,3,0,1] row_mask:0xf bank_mask:0xf
	v_cndmask_b32_e32 v5, v5, v8, vcc
	v_mov_b32_dpp v9, v7 row_half_mirror row_mask:0xf bank_mask:0xf
	v_cmp_gt_f32_e32 vcc, v9, v7
	v_cndmask_b32_e32 v7, v7, v9, vcc
	v_mov_b32_dpp v8, v5 row_half_mirror row_mask:0xf bank_mask:0xf
	v_cndmask_b32_e32 v5, v5, v8, vcc
	v_mov_b32_dpp v9, v7 row_mirror row_mask:0xf bank_mask:0xf
	v_cmp_gt_f32_e32 vcc, v9, v7
	v_cndmask_b32_e32 v7, v7, v9, vcc
	v_mov_b32_dpp v8, v5 row_mirror row_mask:0xf bank_mask:0xf
	v_cndmask_b32_e32 v5, v5, v8, vcc
	v_mov_b32_dpp v9, v7 row_bcast:15 row_mask:0xf bank_mask:0xf
	v_cmp_gt_f32_e32 vcc, v9, v7
	v_mov_b32_dpp v8, v5 row_bcast:15 row_mask:0xf bank_mask:0xf
	v_cndmask_b32_e32 v7, v7, v9, vcc
	v_cndmask_b32_e32 v5, v5, v8, vcc
	s_nop 0
	v_mov_b32_dpp v9, v7 row_bcast:31 row_mask:0xf bank_mask:0xf
	v_mov_b32_dpp v8, v5 row_bcast:31 row_mask:0xf bank_mask:0xf
	v_cmp_gt_f32_e32 vcc, v9, v7
	v_cndmask_b32_e32 v5, v5, v8, vcc
	v_readlane_b32 s9, v5, 63
	s_lshl_b32 s10, s9, 2
	s_add_i32 s10, s10, 0
	v_cndmask_b32_e32 v7, v7, v9, vcc
	v_mov_b32_e32 v5, s10
	v_readlane_b32 s8, v7, 63
	ds_write_b32 v5, v4
	v_mov_b32_e32 v5, s9
	v_cmp_eq_u32_e32 vcc, s12, v0
	v_cndmask_b32_e32 v2, v2, v5, vcc
	v_mov_b32_e32 v5, s8
	s_add_i32 s12, s12, 1
	s_cmp_eq_u32 s12, s13
	v_cndmask_b32_e32 v3, v3, v5, vcc
	s_cbranch_scc1 .LBB48_26
.LBB48_21:                              ; =>This Loop Header: Depth=1
                                        ;     Child Loop BB48_23 Depth 2
	v_mov_b32_e32 v5, s12
	v_mov_b32_e32 v7, 0xff800000
	s_and_saveexec_b64 s[8:9], s[0:1]
	s_cbranch_execz .LBB48_20
; %bb.22:                               ;   in Loop: Header=BB48_21 Depth=1
	s_load_dword s14, s[2:3], 0xc
	s_mov_b64 s[10:11], 0
	v_mov_b32_e32 v5, s12
	v_mov_b32_e32 v7, 0xff800000
	;; [unrolled: 1-line block ×3, first 2 shown]
	s_waitcnt lgkmcnt(0)
	s_and_b32 s14, s14, 0xffff
	s_lshl_b32 s15, s14, 2
	s_lshl_b32 s20, s14, 4
	v_mov_b32_e32 v9, v6
	v_mov_b32_e32 v10, v0
.LBB48_23:                              ;   Parent Loop BB48_21 Depth=1
                                        ; =>  This Inner Loop Header: Depth=2
	ds_read_b128 v[12:15], v8
	v_add_u32_e32 v10, s14, v10
	v_cmp_le_i32_e32 vcc, s7, v10
	s_or_b64 s[10:11], vcc, s[10:11]
	v_add_u32_e32 v11, 1, v9
	s_waitcnt lgkmcnt(0)
	v_cmp_gt_f32_e32 vcc, v12, v7
	v_cndmask_b32_e32 v7, v7, v12, vcc
	v_cndmask_b32_e32 v5, v5, v9, vcc
	v_cmp_gt_f32_e32 vcc, v13, v7
	v_cndmask_b32_e32 v7, v7, v13, vcc
	v_cndmask_b32_e32 v5, v5, v11, vcc
	v_cmp_gt_f32_e32 vcc, v14, v7
	v_add_u32_e32 v16, 2, v9
	v_cndmask_b32_e32 v7, v7, v14, vcc
	v_add_u32_e32 v17, 3, v9
	v_cndmask_b32_e32 v5, v5, v16, vcc
	v_cmp_gt_f32_e32 vcc, v15, v7
	v_add_u32_e32 v8, s20, v8
	v_add_u32_e32 v9, s15, v9
	v_cndmask_b32_e32 v7, v7, v15, vcc
	v_cndmask_b32_e32 v5, v5, v17, vcc
	s_andn2_b64 exec, exec, s[10:11]
	s_cbranch_execnz .LBB48_23
; %bb.24:                               ;   in Loop: Header=BB48_21 Depth=1
	s_or_b64 exec, exec, s[10:11]
	s_branch .LBB48_20
.LBB48_25:
                                        ; implicit-def: $vgpr3
                                        ; implicit-def: $vgpr2
.LBB48_26:
	v_cmp_gt_i32_e32 vcc, s13, v0
	s_and_saveexec_b64 s[0:1], vcc
	s_cbranch_execz .LBB48_29
; %bb.27:
	s_load_dword s2, s[4:5], 0x38
	s_load_dwordx2 s[0:1], s[4:5], 0x20
	s_ashr_i32 s3, s6, 31
	s_load_dword s4, s[4:5], 0x4c
	v_mov_b32_e32 v4, s17
	s_waitcnt lgkmcnt(0)
	v_mul_f32_e32 v1, s2, v3
	s_mul_i32 s1, s6, s1
	s_mul_hi_u32 s2, s6, s0
	s_add_i32 s1, s2, s1
	s_mul_i32 s3, s3, s0
	s_add_i32 s5, s1, s3
	s_mul_i32 s2, s6, s0
	s_and_b32 s3, s4, 0xffff
	s_mov_b64 s[0:1], 0
	v_mov_b32_e32 v3, s5
	v_mov_b32_e32 v5, s19
.LBB48_28:                              ; =>This Inner Loop Header: Depth=1
	v_ashrrev_i32_e32 v7, 31, v0
	v_add_co_u32_e32 v6, vcc, s2, v0
	v_addc_co_u32_e32 v7, vcc, v3, v7, vcc
	v_add_u32_e32 v0, s3, v0
	v_cmp_le_i32_e32 vcc, s13, v0
	v_lshlrev_b64 v[6:7], 2, v[6:7]
	s_or_b64 s[0:1], vcc, s[0:1]
	v_add_co_u32_e32 v8, vcc, s16, v6
	v_addc_co_u32_e32 v9, vcc, v4, v7, vcc
	v_add_co_u32_e32 v6, vcc, s18, v6
	v_addc_co_u32_e32 v7, vcc, v5, v7, vcc
	global_store_dword v[8:9], v1, off
	global_store_dword v[6:7], v2, off
	s_andn2_b64 exec, exec, s[0:1]
	s_cbranch_execnz .LBB48_28
.LBB48_29:
	s_endpgm
	.section	.rodata,"a",@progbits
	.p2align	6, 0x0
	.amdhsa_kernel _ZN5aiter19grouped_topk_kernelIN3c108BFloat16EDv4_fLi4ELb0ELb0ELb0EEEvPT_PKS4_PfPimiiiif
		.amdhsa_group_segment_fixed_size 0
		.amdhsa_private_segment_fixed_size 0
		.amdhsa_kernarg_size 320
		.amdhsa_user_sgpr_count 6
		.amdhsa_user_sgpr_private_segment_buffer 1
		.amdhsa_user_sgpr_dispatch_ptr 0
		.amdhsa_user_sgpr_queue_ptr 0
		.amdhsa_user_sgpr_kernarg_segment_ptr 1
		.amdhsa_user_sgpr_dispatch_id 0
		.amdhsa_user_sgpr_flat_scratch_init 0
		.amdhsa_user_sgpr_kernarg_preload_length 0
		.amdhsa_user_sgpr_kernarg_preload_offset 0
		.amdhsa_user_sgpr_private_segment_size 0
		.amdhsa_uses_dynamic_stack 0
		.amdhsa_system_sgpr_private_segment_wavefront_offset 0
		.amdhsa_system_sgpr_workgroup_id_x 1
		.amdhsa_system_sgpr_workgroup_id_y 0
		.amdhsa_system_sgpr_workgroup_id_z 0
		.amdhsa_system_sgpr_workgroup_info 0
		.amdhsa_system_vgpr_workitem_id 0
		.amdhsa_next_free_vgpr 32
		.amdhsa_next_free_sgpr 29
		.amdhsa_accum_offset 32
		.amdhsa_reserve_vcc 1
		.amdhsa_reserve_flat_scratch 0
		.amdhsa_float_round_mode_32 0
		.amdhsa_float_round_mode_16_64 0
		.amdhsa_float_denorm_mode_32 3
		.amdhsa_float_denorm_mode_16_64 3
		.amdhsa_dx10_clamp 1
		.amdhsa_ieee_mode 1
		.amdhsa_fp16_overflow 0
		.amdhsa_tg_split 0
		.amdhsa_exception_fp_ieee_invalid_op 0
		.amdhsa_exception_fp_denorm_src 0
		.amdhsa_exception_fp_ieee_div_zero 0
		.amdhsa_exception_fp_ieee_overflow 0
		.amdhsa_exception_fp_ieee_underflow 0
		.amdhsa_exception_fp_ieee_inexact 0
		.amdhsa_exception_int_div_zero 0
	.end_amdhsa_kernel
	.section	.text._ZN5aiter19grouped_topk_kernelIN3c108BFloat16EDv4_fLi4ELb0ELb0ELb0EEEvPT_PKS4_PfPimiiiif,"axG",@progbits,_ZN5aiter19grouped_topk_kernelIN3c108BFloat16EDv4_fLi4ELb0ELb0ELb0EEEvPT_PKS4_PfPimiiiif,comdat
.Lfunc_end48:
	.size	_ZN5aiter19grouped_topk_kernelIN3c108BFloat16EDv4_fLi4ELb0ELb0ELb0EEEvPT_PKS4_PfPimiiiif, .Lfunc_end48-_ZN5aiter19grouped_topk_kernelIN3c108BFloat16EDv4_fLi4ELb0ELb0ELb0EEEvPT_PKS4_PfPimiiiif
                                        ; -- End function
	.section	.AMDGPU.csdata,"",@progbits
; Kernel info:
; codeLenInByte = 2248
; NumSgprs: 33
; NumVgprs: 32
; NumAgprs: 0
; TotalNumVgprs: 32
; ScratchSize: 0
; MemoryBound: 0
; FloatMode: 240
; IeeeMode: 1
; LDSByteSize: 0 bytes/workgroup (compile time only)
; SGPRBlocks: 4
; VGPRBlocks: 3
; NumSGPRsForWavesPerEU: 33
; NumVGPRsForWavesPerEU: 32
; AccumOffset: 32
; Occupancy: 8
; WaveLimiterHint : 0
; COMPUTE_PGM_RSRC2:SCRATCH_EN: 0
; COMPUTE_PGM_RSRC2:USER_SGPR: 6
; COMPUTE_PGM_RSRC2:TRAP_HANDLER: 0
; COMPUTE_PGM_RSRC2:TGID_X_EN: 1
; COMPUTE_PGM_RSRC2:TGID_Y_EN: 0
; COMPUTE_PGM_RSRC2:TGID_Z_EN: 0
; COMPUTE_PGM_RSRC2:TIDIG_COMP_CNT: 0
; COMPUTE_PGM_RSRC3_GFX90A:ACCUM_OFFSET: 7
; COMPUTE_PGM_RSRC3_GFX90A:TG_SPLIT: 0
	.section	.text._ZN5aiter28grouped_topk_opt_sort_kernelIfDv4_fLi2ELb1ELb1ELb0EEEvPT_PKS2_PfPimiiiif,"axG",@progbits,_ZN5aiter28grouped_topk_opt_sort_kernelIfDv4_fLi2ELb1ELb1ELb0EEEvPT_PKS2_PfPimiiiif,comdat
	.protected	_ZN5aiter28grouped_topk_opt_sort_kernelIfDv4_fLi2ELb1ELb1ELb0EEEvPT_PKS2_PfPimiiiif ; -- Begin function _ZN5aiter28grouped_topk_opt_sort_kernelIfDv4_fLi2ELb1ELb1ELb0EEEvPT_PKS2_PfPimiiiif
	.globl	_ZN5aiter28grouped_topk_opt_sort_kernelIfDv4_fLi2ELb1ELb1ELb0EEEvPT_PKS2_PfPimiiiif
	.p2align	8
	.type	_ZN5aiter28grouped_topk_opt_sort_kernelIfDv4_fLi2ELb1ELb1ELb0EEEvPT_PKS2_PfPimiiiif,@function
_ZN5aiter28grouped_topk_opt_sort_kernelIfDv4_fLi2ELb1ELb1ELb0EEEvPT_PKS2_PfPimiiiif: ; @_ZN5aiter28grouped_topk_opt_sort_kernelIfDv4_fLi2ELb1ELb1ELb0EEEvPT_PKS2_PfPimiiiif
; %bb.0:
	s_load_dword s7, s[4:5], 0x28
	s_load_dwordx4 s[0:3], s[4:5], 0x0
	s_load_dword s8, s[4:5], 0x30
	v_lshlrev_b32_e32 v1, 4, v0
	v_mbcnt_lo_u32_b32 v10, -1, 0
	s_waitcnt lgkmcnt(0)
	s_mul_i32 s4, s6, s7
	s_ashr_i32 s5, s4, 31
	s_lshl_b64 s[4:5], s[4:5], 2
	s_add_u32 s0, s0, s4
	s_addc_u32 s1, s1, s5
	global_load_dwordx4 v[6:9], v1, s[0:1]
	global_load_dwordx4 v[2:5], v1, s[2:3]
	v_mbcnt_hi_u32_b32 v10, -1, v10
	v_lshlrev_b32_e32 v11, 5, v0
	v_and_b32_e32 v18, 64, v10
	s_mov_b32 s0, 0x652b82fe
	v_and_or_b32 v10, v11, 32, v18
	s_mov_b32 s1, 0xbff71547
	v_lshlrev_b32_e32 v19, 2, v10
	s_mov_b32 s4, 0xc2fc0000
	v_mov_b32_e32 v14, 0x42800000
	v_mov_b32_e32 v15, 0x1f800000
	;; [unrolled: 1-line block ×3, first 2 shown]
	s_mov_b32 s6, 0xff800000
	v_mov_b32_e32 v17, 0x7f800000
	v_add_u32_e32 v1, 0, v1
	s_waitcnt vmcnt(1)
	v_cvt_f64_f32_e32 v[10:11], v6
	v_cvt_f64_f32_e32 v[6:7], v7
	v_mul_f64 v[10:11], v[10:11], s[0:1]
	v_cvt_f64_f32_e32 v[12:13], v8
	v_cvt_f64_f32_e32 v[8:9], v9
	v_mul_f64 v[6:7], v[6:7], s[0:1]
	v_cvt_f32_f64_e32 v10, v[10:11]
	v_mul_f64 v[12:13], v[12:13], s[0:1]
	v_mul_f64 v[8:9], v[8:9], s[0:1]
	v_cvt_f32_f64_e32 v6, v[6:7]
	v_cmp_gt_f32_e32 vcc, s4, v10
	v_cvt_f32_f64_e32 v7, v[12:13]
	v_cvt_f32_f64_e32 v8, v[8:9]
	v_cndmask_b32_e32 v9, 0, v14, vcc
	v_cmp_gt_f32_e64 s[0:1], s4, v6
	v_cndmask_b32_e64 v11, 0, v14, s[0:1]
	v_cmp_gt_f32_e64 s[2:3], s4, v7
	v_add_f32_e32 v9, v10, v9
	v_cndmask_b32_e64 v12, 0, v14, s[2:3]
	v_cmp_gt_f32_e64 s[4:5], s4, v8
	v_add_f32_e32 v6, v6, v11
	v_exp_f32_e32 v9, v9
	v_cndmask_b32_e64 v13, 0, v14, s[4:5]
	v_add_f32_e32 v7, v7, v12
	v_exp_f32_e32 v6, v6
	v_add_f32_e32 v8, v8, v13
	v_exp_f32_e32 v7, v7
	v_cndmask_b32_e32 v10, 1.0, v15, vcc
	v_exp_f32_e32 v8, v8
	v_cndmask_b32_e64 v11, 1.0, v15, s[0:1]
	v_fma_f32 v9, v9, v10, 1.0
	v_cndmask_b32_e64 v12, 1.0, v15, s[2:3]
	v_fma_f32 v6, v6, v11, 1.0
	v_rcp_f32_e32 v9, v9
	v_cndmask_b32_e64 v13, 1.0, v15, s[4:5]
	v_fma_f32 v7, v7, v12, 1.0
	v_rcp_f32_e32 v6, v6
	v_fma_f32 v8, v8, v13, 1.0
	v_rcp_f32_e32 v7, v7
	v_rcp_f32_e32 v8, v8
	s_waitcnt vmcnt(0)
	v_add_f32_e32 v2, v2, v9
	v_add_f32_e32 v3, v3, v6
	v_cmp_o_f32_e32 vcc, v2, v2
	v_add_f32_e32 v4, v4, v7
	v_cndmask_b32_e32 v2, v16, v2, vcc
	v_cmp_o_f32_e32 vcc, v3, v3
	v_add_f32_e32 v5, v5, v8
	v_cndmask_b32_e32 v3, v16, v3, vcc
	v_cmp_o_f32_e32 vcc, v4, v4
	v_cndmask_b32_e32 v4, v16, v4, vcc
	v_cmp_o_f32_e32 vcc, v5, v5
	v_max_f32_e32 v7, v2, v2
	v_max_f32_e32 v8, v3, v3
	v_cndmask_b32_e32 v5, v16, v5, vcc
	v_med3_f32 v6, v3, v2, s6
	v_max_f32_e32 v9, v4, v4
	v_max_f32_e32 v7, v8, v7
	;; [unrolled: 1-line block ×3, first 2 shown]
	v_med3_f32 v6, v4, v7, v6
	v_max_f32_e32 v7, v9, v7
	v_med3_f32 v6, v5, v7, v6
	v_max_f32_e32 v7, v10, v7
	v_add_f32_e32 v6, v6, v7
	ds_bpermute_b32 v6, v19, v6
	v_and_b32_e32 v7, 1, v0
	v_cmp_eq_u32_e32 vcc, 0, v7
	v_cndmask_b32_e32 v7, v16, v17, vcc
	v_lshlrev_b32_e32 v8, 2, v18
	s_waitcnt lgkmcnt(0)
	v_mov_b32_dpp v9, v6 quad_perm:[1,0,3,2] row_mask:0xf bank_mask:0xf bound_ctrl:1
	v_med3_f32 v7, v6, v9, v7
	ds_bpermute_b32 v7, v8, v7 offset:12
	ds_write_b128 v1, v[2:5]
	s_waitcnt lgkmcnt(1)
	v_cmp_gt_f32_e32 vcc, v6, v7
	v_cndmask_b32_e64 v1, 0, 1, vcc
	v_cmp_eq_f32_e64 s[0:1], v6, v7
	v_cndmask_b32_e64 v2, 0, 1, s[0:1]
	v_mov_b32_dpp v1, v1 row_shr:1 row_mask:0xf bank_mask:0xf bound_ctrl:1
	v_addc_co_u32_e32 v1, vcc, 0, v1, vcc
	v_readlane_b32 s4, v1, 1
	v_mov_b32_dpp v2, v2 row_shr:1 row_mask:0xf bank_mask:0xf bound_ctrl:1
	v_mov_b32_e32 v3, s4
	v_addc_co_u32_e64 v2, vcc, v2, v3, s[0:1]
	v_cndmask_b32_e64 v1, v1, v2, s[0:1]
	v_cmp_ge_f32_e64 s[2:3], v6, v7
	v_cmp_ge_i32_e32 vcc, s8, v1
	s_and_b64 s[0:1], s[2:3], vcc
	v_cmp_gt_u32_e32 vcc, 2, v0
	s_and_b64 s[2:3], vcc, s[0:1]
	s_and_saveexec_b64 s[0:1], s[2:3]
	s_cbranch_execz .LBB49_2
; %bb.1:
	s_lshl_b32 s2, s7, 2
	s_add_i32 s2, s2, 0
	v_lshl_add_u32 v1, v1, 2, s2
	ds_write_b32 v1, v0 offset:4
.LBB49_2:
	s_or_b64 exec, exec, s[0:1]
	s_waitcnt lgkmcnt(0)
	s_barrier
	s_endpgm
	.section	.rodata,"a",@progbits
	.p2align	6, 0x0
	.amdhsa_kernel _ZN5aiter28grouped_topk_opt_sort_kernelIfDv4_fLi2ELb1ELb1ELb0EEEvPT_PKS2_PfPimiiiif
		.amdhsa_group_segment_fixed_size 0
		.amdhsa_private_segment_fixed_size 0
		.amdhsa_kernarg_size 60
		.amdhsa_user_sgpr_count 6
		.amdhsa_user_sgpr_private_segment_buffer 1
		.amdhsa_user_sgpr_dispatch_ptr 0
		.amdhsa_user_sgpr_queue_ptr 0
		.amdhsa_user_sgpr_kernarg_segment_ptr 1
		.amdhsa_user_sgpr_dispatch_id 0
		.amdhsa_user_sgpr_flat_scratch_init 0
		.amdhsa_user_sgpr_kernarg_preload_length 0
		.amdhsa_user_sgpr_kernarg_preload_offset 0
		.amdhsa_user_sgpr_private_segment_size 0
		.amdhsa_uses_dynamic_stack 0
		.amdhsa_system_sgpr_private_segment_wavefront_offset 0
		.amdhsa_system_sgpr_workgroup_id_x 1
		.amdhsa_system_sgpr_workgroup_id_y 0
		.amdhsa_system_sgpr_workgroup_id_z 0
		.amdhsa_system_sgpr_workgroup_info 0
		.amdhsa_system_vgpr_workitem_id 0
		.amdhsa_next_free_vgpr 20
		.amdhsa_next_free_sgpr 9
		.amdhsa_accum_offset 20
		.amdhsa_reserve_vcc 1
		.amdhsa_reserve_flat_scratch 0
		.amdhsa_float_round_mode_32 0
		.amdhsa_float_round_mode_16_64 0
		.amdhsa_float_denorm_mode_32 3
		.amdhsa_float_denorm_mode_16_64 3
		.amdhsa_dx10_clamp 1
		.amdhsa_ieee_mode 1
		.amdhsa_fp16_overflow 0
		.amdhsa_tg_split 0
		.amdhsa_exception_fp_ieee_invalid_op 0
		.amdhsa_exception_fp_denorm_src 0
		.amdhsa_exception_fp_ieee_div_zero 0
		.amdhsa_exception_fp_ieee_overflow 0
		.amdhsa_exception_fp_ieee_underflow 0
		.amdhsa_exception_fp_ieee_inexact 0
		.amdhsa_exception_int_div_zero 0
	.end_amdhsa_kernel
	.section	.text._ZN5aiter28grouped_topk_opt_sort_kernelIfDv4_fLi2ELb1ELb1ELb0EEEvPT_PKS2_PfPimiiiif,"axG",@progbits,_ZN5aiter28grouped_topk_opt_sort_kernelIfDv4_fLi2ELb1ELb1ELb0EEEvPT_PKS2_PfPimiiiif,comdat
.Lfunc_end49:
	.size	_ZN5aiter28grouped_topk_opt_sort_kernelIfDv4_fLi2ELb1ELb1ELb0EEEvPT_PKS2_PfPimiiiif, .Lfunc_end49-_ZN5aiter28grouped_topk_opt_sort_kernelIfDv4_fLi2ELb1ELb1ELb0EEEvPT_PKS2_PfPimiiiif
                                        ; -- End function
	.section	.AMDGPU.csdata,"",@progbits
; Kernel info:
; codeLenInByte = 724
; NumSgprs: 13
; NumVgprs: 20
; NumAgprs: 0
; TotalNumVgprs: 20
; ScratchSize: 0
; MemoryBound: 0
; FloatMode: 240
; IeeeMode: 1
; LDSByteSize: 0 bytes/workgroup (compile time only)
; SGPRBlocks: 1
; VGPRBlocks: 2
; NumSGPRsForWavesPerEU: 13
; NumVGPRsForWavesPerEU: 20
; AccumOffset: 20
; Occupancy: 8
; WaveLimiterHint : 0
; COMPUTE_PGM_RSRC2:SCRATCH_EN: 0
; COMPUTE_PGM_RSRC2:USER_SGPR: 6
; COMPUTE_PGM_RSRC2:TRAP_HANDLER: 0
; COMPUTE_PGM_RSRC2:TGID_X_EN: 1
; COMPUTE_PGM_RSRC2:TGID_Y_EN: 0
; COMPUTE_PGM_RSRC2:TGID_Z_EN: 0
; COMPUTE_PGM_RSRC2:TIDIG_COMP_CNT: 0
; COMPUTE_PGM_RSRC3_GFX90A:ACCUM_OFFSET: 4
; COMPUTE_PGM_RSRC3_GFX90A:TG_SPLIT: 0
	.section	.text._ZN5aiter28grouped_topk_opt_sort_kernelIN3c104HalfEDv4_fLi2ELb1ELb1ELb0EEEvPT_PKS4_PfPimiiiif,"axG",@progbits,_ZN5aiter28grouped_topk_opt_sort_kernelIN3c104HalfEDv4_fLi2ELb1ELb1ELb0EEEvPT_PKS4_PfPimiiiif,comdat
	.protected	_ZN5aiter28grouped_topk_opt_sort_kernelIN3c104HalfEDv4_fLi2ELb1ELb1ELb0EEEvPT_PKS4_PfPimiiiif ; -- Begin function _ZN5aiter28grouped_topk_opt_sort_kernelIN3c104HalfEDv4_fLi2ELb1ELb1ELb0EEEvPT_PKS4_PfPimiiiif
	.globl	_ZN5aiter28grouped_topk_opt_sort_kernelIN3c104HalfEDv4_fLi2ELb1ELb1ELb0EEEvPT_PKS4_PfPimiiiif
	.p2align	8
	.type	_ZN5aiter28grouped_topk_opt_sort_kernelIN3c104HalfEDv4_fLi2ELb1ELb1ELb0EEEvPT_PKS4_PfPimiiiif,@function
_ZN5aiter28grouped_topk_opt_sort_kernelIN3c104HalfEDv4_fLi2ELb1ELb1ELb0EEEvPT_PKS4_PfPimiiiif: ; @_ZN5aiter28grouped_topk_opt_sort_kernelIN3c104HalfEDv4_fLi2ELb1ELb1ELb0EEEvPT_PKS4_PfPimiiiif
; %bb.0:
	s_load_dword s7, s[4:5], 0x28
	s_load_dwordx4 s[0:3], s[4:5], 0x0
	s_load_dword s8, s[4:5], 0x30
	v_lshlrev_b32_e32 v1, 3, v0
	v_mbcnt_lo_u32_b32 v6, -1, 0
	s_waitcnt lgkmcnt(0)
	s_mul_i32 s4, s6, s7
	s_ashr_i32 s5, s4, 31
	s_lshl_b64 s[4:5], s[4:5], 1
	s_add_u32 s0, s0, s4
	s_addc_u32 s1, s1, s5
	global_load_dwordx2 v[2:3], v1, s[0:1]
	global_load_dwordx2 v[4:5], v1, s[2:3]
	v_mbcnt_hi_u32_b32 v6, -1, v6
	v_lshlrev_b32_e32 v7, 5, v0
	v_and_b32_e32 v13, 64, v6
	v_and_or_b32 v6, v7, 32, v13
	v_lshlrev_b32_e32 v14, 2, v6
	s_mov_b32 s0, 0x652b82fe
	s_mov_b32 s1, 0xbff71547
	;; [unrolled: 1-line block ×3, first 2 shown]
	v_mov_b32_e32 v1, 0x42800000
	v_mov_b32_e32 v10, 0x1f800000
	v_mov_b32_e32 v11, 0xff800000
	s_mov_b32 s6, 0xff800000
	v_mov_b32_e32 v12, 0x7f800000
	s_waitcnt vmcnt(1)
	v_cvt_f32_f16_e32 v6, v2
	v_cvt_f32_f16_sdwa v7, v2 dst_sel:DWORD dst_unused:UNUSED_PAD src0_sel:WORD_1
	v_cvt_f32_f16_e32 v8, v3
	v_cvt_f32_f16_sdwa v9, v3 dst_sel:DWORD dst_unused:UNUSED_PAD src0_sel:WORD_1
	v_cvt_f64_f32_e32 v[2:3], v6
	s_waitcnt vmcnt(0)
	v_cvt_f32_f16_e32 v15, v4
	v_cvt_f32_f16_sdwa v16, v4 dst_sel:DWORD dst_unused:UNUSED_PAD src0_sel:WORD_1
	v_cvt_f32_f16_e32 v17, v5
	v_cvt_f32_f16_sdwa v18, v5 dst_sel:DWORD dst_unused:UNUSED_PAD src0_sel:WORD_1
	v_cvt_f64_f32_e32 v[4:5], v7
	v_mul_f64 v[2:3], v[2:3], s[0:1]
	v_cvt_f64_f32_e32 v[6:7], v8
	v_mul_f64 v[4:5], v[4:5], s[0:1]
	v_cvt_f32_f64_e32 v2, v[2:3]
	v_cvt_f64_f32_e32 v[8:9], v9
	v_mul_f64 v[6:7], v[6:7], s[0:1]
	v_cvt_f32_f64_e32 v3, v[4:5]
	v_cmp_gt_f32_e32 vcc, s4, v2
	v_mul_f64 v[8:9], v[8:9], s[0:1]
	v_cvt_f32_f64_e32 v4, v[6:7]
	v_cndmask_b32_e32 v6, 0, v1, vcc
	v_cmp_gt_f32_e64 s[0:1], s4, v3
	v_cvt_f32_f64_e32 v5, v[8:9]
	v_cndmask_b32_e64 v7, 0, v1, s[0:1]
	v_cmp_gt_f32_e64 s[2:3], s4, v4
	v_add_f32_e32 v2, v2, v6
	v_cndmask_b32_e64 v8, 0, v1, s[2:3]
	v_cmp_gt_f32_e64 s[4:5], s4, v5
	v_add_f32_e32 v3, v3, v7
	v_exp_f32_e32 v2, v2
	v_cndmask_b32_e64 v1, 0, v1, s[4:5]
	v_add_f32_e32 v4, v4, v8
	v_exp_f32_e32 v3, v3
	v_add_f32_e32 v1, v5, v1
	v_exp_f32_e32 v4, v4
	v_cndmask_b32_e32 v6, 1.0, v10, vcc
	v_exp_f32_e32 v1, v1
	v_cndmask_b32_e64 v7, 1.0, v10, s[0:1]
	v_fma_f32 v2, v2, v6, 1.0
	v_cndmask_b32_e64 v8, 1.0, v10, s[2:3]
	v_fma_f32 v3, v3, v7, 1.0
	v_rcp_f32_e32 v2, v2
	v_cndmask_b32_e64 v5, 1.0, v10, s[4:5]
	v_fma_f32 v4, v4, v8, 1.0
	v_rcp_f32_e32 v3, v3
	v_fma_f32 v1, v1, v5, 1.0
	v_rcp_f32_e32 v4, v4
	v_rcp_f32_e32 v1, v1
	v_add_f32_e32 v2, v2, v15
	v_add_f32_e32 v3, v3, v16
	v_cmp_o_f32_e32 vcc, v2, v2
	v_add_f32_e32 v4, v4, v17
	v_cndmask_b32_e32 v2, v11, v2, vcc
	v_cmp_o_f32_e32 vcc, v3, v3
	v_add_f32_e32 v1, v1, v18
	v_cndmask_b32_e32 v3, v11, v3, vcc
	v_cmp_o_f32_e32 vcc, v4, v4
	v_cndmask_b32_e32 v4, v11, v4, vcc
	v_cmp_o_f32_e32 vcc, v1, v1
	v_max_f32_e32 v6, v2, v2
	v_max_f32_e32 v7, v3, v3
	v_cndmask_b32_e32 v5, v11, v1, vcc
	v_med3_f32 v1, v3, v2, s6
	v_max_f32_e32 v8, v4, v4
	v_max_f32_e32 v6, v7, v6
	;; [unrolled: 1-line block ×3, first 2 shown]
	v_med3_f32 v1, v4, v6, v1
	v_max_f32_e32 v6, v8, v6
	v_med3_f32 v1, v5, v6, v1
	v_max_f32_e32 v6, v9, v6
	v_add_f32_e32 v1, v1, v6
	ds_bpermute_b32 v1, v14, v1
	v_and_b32_e32 v6, 1, v0
	v_cmp_eq_u32_e32 vcc, 0, v6
	v_cndmask_b32_e32 v6, v11, v12, vcc
	v_lshlrev_b32_e32 v7, 2, v13
	s_waitcnt lgkmcnt(0)
	v_mov_b32_dpp v8, v1 quad_perm:[1,0,3,2] row_mask:0xf bank_mask:0xf bound_ctrl:1
	v_med3_f32 v6, v1, v8, v6
	ds_bpermute_b32 v6, v7, v6 offset:12
	v_lshl_add_u32 v7, v0, 4, 0
	ds_write_b128 v7, v[2:5]
	s_waitcnt lgkmcnt(1)
	v_cmp_gt_f32_e32 vcc, v1, v6
	v_cndmask_b32_e64 v2, 0, 1, vcc
	v_cmp_eq_f32_e64 s[0:1], v1, v6
	v_cmp_ge_f32_e64 s[2:3], v1, v6
	v_mov_b32_dpp v1, v2 row_shr:1 row_mask:0xf bank_mask:0xf bound_ctrl:1
	v_addc_co_u32_e32 v1, vcc, 0, v1, vcc
	v_cndmask_b32_e64 v3, 0, 1, s[0:1]
	v_readlane_b32 s4, v1, 1
	s_nop 0
	v_mov_b32_dpp v2, v3 row_shr:1 row_mask:0xf bank_mask:0xf bound_ctrl:1
	v_mov_b32_e32 v3, s4
	v_addc_co_u32_e64 v2, vcc, v2, v3, s[0:1]
	v_cndmask_b32_e64 v1, v1, v2, s[0:1]
	v_cmp_ge_i32_e32 vcc, s8, v1
	s_and_b64 s[0:1], s[2:3], vcc
	v_cmp_gt_u32_e32 vcc, 2, v0
	s_and_b64 s[2:3], vcc, s[0:1]
	s_and_saveexec_b64 s[0:1], s[2:3]
	s_cbranch_execz .LBB50_2
; %bb.1:
	s_lshl_b32 s2, s7, 2
	s_add_i32 s2, s2, 0
	v_lshl_add_u32 v1, v1, 2, s2
	ds_write_b32 v1, v0 offset:4
.LBB50_2:
	s_or_b64 exec, exec, s[0:1]
	s_waitcnt lgkmcnt(0)
	s_barrier
	s_endpgm
	.section	.rodata,"a",@progbits
	.p2align	6, 0x0
	.amdhsa_kernel _ZN5aiter28grouped_topk_opt_sort_kernelIN3c104HalfEDv4_fLi2ELb1ELb1ELb0EEEvPT_PKS4_PfPimiiiif
		.amdhsa_group_segment_fixed_size 0
		.amdhsa_private_segment_fixed_size 0
		.amdhsa_kernarg_size 60
		.amdhsa_user_sgpr_count 6
		.amdhsa_user_sgpr_private_segment_buffer 1
		.amdhsa_user_sgpr_dispatch_ptr 0
		.amdhsa_user_sgpr_queue_ptr 0
		.amdhsa_user_sgpr_kernarg_segment_ptr 1
		.amdhsa_user_sgpr_dispatch_id 0
		.amdhsa_user_sgpr_flat_scratch_init 0
		.amdhsa_user_sgpr_kernarg_preload_length 0
		.amdhsa_user_sgpr_kernarg_preload_offset 0
		.amdhsa_user_sgpr_private_segment_size 0
		.amdhsa_uses_dynamic_stack 0
		.amdhsa_system_sgpr_private_segment_wavefront_offset 0
		.amdhsa_system_sgpr_workgroup_id_x 1
		.amdhsa_system_sgpr_workgroup_id_y 0
		.amdhsa_system_sgpr_workgroup_id_z 0
		.amdhsa_system_sgpr_workgroup_info 0
		.amdhsa_system_vgpr_workitem_id 0
		.amdhsa_next_free_vgpr 19
		.amdhsa_next_free_sgpr 9
		.amdhsa_accum_offset 20
		.amdhsa_reserve_vcc 1
		.amdhsa_reserve_flat_scratch 0
		.amdhsa_float_round_mode_32 0
		.amdhsa_float_round_mode_16_64 0
		.amdhsa_float_denorm_mode_32 3
		.amdhsa_float_denorm_mode_16_64 3
		.amdhsa_dx10_clamp 1
		.amdhsa_ieee_mode 1
		.amdhsa_fp16_overflow 0
		.amdhsa_tg_split 0
		.amdhsa_exception_fp_ieee_invalid_op 0
		.amdhsa_exception_fp_denorm_src 0
		.amdhsa_exception_fp_ieee_div_zero 0
		.amdhsa_exception_fp_ieee_overflow 0
		.amdhsa_exception_fp_ieee_underflow 0
		.amdhsa_exception_fp_ieee_inexact 0
		.amdhsa_exception_int_div_zero 0
	.end_amdhsa_kernel
	.section	.text._ZN5aiter28grouped_topk_opt_sort_kernelIN3c104HalfEDv4_fLi2ELb1ELb1ELb0EEEvPT_PKS4_PfPimiiiif,"axG",@progbits,_ZN5aiter28grouped_topk_opt_sort_kernelIN3c104HalfEDv4_fLi2ELb1ELb1ELb0EEEvPT_PKS4_PfPimiiiif,comdat
.Lfunc_end50:
	.size	_ZN5aiter28grouped_topk_opt_sort_kernelIN3c104HalfEDv4_fLi2ELb1ELb1ELb0EEEvPT_PKS4_PfPimiiiif, .Lfunc_end50-_ZN5aiter28grouped_topk_opt_sort_kernelIN3c104HalfEDv4_fLi2ELb1ELb1ELb0EEEvPT_PKS4_PfPimiiiif
                                        ; -- End function
	.section	.AMDGPU.csdata,"",@progbits
; Kernel info:
; codeLenInByte = 780
; NumSgprs: 13
; NumVgprs: 19
; NumAgprs: 0
; TotalNumVgprs: 19
; ScratchSize: 0
; MemoryBound: 0
; FloatMode: 240
; IeeeMode: 1
; LDSByteSize: 0 bytes/workgroup (compile time only)
; SGPRBlocks: 1
; VGPRBlocks: 2
; NumSGPRsForWavesPerEU: 13
; NumVGPRsForWavesPerEU: 19
; AccumOffset: 20
; Occupancy: 8
; WaveLimiterHint : 0
; COMPUTE_PGM_RSRC2:SCRATCH_EN: 0
; COMPUTE_PGM_RSRC2:USER_SGPR: 6
; COMPUTE_PGM_RSRC2:TRAP_HANDLER: 0
; COMPUTE_PGM_RSRC2:TGID_X_EN: 1
; COMPUTE_PGM_RSRC2:TGID_Y_EN: 0
; COMPUTE_PGM_RSRC2:TGID_Z_EN: 0
; COMPUTE_PGM_RSRC2:TIDIG_COMP_CNT: 0
; COMPUTE_PGM_RSRC3_GFX90A:ACCUM_OFFSET: 4
; COMPUTE_PGM_RSRC3_GFX90A:TG_SPLIT: 0
	.section	.text._ZN5aiter28grouped_topk_opt_sort_kernelIN3c108BFloat16EDv4_fLi2ELb1ELb1ELb0EEEvPT_PKS4_PfPimiiiif,"axG",@progbits,_ZN5aiter28grouped_topk_opt_sort_kernelIN3c108BFloat16EDv4_fLi2ELb1ELb1ELb0EEEvPT_PKS4_PfPimiiiif,comdat
	.protected	_ZN5aiter28grouped_topk_opt_sort_kernelIN3c108BFloat16EDv4_fLi2ELb1ELb1ELb0EEEvPT_PKS4_PfPimiiiif ; -- Begin function _ZN5aiter28grouped_topk_opt_sort_kernelIN3c108BFloat16EDv4_fLi2ELb1ELb1ELb0EEEvPT_PKS4_PfPimiiiif
	.globl	_ZN5aiter28grouped_topk_opt_sort_kernelIN3c108BFloat16EDv4_fLi2ELb1ELb1ELb0EEEvPT_PKS4_PfPimiiiif
	.p2align	8
	.type	_ZN5aiter28grouped_topk_opt_sort_kernelIN3c108BFloat16EDv4_fLi2ELb1ELb1ELb0EEEvPT_PKS4_PfPimiiiif,@function
_ZN5aiter28grouped_topk_opt_sort_kernelIN3c108BFloat16EDv4_fLi2ELb1ELb1ELb0EEEvPT_PKS4_PfPimiiiif: ; @_ZN5aiter28grouped_topk_opt_sort_kernelIN3c108BFloat16EDv4_fLi2ELb1ELb1ELb0EEEvPT_PKS4_PfPimiiiif
; %bb.0:
	s_load_dword s7, s[4:5], 0x28
	s_load_dwordx4 s[0:3], s[4:5], 0x0
	s_load_dword s8, s[4:5], 0x30
	v_lshlrev_b32_e32 v1, 3, v0
	v_mbcnt_lo_u32_b32 v6, -1, 0
	s_waitcnt lgkmcnt(0)
	s_mul_i32 s4, s6, s7
	s_ashr_i32 s5, s4, 31
	s_lshl_b64 s[4:5], s[4:5], 1
	s_add_u32 s0, s0, s4
	s_addc_u32 s1, s1, s5
	global_load_dwordx2 v[2:3], v1, s[0:1]
	global_load_dwordx2 v[4:5], v1, s[2:3]
	v_mbcnt_hi_u32_b32 v6, -1, v6
	v_lshlrev_b32_e32 v7, 5, v0
	v_and_b32_e32 v13, 64, v6
	v_and_or_b32 v6, v7, 32, v13
	s_mov_b32 s0, 0x652b82fe
	v_lshlrev_b32_e32 v14, 2, v6
	s_mov_b32 s1, 0xbff71547
	s_mov_b32 s4, 0xc2fc0000
	v_mov_b32_e32 v1, 0x42800000
	v_mov_b32_e32 v10, 0x1f800000
	;; [unrolled: 1-line block ×3, first 2 shown]
	s_mov_b32 s6, 0xff800000
	v_mov_b32_e32 v12, 0x7f800000
	s_waitcnt vmcnt(1)
	v_and_b32_e32 v6, 0xffff, v2
	v_lshrrev_b32_e32 v7, 16, v2
	v_and_b32_e32 v8, 0xffff, v3
	v_lshrrev_b32_e32 v9, 16, v3
	v_cvt_f64_u32_e32 v[2:3], v6
	s_waitcnt vmcnt(0)
	v_cvt_f32_u32_sdwa v15, v4 dst_sel:DWORD dst_unused:UNUSED_PAD src0_sel:WORD_0
	v_cvt_f32_u32_sdwa v16, v4 dst_sel:DWORD dst_unused:UNUSED_PAD src0_sel:WORD_1
	v_cvt_f32_u32_sdwa v17, v5 dst_sel:DWORD dst_unused:UNUSED_PAD src0_sel:WORD_0
	v_cvt_f32_u32_sdwa v18, v5 dst_sel:DWORD dst_unused:UNUSED_PAD src0_sel:WORD_1
	v_cvt_f64_u32_e32 v[4:5], v7
	v_mul_f64 v[2:3], v[2:3], s[0:1]
	v_cvt_f64_u32_e32 v[6:7], v8
	v_mul_f64 v[4:5], v[4:5], s[0:1]
	v_cvt_f32_f64_e32 v2, v[2:3]
	v_cvt_f64_u32_e32 v[8:9], v9
	v_mul_f64 v[6:7], v[6:7], s[0:1]
	v_cvt_f32_f64_e32 v3, v[4:5]
	v_cmp_gt_f32_e32 vcc, s4, v2
	v_mul_f64 v[8:9], v[8:9], s[0:1]
	v_cvt_f32_f64_e32 v4, v[6:7]
	v_cndmask_b32_e32 v6, 0, v1, vcc
	v_cmp_gt_f32_e64 s[0:1], s4, v3
	v_cvt_f32_f64_e32 v5, v[8:9]
	v_cndmask_b32_e64 v7, 0, v1, s[0:1]
	v_cmp_gt_f32_e64 s[2:3], s4, v4
	v_add_f32_e32 v2, v2, v6
	v_cndmask_b32_e64 v8, 0, v1, s[2:3]
	v_cmp_gt_f32_e64 s[4:5], s4, v5
	v_add_f32_e32 v3, v3, v7
	v_exp_f32_e32 v2, v2
	v_cndmask_b32_e64 v1, 0, v1, s[4:5]
	v_add_f32_e32 v4, v4, v8
	v_exp_f32_e32 v3, v3
	v_add_f32_e32 v1, v5, v1
	v_exp_f32_e32 v4, v4
	v_cndmask_b32_e32 v6, 1.0, v10, vcc
	v_exp_f32_e32 v1, v1
	v_cndmask_b32_e64 v7, 1.0, v10, s[0:1]
	v_fma_f32 v2, v2, v6, 1.0
	v_cndmask_b32_e64 v8, 1.0, v10, s[2:3]
	v_fma_f32 v3, v3, v7, 1.0
	v_rcp_f32_e32 v2, v2
	v_cndmask_b32_e64 v5, 1.0, v10, s[4:5]
	v_fma_f32 v4, v4, v8, 1.0
	v_rcp_f32_e32 v3, v3
	v_fma_f32 v1, v1, v5, 1.0
	v_rcp_f32_e32 v4, v4
	v_rcp_f32_e32 v1, v1
	v_add_f32_e32 v2, v2, v15
	v_add_f32_e32 v3, v3, v16
	v_cmp_o_f32_e32 vcc, v2, v2
	v_add_f32_e32 v4, v4, v17
	v_cndmask_b32_e32 v2, v11, v2, vcc
	v_cmp_o_f32_e32 vcc, v3, v3
	v_add_f32_e32 v1, v1, v18
	v_cndmask_b32_e32 v3, v11, v3, vcc
	v_cmp_o_f32_e32 vcc, v4, v4
	v_cndmask_b32_e32 v4, v11, v4, vcc
	v_cmp_o_f32_e32 vcc, v1, v1
	v_max_f32_e32 v6, v2, v2
	v_max_f32_e32 v7, v3, v3
	v_cndmask_b32_e32 v5, v11, v1, vcc
	v_med3_f32 v1, v3, v2, s6
	v_max_f32_e32 v8, v4, v4
	v_max_f32_e32 v6, v7, v6
	;; [unrolled: 1-line block ×3, first 2 shown]
	v_med3_f32 v1, v4, v6, v1
	v_max_f32_e32 v6, v8, v6
	v_med3_f32 v1, v5, v6, v1
	v_max_f32_e32 v6, v9, v6
	v_add_f32_e32 v1, v1, v6
	ds_bpermute_b32 v1, v14, v1
	v_and_b32_e32 v6, 1, v0
	v_cmp_eq_u32_e32 vcc, 0, v6
	v_cndmask_b32_e32 v6, v11, v12, vcc
	v_lshlrev_b32_e32 v7, 2, v13
	s_waitcnt lgkmcnt(0)
	v_mov_b32_dpp v8, v1 quad_perm:[1,0,3,2] row_mask:0xf bank_mask:0xf bound_ctrl:1
	v_med3_f32 v6, v1, v8, v6
	ds_bpermute_b32 v6, v7, v6 offset:12
	v_lshl_add_u32 v7, v0, 4, 0
	ds_write_b128 v7, v[2:5]
	s_waitcnt lgkmcnt(1)
	v_cmp_gt_f32_e32 vcc, v1, v6
	v_cndmask_b32_e64 v2, 0, 1, vcc
	v_cmp_eq_f32_e64 s[0:1], v1, v6
	v_cmp_ge_f32_e64 s[2:3], v1, v6
	v_mov_b32_dpp v1, v2 row_shr:1 row_mask:0xf bank_mask:0xf bound_ctrl:1
	v_addc_co_u32_e32 v1, vcc, 0, v1, vcc
	v_cndmask_b32_e64 v3, 0, 1, s[0:1]
	v_readlane_b32 s4, v1, 1
	s_nop 0
	v_mov_b32_dpp v2, v3 row_shr:1 row_mask:0xf bank_mask:0xf bound_ctrl:1
	v_mov_b32_e32 v3, s4
	v_addc_co_u32_e64 v2, vcc, v2, v3, s[0:1]
	v_cndmask_b32_e64 v1, v1, v2, s[0:1]
	v_cmp_ge_i32_e32 vcc, s8, v1
	s_and_b64 s[0:1], s[2:3], vcc
	v_cmp_gt_u32_e32 vcc, 2, v0
	s_and_b64 s[2:3], vcc, s[0:1]
	s_and_saveexec_b64 s[0:1], s[2:3]
	s_cbranch_execz .LBB51_2
; %bb.1:
	s_lshl_b32 s2, s7, 2
	s_add_i32 s2, s2, 0
	v_lshl_add_u32 v1, v1, 2, s2
	ds_write_b32 v1, v0 offset:4
.LBB51_2:
	s_or_b64 exec, exec, s[0:1]
	s_waitcnt lgkmcnt(0)
	s_barrier
	s_endpgm
	.section	.rodata,"a",@progbits
	.p2align	6, 0x0
	.amdhsa_kernel _ZN5aiter28grouped_topk_opt_sort_kernelIN3c108BFloat16EDv4_fLi2ELb1ELb1ELb0EEEvPT_PKS4_PfPimiiiif
		.amdhsa_group_segment_fixed_size 0
		.amdhsa_private_segment_fixed_size 0
		.amdhsa_kernarg_size 60
		.amdhsa_user_sgpr_count 6
		.amdhsa_user_sgpr_private_segment_buffer 1
		.amdhsa_user_sgpr_dispatch_ptr 0
		.amdhsa_user_sgpr_queue_ptr 0
		.amdhsa_user_sgpr_kernarg_segment_ptr 1
		.amdhsa_user_sgpr_dispatch_id 0
		.amdhsa_user_sgpr_flat_scratch_init 0
		.amdhsa_user_sgpr_kernarg_preload_length 0
		.amdhsa_user_sgpr_kernarg_preload_offset 0
		.amdhsa_user_sgpr_private_segment_size 0
		.amdhsa_uses_dynamic_stack 0
		.amdhsa_system_sgpr_private_segment_wavefront_offset 0
		.amdhsa_system_sgpr_workgroup_id_x 1
		.amdhsa_system_sgpr_workgroup_id_y 0
		.amdhsa_system_sgpr_workgroup_id_z 0
		.amdhsa_system_sgpr_workgroup_info 0
		.amdhsa_system_vgpr_workitem_id 0
		.amdhsa_next_free_vgpr 19
		.amdhsa_next_free_sgpr 9
		.amdhsa_accum_offset 20
		.amdhsa_reserve_vcc 1
		.amdhsa_reserve_flat_scratch 0
		.amdhsa_float_round_mode_32 0
		.amdhsa_float_round_mode_16_64 0
		.amdhsa_float_denorm_mode_32 3
		.amdhsa_float_denorm_mode_16_64 3
		.amdhsa_dx10_clamp 1
		.amdhsa_ieee_mode 1
		.amdhsa_fp16_overflow 0
		.amdhsa_tg_split 0
		.amdhsa_exception_fp_ieee_invalid_op 0
		.amdhsa_exception_fp_denorm_src 0
		.amdhsa_exception_fp_ieee_div_zero 0
		.amdhsa_exception_fp_ieee_overflow 0
		.amdhsa_exception_fp_ieee_underflow 0
		.amdhsa_exception_fp_ieee_inexact 0
		.amdhsa_exception_int_div_zero 0
	.end_amdhsa_kernel
	.section	.text._ZN5aiter28grouped_topk_opt_sort_kernelIN3c108BFloat16EDv4_fLi2ELb1ELb1ELb0EEEvPT_PKS4_PfPimiiiif,"axG",@progbits,_ZN5aiter28grouped_topk_opt_sort_kernelIN3c108BFloat16EDv4_fLi2ELb1ELb1ELb0EEEvPT_PKS4_PfPimiiiif,comdat
.Lfunc_end51:
	.size	_ZN5aiter28grouped_topk_opt_sort_kernelIN3c108BFloat16EDv4_fLi2ELb1ELb1ELb0EEEvPT_PKS4_PfPimiiiif, .Lfunc_end51-_ZN5aiter28grouped_topk_opt_sort_kernelIN3c108BFloat16EDv4_fLi2ELb1ELb1ELb0EEEvPT_PKS4_PfPimiiiif
                                        ; -- End function
	.section	.AMDGPU.csdata,"",@progbits
; Kernel info:
; codeLenInByte = 788
; NumSgprs: 13
; NumVgprs: 19
; NumAgprs: 0
; TotalNumVgprs: 19
; ScratchSize: 0
; MemoryBound: 0
; FloatMode: 240
; IeeeMode: 1
; LDSByteSize: 0 bytes/workgroup (compile time only)
; SGPRBlocks: 1
; VGPRBlocks: 2
; NumSGPRsForWavesPerEU: 13
; NumVGPRsForWavesPerEU: 19
; AccumOffset: 20
; Occupancy: 8
; WaveLimiterHint : 0
; COMPUTE_PGM_RSRC2:SCRATCH_EN: 0
; COMPUTE_PGM_RSRC2:USER_SGPR: 6
; COMPUTE_PGM_RSRC2:TRAP_HANDLER: 0
; COMPUTE_PGM_RSRC2:TGID_X_EN: 1
; COMPUTE_PGM_RSRC2:TGID_Y_EN: 0
; COMPUTE_PGM_RSRC2:TGID_Z_EN: 0
; COMPUTE_PGM_RSRC2:TIDIG_COMP_CNT: 0
; COMPUTE_PGM_RSRC3_GFX90A:ACCUM_OFFSET: 4
; COMPUTE_PGM_RSRC3_GFX90A:TG_SPLIT: 0
	.section	.text._ZN5aiter19grouped_topk_kernelIfDv4_fLi2ELb1ELb1ELb0EEEvPT_PKS2_PfPimiiiif,"axG",@progbits,_ZN5aiter19grouped_topk_kernelIfDv4_fLi2ELb1ELb1ELb0EEEvPT_PKS2_PfPimiiiif,comdat
	.protected	_ZN5aiter19grouped_topk_kernelIfDv4_fLi2ELb1ELb1ELb0EEEvPT_PKS2_PfPimiiiif ; -- Begin function _ZN5aiter19grouped_topk_kernelIfDv4_fLi2ELb1ELb1ELb0EEEvPT_PKS2_PfPimiiiif
	.globl	_ZN5aiter19grouped_topk_kernelIfDv4_fLi2ELb1ELb1ELb0EEEvPT_PKS2_PfPimiiiif
	.p2align	8
	.type	_ZN5aiter19grouped_topk_kernelIfDv4_fLi2ELb1ELb1ELb0EEEvPT_PKS2_PfPimiiiif,@function
_ZN5aiter19grouped_topk_kernelIfDv4_fLi2ELb1ELb1ELb0EEEvPT_PKS2_PfPimiiiif: ; @_ZN5aiter19grouped_topk_kernelIfDv4_fLi2ELb1ELb1ELb0EEEvPT_PKS2_PfPimiiiif
; %bb.0:
	s_load_dwordx4 s[12:15], s[4:5], 0x28
	s_load_dwordx4 s[16:19], s[4:5], 0x8
	s_load_dwordx2 s[20:21], s[4:5], 0x18
	s_waitcnt lgkmcnt(0)
	s_ashr_i32 s15, s12, 31
	s_lshr_b32 s0, s15, 30
	s_add_i32 s0, s12, s0
	s_ashr_i32 s7, s0, 2
	v_cmp_gt_i32_e64 s[0:1], s7, v0
	s_and_saveexec_b64 s[22:23], s[0:1]
	s_cbranch_execz .LBB52_3
; %bb.1:
	s_load_dwordx2 s[2:3], s[4:5], 0x0
	s_load_dword s10, s[4:5], 0x4c
	s_mul_i32 s8, s6, s12
	s_ashr_i32 s9, s8, 31
	s_lshl_b64 s[8:9], s[8:9], 2
	s_waitcnt lgkmcnt(0)
	s_add_u32 s26, s2, s8
	s_addc_u32 s2, s3, s9
	s_and_b32 s27, s10, 0xffff
	s_mov_b32 s3, 0
	v_lshlrev_b32_e32 v2, 4, v0
	v_mov_b32_e32 v1, 0
	s_lshl_b32 s28, s27, 4
	v_add_u32_e32 v3, 0, v2
	s_mov_b64 s[24:25], 0
	v_mov_b32_e32 v8, s2
	v_mov_b32_e32 v9, s17
	s_mov_b32 s29, 0xbfb8aa3b
	s_mov_b32 s30, 0x42ce8ed0
	;; [unrolled: 1-line block ×3, first 2 shown]
	v_mov_b32_e32 v10, 0x7f800000
	v_mov_b32_e32 v11, s3
	;; [unrolled: 1-line block ×3, first 2 shown]
.LBB52_2:                               ; =>This Inner Loop Header: Depth=1
	v_add_co_u32_e32 v4, vcc, s26, v2
	v_addc_co_u32_e32 v5, vcc, v8, v1, vcc
	v_add_co_u32_e32 v6, vcc, s16, v2
	v_addc_co_u32_e32 v7, vcc, v9, v1, vcc
	global_load_dwordx4 v[14:17], v[4:5], off
	global_load_dwordx4 v[18:21], v[6:7], off
	v_add_co_u32_e32 v2, vcc, s28, v2
	v_add_u32_e32 v12, s27, v12
	v_addc_co_u32_e32 v1, vcc, v1, v11, vcc
	v_cmp_le_i32_e32 vcc, s7, v12
	s_or_b64 s[24:25], vcc, s[24:25]
	s_waitcnt vmcnt(1)
	v_mul_f32_e32 v4, 0xbfb8aa3b, v15
	v_mul_f32_e32 v5, 0xbfb8aa3b, v14
	v_fma_f32 v13, v15, s29, -v4
	v_rndne_f32_e32 v22, v4
	v_fma_f32 v23, v14, s29, -v5
	v_rndne_f32_e32 v24, v5
	v_mul_f32_e32 v6, 0xbfb8aa3b, v17
	v_mul_f32_e32 v7, 0xbfb8aa3b, v16
	v_fmac_f32_e32 v13, 0xb2a5705f, v15
	v_sub_f32_e32 v4, v4, v22
	v_fmac_f32_e32 v23, 0xb2a5705f, v14
	v_sub_f32_e32 v5, v5, v24
	v_fma_f32 v25, v17, s29, -v6
	v_rndne_f32_e32 v26, v6
	v_fma_f32 v27, v16, s29, -v7
	v_rndne_f32_e32 v28, v7
	v_add_f32_e32 v4, v4, v13
	v_add_f32_e32 v5, v5, v23
	v_cvt_i32_f32_e32 v22, v22
	v_cvt_i32_f32_e32 v24, v24
	v_fmac_f32_e32 v25, 0xb2a5705f, v17
	v_sub_f32_e32 v6, v6, v26
	v_fmac_f32_e32 v27, 0xb2a5705f, v16
	v_sub_f32_e32 v7, v7, v28
	v_exp_f32_e32 v4, v4
	v_exp_f32_e32 v5, v5
	v_add_f32_e32 v6, v6, v25
	v_add_f32_e32 v7, v7, v27
	v_cvt_i32_f32_e32 v26, v26
	v_cvt_i32_f32_e32 v28, v28
	v_exp_f32_e32 v6, v6
	v_exp_f32_e32 v7, v7
	v_ldexp_f32 v4, v4, v22
	v_ldexp_f32 v5, v5, v24
	v_cmp_nlt_f32_e32 vcc, s30, v14
	v_cmp_nlt_f32_e64 s[10:11], s30, v15
	v_cndmask_b32_e64 v4, 0, v4, s[10:11]
	v_cndmask_b32_e32 v13, 0, v5, vcc
	v_cmp_ngt_f32_e32 vcc, s31, v14
	v_cmp_ngt_f32_e64 s[10:11], s31, v15
	v_ldexp_f32 v6, v6, v26
	v_cmp_nlt_f32_e64 s[2:3], s30, v17
	v_ldexp_f32 v7, v7, v28
	v_cmp_nlt_f32_e64 s[8:9], s30, v16
	v_cndmask_b32_e64 v5, v10, v4, s[10:11]
	v_cndmask_b32_e32 v4, v10, v13, vcc
	v_cndmask_b32_e64 v6, 0, v6, s[2:3]
	v_cmp_ngt_f32_e64 s[2:3], s31, v17
	v_cndmask_b32_e64 v14, 0, v7, s[8:9]
	v_cmp_ngt_f32_e64 s[8:9], s31, v16
	v_pk_add_f32 v[4:5], v[4:5], 1.0 op_sel_hi:[1,0]
	v_cndmask_b32_e64 v7, v10, v6, s[2:3]
	v_cndmask_b32_e64 v6, v10, v14, s[8:9]
	v_div_scale_f32 v13, s[2:3], v5, v5, 1.0
	v_pk_add_f32 v[6:7], v[6:7], 1.0 op_sel_hi:[1,0]
	v_div_scale_f32 v15, s[2:3], v4, v4, 1.0
	v_rcp_f32_e32 v25, v13
	v_div_scale_f32 v17, s[8:9], v7, v7, 1.0
	v_rcp_f32_e32 v26, v15
	;; [unrolled: 2-line block ×3, first 2 shown]
	v_rcp_f32_e32 v28, v23
	v_fma_f32 v29, -v13, v25, 1.0
	v_div_scale_f32 v14, vcc, 1.0, v5, 1.0
	v_fma_f32 v30, -v15, v26, 1.0
	v_fmac_f32_e32 v25, v29, v25
	v_div_scale_f32 v16, s[2:3], 1.0, v4, 1.0
	v_fma_f32 v31, -v17, v27, 1.0
	v_fmac_f32_e32 v26, v30, v26
	v_mul_f32_e32 v29, v14, v25
	v_div_scale_f32 v22, s[8:9], 1.0, v7, 1.0
	v_fma_f32 v32, -v23, v28, 1.0
	v_fmac_f32_e32 v27, v31, v27
	v_mul_f32_e32 v30, v16, v26
	v_fma_f32 v33, -v13, v29, v14
	v_div_scale_f32 v24, s[10:11], 1.0, v6, 1.0
	v_fmac_f32_e32 v28, v32, v28
	v_mul_f32_e32 v31, v22, v27
	v_fma_f32 v34, -v15, v30, v16
	v_fmac_f32_e32 v29, v33, v25
	v_mul_f32_e32 v32, v24, v28
	v_fma_f32 v35, -v17, v31, v22
	v_fmac_f32_e32 v30, v34, v26
	v_fma_f32 v13, -v13, v29, v14
	v_fma_f32 v36, -v23, v32, v24
	v_fmac_f32_e32 v31, v35, v27
	v_fma_f32 v14, -v15, v30, v16
	v_div_fmas_f32 v13, v13, v25, v29
	s_mov_b64 vcc, s[2:3]
	v_fmac_f32_e32 v32, v36, v28
	v_fma_f32 v15, -v17, v31, v22
	v_div_fixup_f32 v5, v13, v5, 1.0
	v_div_fmas_f32 v13, v14, v26, v30
	s_mov_b64 vcc, s[8:9]
	v_fma_f32 v16, -v23, v32, v24
	v_div_fixup_f32 v4, v13, v4, 1.0
	v_div_fmas_f32 v13, v15, v27, v31
	s_mov_b64 vcc, s[10:11]
	v_div_fixup_f32 v7, v13, v7, 1.0
	v_div_fmas_f32 v13, v16, v28, v32
	v_div_fixup_f32 v6, v13, v6, 1.0
	s_waitcnt vmcnt(0)
	v_pk_add_f32 v[4:5], v[18:19], v[4:5]
	v_pk_add_f32 v[6:7], v[20:21], v[6:7]
	ds_write_b128 v3, v[4:7]
	v_add_u32_e32 v3, s28, v3
	s_andn2_b64 exec, exec, s[24:25]
	s_cbranch_execnz .LBB52_2
.LBB52_3:
	s_or_b64 exec, exec, s[22:23]
	s_lshr_b32 s2, s12, 31
	s_add_i32 s2, s12, s2
	s_ashr_i32 s29, s2, 1
	s_lshl_b32 s2, s12, 2
	s_add_i32 s28, s2, 0
	v_cmp_gt_u32_e32 vcc, 64, v0
	s_waitcnt lgkmcnt(0)
	s_barrier
	s_and_saveexec_b64 s[10:11], vcc
	s_cbranch_execz .LBB52_12
; %bb.4:
	s_load_dword s8, s[4:5], 0x4c
	v_lshrrev_b32_e32 v2, 5, v0
	s_lshr_b32 s2, s15, 29
	v_and_b32_e32 v1, 31, v0
	s_add_i32 s2, s12, s2
	s_waitcnt lgkmcnt(0)
	s_bfe_u32 s15, s8, 0xb0005
	v_mul_lo_u32 v3, s29, v2
	s_ashr_i32 s12, s2, 3
	v_lshlrev_b32_e32 v3, 2, v3
	v_lshlrev_b32_e32 v4, 4, v1
	s_mul_i32 s8, s29, s15
	v_cmp_gt_i32_e32 vcc, s12, v1
	v_cmp_eq_u32_e64 s[2:3], 0, v1
	v_add3_u32 v3, v3, v4, 0
	s_lshl_b32 s30, s8, 2
	s_mov_b64 s[22:23], 0
	s_branch .LBB52_6
.LBB52_5:                               ;   in Loop: Header=BB52_6 Depth=1
	s_or_b64 exec, exec, s[8:9]
	v_add_u32_e32 v2, s15, v2
	v_cmp_lt_u32_e64 s[8:9], 1, v2
	s_or_b64 s[22:23], s[8:9], s[22:23]
	v_add_u32_e32 v3, s30, v3
	s_andn2_b64 exec, exec, s[22:23]
	s_cbranch_execz .LBB52_12
.LBB52_6:                               ; =>This Loop Header: Depth=1
                                        ;     Child Loop BB52_8 Depth 2
	v_mov_b32_e32 v4, 0xff800000
	v_mov_b32_e32 v7, 0xff800000
	s_and_saveexec_b64 s[24:25], vcc
	s_cbranch_execz .LBB52_10
; %bb.7:                                ;   in Loop: Header=BB52_6 Depth=1
	s_mov_b64 s[26:27], 0
	v_mov_b32_e32 v4, 0xff800000
	v_mov_b32_e32 v5, v3
	;; [unrolled: 1-line block ×4, first 2 shown]
.LBB52_8:                               ;   Parent Loop BB52_6 Depth=1
                                        ; =>  This Inner Loop Header: Depth=2
	ds_read_b128 v[8:11], v5
	v_add_u32_e32 v6, 32, v6
	v_max_f32_e32 v7, v7, v7
	v_cmp_le_i32_e64 s[8:9], s12, v6
	s_or_b64 s[26:27], s[8:9], s[26:27]
	s_waitcnt lgkmcnt(0)
	v_max_f32_e32 v13, v8, v8
	v_max_f32_e32 v7, v13, v7
	v_cmp_gt_f32_e64 s[8:9], v8, v4
	v_max_f32_e32 v12, v4, v4
	v_cndmask_b32_e64 v4, v7, v4, s[8:9]
	v_max_f32_e32 v14, v9, v9
	v_max_f32_e32 v12, v13, v12
	v_max_f32_e32 v4, v4, v4
	v_max_f32_e32 v13, v14, v4
	v_cmp_gt_f32_e64 s[8:9], v9, v12
	v_max_f32_e32 v15, v10, v10
	v_max_f32_e32 v7, v14, v12
	v_cndmask_b32_e64 v9, v13, v12, s[8:9]
	v_max_f32_e32 v9, v15, v9
	v_cmp_gt_f32_e64 s[8:9], v10, v7
	v_max_f32_e32 v16, v11, v11
	v_max_f32_e32 v8, v15, v7
	v_cndmask_b32_e64 v7, v9, v7, s[8:9]
	v_max_f32_e32 v7, v16, v7
	v_cmp_gt_f32_e64 s[8:9], v11, v8
	v_add_u32_e32 v5, 0x200, v5
	v_max_f32_e32 v4, v16, v8
	v_cndmask_b32_e64 v7, v7, v8, s[8:9]
	s_andn2_b64 exec, exec, s[26:27]
	s_cbranch_execnz .LBB52_8
; %bb.9:                                ;   in Loop: Header=BB52_6 Depth=1
	s_or_b64 exec, exec, s[26:27]
.LBB52_10:                              ;   in Loop: Header=BB52_6 Depth=1
	s_or_b64 exec, exec, s[24:25]
	s_and_saveexec_b64 s[8:9], s[2:3]
	s_cbranch_execz .LBB52_5
; %bb.11:                               ;   in Loop: Header=BB52_6 Depth=1
	v_lshl_add_u32 v5, v2, 2, s28
	v_add_f32_e32 v4, v7, v4
	ds_write_b32 v5, v4
	s_branch .LBB52_5
.LBB52_12:
	s_or_b64 exec, exec, s[10:11]
	s_cmp_lt_i32 s14, 1
	s_waitcnt lgkmcnt(0)
	s_barrier
	s_cbranch_scc1 .LBB52_15
; %bb.13:
	v_mov_b32_e32 v1, s28
	s_mov_b32 s2, 0xff800000
	v_mov_b32_e32 v2, 0xff800000
.LBB52_14:                              ; =>This Inner Loop Header: Depth=1
	ds_read2_b32 v[4:5], v1 offset1:1
	s_add_i32 s14, s14, -1
	s_cmp_lg_u32 s14, 0
	s_waitcnt lgkmcnt(0)
	v_cmp_nlg_f32_e32 vcc, s2, v4
	v_cndmask_b32_e64 v3, 0, 1, vcc
	v_cmp_lg_f32_e32 vcc, s2, v4
	v_cndmask_b32_e32 v4, v2, v4, vcc
	v_lshlrev_b32_e32 v3, 1, v3
	v_cmp_ngt_f32_e32 vcc, v5, v4
	v_cndmask_b32_e32 v3, 1, v3, vcc
	v_lshlrev_b32_e32 v3, 2, v3
	v_add_u32_e32 v3, s28, v3
	ds_write_b32 v3, v2
	s_cbranch_scc1 .LBB52_14
.LBB52_15:
	v_lshlrev_b32_e32 v1, 2, v0
	v_lshl_add_u32 v6, v0, 4, 0
	s_and_saveexec_b64 s[2:3], s[0:1]
	s_cbranch_execz .LBB52_20
; %bb.16:
	s_abs_i32 s12, s29
	v_cvt_f32_u32_e32 v2, s12
	s_load_dword s10, s[4:5], 0x4c
	s_sub_i32 s11, 0, s12
	s_ashr_i32 s14, s29, 31
	v_rcp_iflag_f32_e32 v2, v2
	v_lshlrev_b32_e32 v7, 2, v0
	s_waitcnt lgkmcnt(0)
	s_and_b32 s15, s10, 0xffff
	v_lshl_add_u32 v8, v0, 4, 0
	v_mul_f32_e32 v2, 0x4f7ffffe, v2
	v_cvt_u32_f32_e32 v2, v2
	s_mov_b64 s[8:9], 0
	s_lshl_b32 s22, s15, 2
	s_lshl_b32 s23, s15, 4
	v_mul_lo_u32 v3, s11, v2
	v_mul_hi_u32 v3, v2, v3
	v_add_u32_e32 v9, v2, v3
	s_mov_b32 s24, 0xff800000
	v_mov_b32_e32 v2, 0xff800000
	v_mov_b32_e32 v10, v0
	s_branch .LBB52_18
.LBB52_17:                              ;   in Loop: Header=BB52_18 Depth=1
	s_or_b64 exec, exec, s[10:11]
	v_add_u32_e32 v10, s15, v10
	v_cmp_le_i32_e32 vcc, s7, v10
	v_add_u32_e32 v7, s22, v7
	s_or_b64 s[8:9], vcc, s[8:9]
	v_add_u32_e32 v8, s23, v8
	s_andn2_b64 exec, exec, s[8:9]
	s_cbranch_execz .LBB52_20
.LBB52_18:                              ; =>This Inner Loop Header: Depth=1
	v_mul_hi_u32 v3, v7, v9
	v_mul_lo_u32 v4, v3, s12
	v_sub_u32_e32 v4, v7, v4
	v_add_u32_e32 v5, 1, v3
	v_cmp_le_u32_e32 vcc, s12, v4
	v_cndmask_b32_e32 v3, v3, v5, vcc
	v_subrev_u32_e32 v5, s12, v4
	v_cndmask_b32_e32 v4, v4, v5, vcc
	v_add_u32_e32 v5, 1, v3
	v_cmp_le_u32_e32 vcc, s12, v4
	v_cndmask_b32_e32 v3, v3, v5, vcc
	v_xor_b32_e32 v3, s14, v3
	v_subrev_u32_e32 v3, s14, v3
	v_lshl_add_u32 v3, v3, 2, s28
	ds_read_b32 v3, v3
	s_waitcnt lgkmcnt(0)
	v_cmp_neq_f32_e32 vcc, s24, v3
	s_and_saveexec_b64 s[10:11], vcc
	s_cbranch_execz .LBB52_17
; %bb.19:                               ;   in Loop: Header=BB52_18 Depth=1
	v_mov_b32_e32 v3, v2
	v_mov_b32_e32 v4, v2
	;; [unrolled: 1-line block ×3, first 2 shown]
	ds_write_b128 v8, v[2:5]
	s_branch .LBB52_17
.LBB52_20:
	s_or_b64 exec, exec, s[2:3]
	s_cmp_lt_i32 s13, 1
	s_waitcnt lgkmcnt(0)
	s_barrier
	s_cbranch_scc1 .LBB52_27
; %bb.21:
	s_add_u32 s2, s4, 64
	s_addc_u32 s3, s5, 0
	s_mov_b32 s12, 0
	v_mov_b32_e32 v3, 0
	v_mov_b32_e32 v5, 0xff800000
                                        ; implicit-def: $vgpr4
                                        ; implicit-def: $vgpr2
	s_branch .LBB52_23
.LBB52_22:                              ;   in Loop: Header=BB52_23 Depth=1
	s_or_b64 exec, exec, s[8:9]
	v_mov_b32_dpp v10, v8 quad_perm:[1,0,3,2] row_mask:0xf bank_mask:0xf
	v_cmp_lt_f32_e32 vcc, v8, v10
	v_cndmask_b32_e32 v8, v8, v10, vcc
	v_mov_b32_dpp v9, v7 quad_perm:[1,0,3,2] row_mask:0xf bank_mask:0xf
	v_cndmask_b32_e32 v7, v7, v9, vcc
	v_mov_b32_dpp v10, v8 quad_perm:[2,3,0,1] row_mask:0xf bank_mask:0xf
	v_cmp_gt_f32_e32 vcc, v10, v8
	v_cndmask_b32_e32 v8, v8, v10, vcc
	v_mov_b32_dpp v9, v7 quad_perm:[2,3,0,1] row_mask:0xf bank_mask:0xf
	v_cndmask_b32_e32 v7, v7, v9, vcc
	v_mov_b32_dpp v10, v8 row_half_mirror row_mask:0xf bank_mask:0xf
	v_cmp_gt_f32_e32 vcc, v10, v8
	v_cndmask_b32_e32 v8, v8, v10, vcc
	v_mov_b32_dpp v9, v7 row_half_mirror row_mask:0xf bank_mask:0xf
	v_cndmask_b32_e32 v7, v7, v9, vcc
	v_mov_b32_dpp v10, v8 row_mirror row_mask:0xf bank_mask:0xf
	v_cmp_gt_f32_e32 vcc, v10, v8
	v_cndmask_b32_e32 v8, v8, v10, vcc
	v_mov_b32_dpp v9, v7 row_mirror row_mask:0xf bank_mask:0xf
	v_cndmask_b32_e32 v7, v7, v9, vcc
	v_mov_b32_dpp v10, v8 row_bcast:15 row_mask:0xf bank_mask:0xf
	v_cmp_gt_f32_e32 vcc, v10, v8
	v_mov_b32_dpp v9, v7 row_bcast:15 row_mask:0xf bank_mask:0xf
	v_cndmask_b32_e32 v8, v8, v10, vcc
	v_cndmask_b32_e32 v7, v7, v9, vcc
	s_nop 0
	v_mov_b32_dpp v10, v8 row_bcast:31 row_mask:0xf bank_mask:0xf
	v_mov_b32_dpp v9, v7 row_bcast:31 row_mask:0xf bank_mask:0xf
	v_cmp_gt_f32_e32 vcc, v10, v8
	v_cndmask_b32_e32 v7, v7, v9, vcc
	v_readlane_b32 s8, v7, 63
	s_ashr_i32 s9, s8, 31
	s_lshl_b64 s[10:11], s[8:9], 2
	s_add_u32 s10, s16, s10
	s_addc_u32 s11, s17, s11
	s_load_dword s9, s[10:11], 0x0
	v_cndmask_b32_e32 v7, v8, v10, vcc
	v_readlane_b32 s10, v7, 63
	v_cmp_eq_u32_e32 vcc, s12, v0
	s_add_i32 s12, s12, 1
	s_waitcnt lgkmcnt(0)
	v_mov_b32_e32 v7, s9
	s_lshl_b32 s9, s8, 2
	s_add_i32 s9, s9, 0
	v_mov_b32_e32 v8, s9
	v_sub_f32_e32 v7, s10, v7
	ds_write_b32 v8, v5
	v_mov_b32_e32 v8, s8
	v_cndmask_b32_e32 v2, v2, v8, vcc
	v_cndmask_b32_e32 v4, v4, v7, vcc
	s_cmp_eq_u32 s12, s13
	v_add_f32_e32 v3, v3, v7
	s_cbranch_scc1 .LBB52_28
.LBB52_23:                              ; =>This Loop Header: Depth=1
                                        ;     Child Loop BB52_25 Depth 2
	v_mov_b32_e32 v7, s12
	v_mov_b32_e32 v8, 0xff800000
	s_and_saveexec_b64 s[8:9], s[0:1]
	s_cbranch_execz .LBB52_22
; %bb.24:                               ;   in Loop: Header=BB52_23 Depth=1
	s_load_dword s14, s[2:3], 0xc
	s_mov_b64 s[10:11], 0
	v_mov_b32_e32 v7, s12
	v_mov_b32_e32 v8, 0xff800000
	v_mov_b32_e32 v9, v6
	s_waitcnt lgkmcnt(0)
	s_and_b32 s14, s14, 0xffff
	s_lshl_b32 s15, s14, 2
	s_lshl_b32 s22, s14, 4
	v_mov_b32_e32 v10, v1
	v_mov_b32_e32 v11, v0
.LBB52_25:                              ;   Parent Loop BB52_23 Depth=1
                                        ; =>  This Inner Loop Header: Depth=2
	ds_read_b128 v[12:15], v9
	v_add_u32_e32 v11, s14, v11
	v_cmp_le_i32_e32 vcc, s7, v11
	s_or_b64 s[10:11], vcc, s[10:11]
	v_add_u32_e32 v16, 1, v10
	s_waitcnt lgkmcnt(0)
	v_cmp_gt_f32_e32 vcc, v12, v8
	v_cndmask_b32_e32 v8, v8, v12, vcc
	v_cndmask_b32_e32 v7, v7, v10, vcc
	v_cmp_gt_f32_e32 vcc, v13, v8
	v_cndmask_b32_e32 v8, v8, v13, vcc
	v_cndmask_b32_e32 v7, v7, v16, vcc
	v_cmp_gt_f32_e32 vcc, v14, v8
	v_add_u32_e32 v17, 2, v10
	v_cndmask_b32_e32 v8, v8, v14, vcc
	v_add_u32_e32 v18, 3, v10
	v_cndmask_b32_e32 v7, v7, v17, vcc
	v_cmp_gt_f32_e32 vcc, v15, v8
	v_add_u32_e32 v9, s22, v9
	v_add_u32_e32 v10, s15, v10
	v_cndmask_b32_e32 v8, v8, v15, vcc
	v_cndmask_b32_e32 v7, v7, v18, vcc
	s_andn2_b64 exec, exec, s[10:11]
	s_cbranch_execnz .LBB52_25
; %bb.26:                               ;   in Loop: Header=BB52_23 Depth=1
	s_or_b64 exec, exec, s[10:11]
	s_branch .LBB52_22
.LBB52_27:
	v_mov_b32_e32 v3, 0
                                        ; implicit-def: $vgpr4
                                        ; implicit-def: $vgpr2
.LBB52_28:
	v_cmp_gt_i32_e32 vcc, s13, v0
	s_and_saveexec_b64 s[0:1], vcc
	s_cbranch_execz .LBB52_31
; %bb.29:
	s_load_dword s7, s[4:5], 0x38
	s_load_dwordx2 s[0:1], s[4:5], 0x20
	s_load_dword s8, s[4:5], 0x4c
	s_waitcnt lgkmcnt(0)
	v_div_scale_f32 v1, s[2:3], v3, v3, s7
	v_rcp_f32_e32 v5, v1
	v_div_scale_f32 v6, vcc, s7, v3, s7
	s_ashr_i32 s2, s6, 31
	v_fma_f32 v7, -v1, v5, 1.0
	v_fmac_f32_e32 v5, v7, v5
	v_mul_f32_e32 v7, v6, v5
	v_fma_f32 v8, -v1, v7, v6
	v_fmac_f32_e32 v7, v8, v5
	v_fma_f32 v1, -v1, v7, v6
	s_mul_i32 s1, s6, s1
	s_mul_hi_u32 s3, s6, s0
	v_div_fmas_f32 v1, v1, v5, v7
	s_add_i32 s1, s3, s1
	s_mul_i32 s2, s2, s0
	v_div_fixup_f32 v1, v1, v3, s7
	s_add_i32 s4, s1, s2
	v_mul_f32_e32 v1, v1, v4
	s_mul_i32 s2, s6, s0
	s_and_b32 s3, s8, 0xffff
	s_mov_b64 s[0:1], 0
	v_mov_b32_e32 v3, s4
	v_mov_b32_e32 v4, s19
	;; [unrolled: 1-line block ×3, first 2 shown]
.LBB52_30:                              ; =>This Inner Loop Header: Depth=1
	v_ashrrev_i32_e32 v7, 31, v0
	v_add_co_u32_e32 v6, vcc, s2, v0
	v_addc_co_u32_e32 v7, vcc, v3, v7, vcc
	v_add_u32_e32 v0, s3, v0
	v_cmp_le_i32_e32 vcc, s13, v0
	v_lshlrev_b64 v[6:7], 2, v[6:7]
	s_or_b64 s[0:1], vcc, s[0:1]
	v_add_co_u32_e32 v8, vcc, s18, v6
	v_addc_co_u32_e32 v9, vcc, v4, v7, vcc
	v_add_co_u32_e32 v6, vcc, s20, v6
	v_addc_co_u32_e32 v7, vcc, v5, v7, vcc
	global_store_dword v[8:9], v1, off
	global_store_dword v[6:7], v2, off
	s_andn2_b64 exec, exec, s[0:1]
	s_cbranch_execnz .LBB52_30
.LBB52_31:
	s_endpgm
	.section	.rodata,"a",@progbits
	.p2align	6, 0x0
	.amdhsa_kernel _ZN5aiter19grouped_topk_kernelIfDv4_fLi2ELb1ELb1ELb0EEEvPT_PKS2_PfPimiiiif
		.amdhsa_group_segment_fixed_size 0
		.amdhsa_private_segment_fixed_size 0
		.amdhsa_kernarg_size 320
		.amdhsa_user_sgpr_count 6
		.amdhsa_user_sgpr_private_segment_buffer 1
		.amdhsa_user_sgpr_dispatch_ptr 0
		.amdhsa_user_sgpr_queue_ptr 0
		.amdhsa_user_sgpr_kernarg_segment_ptr 1
		.amdhsa_user_sgpr_dispatch_id 0
		.amdhsa_user_sgpr_flat_scratch_init 0
		.amdhsa_user_sgpr_kernarg_preload_length 0
		.amdhsa_user_sgpr_kernarg_preload_offset 0
		.amdhsa_user_sgpr_private_segment_size 0
		.amdhsa_uses_dynamic_stack 0
		.amdhsa_system_sgpr_private_segment_wavefront_offset 0
		.amdhsa_system_sgpr_workgroup_id_x 1
		.amdhsa_system_sgpr_workgroup_id_y 0
		.amdhsa_system_sgpr_workgroup_id_z 0
		.amdhsa_system_sgpr_workgroup_info 0
		.amdhsa_system_vgpr_workitem_id 0
		.amdhsa_next_free_vgpr 37
		.amdhsa_next_free_sgpr 32
		.amdhsa_accum_offset 40
		.amdhsa_reserve_vcc 1
		.amdhsa_reserve_flat_scratch 0
		.amdhsa_float_round_mode_32 0
		.amdhsa_float_round_mode_16_64 0
		.amdhsa_float_denorm_mode_32 3
		.amdhsa_float_denorm_mode_16_64 3
		.amdhsa_dx10_clamp 1
		.amdhsa_ieee_mode 1
		.amdhsa_fp16_overflow 0
		.amdhsa_tg_split 0
		.amdhsa_exception_fp_ieee_invalid_op 0
		.amdhsa_exception_fp_denorm_src 0
		.amdhsa_exception_fp_ieee_div_zero 0
		.amdhsa_exception_fp_ieee_overflow 0
		.amdhsa_exception_fp_ieee_underflow 0
		.amdhsa_exception_fp_ieee_inexact 0
		.amdhsa_exception_int_div_zero 0
	.end_amdhsa_kernel
	.section	.text._ZN5aiter19grouped_topk_kernelIfDv4_fLi2ELb1ELb1ELb0EEEvPT_PKS2_PfPimiiiif,"axG",@progbits,_ZN5aiter19grouped_topk_kernelIfDv4_fLi2ELb1ELb1ELb0EEEvPT_PKS2_PfPimiiiif,comdat
.Lfunc_end52:
	.size	_ZN5aiter19grouped_topk_kernelIfDv4_fLi2ELb1ELb1ELb0EEEvPT_PKS2_PfPimiiiif, .Lfunc_end52-_ZN5aiter19grouped_topk_kernelIfDv4_fLi2ELb1ELb1ELb0EEEvPT_PKS2_PfPimiiiif
                                        ; -- End function
	.section	.AMDGPU.csdata,"",@progbits
; Kernel info:
; codeLenInByte = 2500
; NumSgprs: 36
; NumVgprs: 37
; NumAgprs: 0
; TotalNumVgprs: 37
; ScratchSize: 0
; MemoryBound: 0
; FloatMode: 240
; IeeeMode: 1
; LDSByteSize: 0 bytes/workgroup (compile time only)
; SGPRBlocks: 4
; VGPRBlocks: 4
; NumSGPRsForWavesPerEU: 36
; NumVGPRsForWavesPerEU: 37
; AccumOffset: 40
; Occupancy: 8
; WaveLimiterHint : 0
; COMPUTE_PGM_RSRC2:SCRATCH_EN: 0
; COMPUTE_PGM_RSRC2:USER_SGPR: 6
; COMPUTE_PGM_RSRC2:TRAP_HANDLER: 0
; COMPUTE_PGM_RSRC2:TGID_X_EN: 1
; COMPUTE_PGM_RSRC2:TGID_Y_EN: 0
; COMPUTE_PGM_RSRC2:TGID_Z_EN: 0
; COMPUTE_PGM_RSRC2:TIDIG_COMP_CNT: 0
; COMPUTE_PGM_RSRC3_GFX90A:ACCUM_OFFSET: 9
; COMPUTE_PGM_RSRC3_GFX90A:TG_SPLIT: 0
	.section	.text._ZN5aiter19grouped_topk_kernelIN3c104HalfEDv4_fLi2ELb1ELb1ELb0EEEvPT_PKS4_PfPimiiiif,"axG",@progbits,_ZN5aiter19grouped_topk_kernelIN3c104HalfEDv4_fLi2ELb1ELb1ELb0EEEvPT_PKS4_PfPimiiiif,comdat
	.protected	_ZN5aiter19grouped_topk_kernelIN3c104HalfEDv4_fLi2ELb1ELb1ELb0EEEvPT_PKS4_PfPimiiiif ; -- Begin function _ZN5aiter19grouped_topk_kernelIN3c104HalfEDv4_fLi2ELb1ELb1ELb0EEEvPT_PKS4_PfPimiiiif
	.globl	_ZN5aiter19grouped_topk_kernelIN3c104HalfEDv4_fLi2ELb1ELb1ELb0EEEvPT_PKS4_PfPimiiiif
	.p2align	8
	.type	_ZN5aiter19grouped_topk_kernelIN3c104HalfEDv4_fLi2ELb1ELb1ELb0EEEvPT_PKS4_PfPimiiiif,@function
_ZN5aiter19grouped_topk_kernelIN3c104HalfEDv4_fLi2ELb1ELb1ELb0EEEvPT_PKS4_PfPimiiiif: ; @_ZN5aiter19grouped_topk_kernelIN3c104HalfEDv4_fLi2ELb1ELb1ELb0EEEvPT_PKS4_PfPimiiiif
; %bb.0:
	s_load_dwordx4 s[12:15], s[4:5], 0x28
	s_load_dwordx4 s[16:19], s[4:5], 0x8
	s_load_dwordx2 s[20:21], s[4:5], 0x18
	v_lshl_add_u32 v8, v0, 4, 0
	s_waitcnt lgkmcnt(0)
	s_ashr_i32 s15, s12, 31
	s_lshr_b32 s0, s15, 30
	s_add_i32 s0, s12, s0
	s_ashr_i32 s7, s0, 2
	v_cmp_gt_i32_e64 s[0:1], s7, v0
	s_and_saveexec_b64 s[22:23], s[0:1]
	s_cbranch_execz .LBB53_3
; %bb.1:
	s_load_dwordx2 s[2:3], s[4:5], 0x0
	s_load_dword s10, s[4:5], 0x4c
	s_mul_i32 s8, s6, s12
	s_ashr_i32 s9, s8, 31
	s_lshl_b64 s[8:9], s[8:9], 1
	s_waitcnt lgkmcnt(0)
	s_add_u32 s26, s2, s8
	s_addc_u32 s2, s3, s9
	s_and_b32 s27, s10, 0xffff
	s_mov_b32 s3, 0
	v_lshlrev_b32_e32 v2, 3, v0
	v_mov_b32_e32 v1, 0
	s_lshl_b32 s28, s27, 3
	v_lshl_add_u32 v3, v0, 4, 0
	s_lshl_b32 s29, s27, 4
	s_mov_b64 s[24:25], 0
	v_mov_b32_e32 v9, s2
	v_mov_b32_e32 v10, s17
	s_mov_b32 s30, 0x3fb8aa3b
	s_mov_b32 s31, 0x32a5705f
	;; [unrolled: 1-line block ×4, first 2 shown]
	v_mov_b32_e32 v11, 0x7f800000
	v_mov_b32_e32 v12, s3
	;; [unrolled: 1-line block ×3, first 2 shown]
.LBB53_2:                               ; =>This Inner Loop Header: Depth=1
	v_add_co_u32_e32 v4, vcc, s26, v2
	v_addc_co_u32_e32 v5, vcc, v9, v1, vcc
	v_add_co_u32_e32 v6, vcc, s16, v2
	v_addc_co_u32_e32 v7, vcc, v10, v1, vcc
	global_load_dwordx2 v[14:15], v[6:7], off
	global_load_dwordx2 v[16:17], v[4:5], off
	v_add_co_u32_e32 v2, vcc, s28, v2
	v_add_u32_e32 v13, s27, v13
	v_addc_co_u32_e32 v1, vcc, v1, v12, vcc
	v_cmp_le_i32_e32 vcc, s7, v13
	s_or_b64 s[24:25], vcc, s[24:25]
	s_waitcnt vmcnt(1)
	v_cvt_f32_f16_e32 v4, v14
	v_cvt_f32_f16_sdwa v5, v14 dst_sel:DWORD dst_unused:UNUSED_PAD src0_sel:WORD_1
	v_cvt_f32_f16_e32 v6, v15
	v_cvt_f32_f16_sdwa v7, v15 dst_sel:DWORD dst_unused:UNUSED_PAD src0_sel:WORD_1
	s_waitcnt vmcnt(0)
	v_cvt_f32_f16_e64 v14, -v16
	v_cvt_f32_f16_sdwa v15, -v16 dst_sel:DWORD dst_unused:UNUSED_PAD src0_sel:WORD_1
	v_cvt_f32_f16_e64 v18, -v17
	v_cvt_f32_f16_sdwa v19, -v17 dst_sel:DWORD dst_unused:UNUSED_PAD src0_sel:WORD_1
	v_mul_f32_e32 v20, 0x3fb8aa3b, v14
	v_mul_f32_e32 v21, 0x3fb8aa3b, v15
	v_fma_mix_f32 v24, -v16, s30, -v20 op_sel_hi:[1,0,0]
	v_rndne_f32_e32 v25, v20
	v_fma_mix_f32 v26, -v16, s30, -v21 op_sel:[1,0,0] op_sel_hi:[1,0,0]
	v_rndne_f32_e32 v27, v21
	v_mul_f32_e32 v22, 0x3fb8aa3b, v18
	v_mul_f32_e32 v23, 0x3fb8aa3b, v19
	v_fma_mix_f32 v24, -v16, s31, v24 op_sel_hi:[1,0,0]
	v_sub_f32_e32 v20, v20, v25
	v_fma_mix_f32 v16, -v16, s31, v26 op_sel:[1,0,0] op_sel_hi:[1,0,0]
	v_sub_f32_e32 v21, v21, v27
	v_fma_mix_f32 v28, -v17, s30, -v22 op_sel_hi:[1,0,0]
	v_rndne_f32_e32 v29, v22
	v_fma_mix_f32 v30, -v17, s30, -v23 op_sel:[1,0,0] op_sel_hi:[1,0,0]
	v_rndne_f32_e32 v31, v23
	v_add_f32_e32 v20, v20, v24
	v_add_f32_e32 v16, v21, v16
	v_cvt_i32_f32_e32 v25, v25
	v_cvt_i32_f32_e32 v26, v27
	v_fma_mix_f32 v27, -v17, s31, v28 op_sel_hi:[1,0,0]
	v_sub_f32_e32 v22, v22, v29
	v_fma_mix_f32 v17, -v17, s31, v30 op_sel:[1,0,0] op_sel_hi:[1,0,0]
	v_sub_f32_e32 v23, v23, v31
	v_exp_f32_e32 v20, v20
	v_exp_f32_e32 v16, v16
	v_add_f32_e32 v21, v22, v27
	v_add_f32_e32 v17, v23, v17
	v_cvt_i32_f32_e32 v28, v29
	v_cvt_i32_f32_e32 v29, v31
	v_exp_f32_e32 v21, v21
	v_exp_f32_e32 v17, v17
	v_ldexp_f32 v20, v20, v25
	v_ldexp_f32 v16, v16, v26
	v_cmp_ngt_f32_e32 vcc, s33, v15
	v_cmp_ngt_f32_e64 s[10:11], s33, v14
	v_cndmask_b32_e64 v20, 0, v20, s[10:11]
	v_cndmask_b32_e32 v16, 0, v16, vcc
	v_cmp_nlt_f32_e32 vcc, s34, v15
	v_cmp_nlt_f32_e64 s[10:11], s34, v14
	v_ldexp_f32 v21, v21, v28
	v_cmp_ngt_f32_e64 s[2:3], s33, v18
	v_ldexp_f32 v17, v17, v29
	v_cmp_ngt_f32_e64 s[8:9], s33, v19
	v_cndmask_b32_e64 v14, v11, v20, s[10:11]
	v_cndmask_b32_e32 v15, v11, v16, vcc
	v_cndmask_b32_e64 v21, 0, v21, s[2:3]
	v_cmp_nlt_f32_e64 s[2:3], s34, v18
	v_cndmask_b32_e64 v17, 0, v17, s[8:9]
	v_cmp_nlt_f32_e64 s[8:9], s34, v19
	v_pk_add_f32 v[14:15], v[14:15], 1.0 op_sel_hi:[1,0]
	v_cndmask_b32_e64 v16, v11, v21, s[2:3]
	v_cndmask_b32_e64 v17, v11, v17, s[8:9]
	v_div_scale_f32 v18, s[2:3], v15, v15, 1.0
	v_pk_add_f32 v[16:17], v[16:17], 1.0 op_sel_hi:[1,0]
	v_div_scale_f32 v20, s[2:3], v14, v14, 1.0
	v_rcp_f32_e32 v26, v18
	v_div_scale_f32 v22, s[8:9], v17, v17, 1.0
	v_rcp_f32_e32 v27, v20
	;; [unrolled: 2-line block ×3, first 2 shown]
	v_rcp_f32_e32 v29, v24
	v_fma_f32 v30, -v18, v26, 1.0
	v_div_scale_f32 v19, vcc, 1.0, v15, 1.0
	v_fma_f32 v31, -v20, v27, 1.0
	v_fmac_f32_e32 v26, v30, v26
	v_div_scale_f32 v21, s[2:3], 1.0, v14, 1.0
	v_fma_f32 v32, -v22, v28, 1.0
	v_fmac_f32_e32 v27, v31, v27
	v_mul_f32_e32 v30, v19, v26
	v_div_scale_f32 v23, s[8:9], 1.0, v17, 1.0
	v_fma_f32 v33, -v24, v29, 1.0
	v_fmac_f32_e32 v28, v32, v28
	v_mul_f32_e32 v31, v21, v27
	v_fma_f32 v34, -v18, v30, v19
	v_div_scale_f32 v25, s[10:11], 1.0, v16, 1.0
	v_fmac_f32_e32 v29, v33, v29
	v_mul_f32_e32 v32, v23, v28
	v_fma_f32 v35, -v20, v31, v21
	v_fmac_f32_e32 v30, v34, v26
	v_mul_f32_e32 v33, v25, v29
	v_fma_f32 v36, -v22, v32, v23
	v_fmac_f32_e32 v31, v35, v27
	v_fma_f32 v18, -v18, v30, v19
	v_fma_f32 v37, -v24, v33, v25
	v_fmac_f32_e32 v32, v36, v28
	v_fma_f32 v19, -v20, v31, v21
	v_div_fmas_f32 v18, v18, v26, v30
	s_mov_b64 vcc, s[2:3]
	v_fmac_f32_e32 v33, v37, v29
	v_fma_f32 v20, -v22, v32, v23
	v_div_fixup_f32 v15, v18, v15, 1.0
	v_div_fmas_f32 v18, v19, v27, v31
	s_mov_b64 vcc, s[8:9]
	v_fma_f32 v21, -v24, v33, v25
	v_div_fixup_f32 v14, v18, v14, 1.0
	v_div_fmas_f32 v18, v20, v28, v32
	s_mov_b64 vcc, s[10:11]
	v_div_fixup_f32 v17, v18, v17, 1.0
	v_div_fmas_f32 v18, v21, v29, v33
	v_div_fixup_f32 v16, v18, v16, 1.0
	v_pk_add_f32 v[4:5], v[14:15], v[4:5]
	v_pk_add_f32 v[6:7], v[16:17], v[6:7]
	ds_write_b128 v3, v[4:7]
	v_add_u32_e32 v3, s29, v3
	s_andn2_b64 exec, exec, s[24:25]
	s_cbranch_execnz .LBB53_2
.LBB53_3:
	s_or_b64 exec, exec, s[22:23]
	s_lshr_b32 s2, s12, 31
	s_add_i32 s2, s12, s2
	s_ashr_i32 s29, s2, 1
	s_lshl_b32 s2, s12, 2
	s_add_i32 s28, s2, 0
	v_cmp_gt_u32_e32 vcc, 64, v0
	s_waitcnt lgkmcnt(0)
	s_barrier
	s_and_saveexec_b64 s[10:11], vcc
	s_cbranch_execz .LBB53_12
; %bb.4:
	s_load_dword s8, s[4:5], 0x4c
	v_lshrrev_b32_e32 v2, 5, v0
	s_lshr_b32 s2, s15, 29
	v_and_b32_e32 v1, 31, v0
	s_add_i32 s2, s12, s2
	s_waitcnt lgkmcnt(0)
	s_bfe_u32 s15, s8, 0xb0005
	v_mul_lo_u32 v3, s29, v2
	s_ashr_i32 s12, s2, 3
	v_lshlrev_b32_e32 v3, 2, v3
	v_lshlrev_b32_e32 v4, 4, v1
	s_mul_i32 s8, s29, s15
	v_cmp_gt_i32_e32 vcc, s12, v1
	v_cmp_eq_u32_e64 s[2:3], 0, v1
	v_add3_u32 v3, v3, v4, 0
	s_lshl_b32 s30, s8, 2
	s_mov_b64 s[22:23], 0
	s_branch .LBB53_6
.LBB53_5:                               ;   in Loop: Header=BB53_6 Depth=1
	s_or_b64 exec, exec, s[8:9]
	v_add_u32_e32 v2, s15, v2
	v_cmp_lt_u32_e64 s[8:9], 1, v2
	s_or_b64 s[22:23], s[8:9], s[22:23]
	v_add_u32_e32 v3, s30, v3
	s_andn2_b64 exec, exec, s[22:23]
	s_cbranch_execz .LBB53_12
.LBB53_6:                               ; =>This Loop Header: Depth=1
                                        ;     Child Loop BB53_8 Depth 2
	v_mov_b32_e32 v4, 0xff800000
	v_mov_b32_e32 v7, 0xff800000
	s_and_saveexec_b64 s[24:25], vcc
	s_cbranch_execz .LBB53_10
; %bb.7:                                ;   in Loop: Header=BB53_6 Depth=1
	s_mov_b64 s[26:27], 0
	v_mov_b32_e32 v4, 0xff800000
	v_mov_b32_e32 v5, v3
	;; [unrolled: 1-line block ×4, first 2 shown]
.LBB53_8:                               ;   Parent Loop BB53_6 Depth=1
                                        ; =>  This Inner Loop Header: Depth=2
	ds_read_b128 v[10:13], v5
	v_add_u32_e32 v6, 32, v6
	v_max_f32_e32 v7, v7, v7
	v_cmp_le_i32_e64 s[8:9], s12, v6
	s_or_b64 s[26:27], s[8:9], s[26:27]
	s_waitcnt lgkmcnt(0)
	v_max_f32_e32 v14, v10, v10
	v_max_f32_e32 v7, v14, v7
	v_cmp_gt_f32_e64 s[8:9], v10, v4
	v_max_f32_e32 v9, v4, v4
	v_cndmask_b32_e64 v4, v7, v4, s[8:9]
	v_max_f32_e32 v15, v11, v11
	v_max_f32_e32 v9, v14, v9
	;; [unrolled: 1-line block ×4, first 2 shown]
	v_cmp_gt_f32_e64 s[8:9], v11, v9
	v_max_f32_e32 v16, v12, v12
	v_max_f32_e32 v7, v15, v9
	v_cndmask_b32_e64 v9, v14, v9, s[8:9]
	v_max_f32_e32 v9, v16, v9
	v_cmp_gt_f32_e64 s[8:9], v12, v7
	v_max_f32_e32 v17, v13, v13
	v_max_f32_e32 v10, v16, v7
	v_cndmask_b32_e64 v7, v9, v7, s[8:9]
	v_max_f32_e32 v7, v17, v7
	v_cmp_gt_f32_e64 s[8:9], v13, v10
	v_add_u32_e32 v5, 0x200, v5
	v_max_f32_e32 v4, v17, v10
	v_cndmask_b32_e64 v7, v7, v10, s[8:9]
	s_andn2_b64 exec, exec, s[26:27]
	s_cbranch_execnz .LBB53_8
; %bb.9:                                ;   in Loop: Header=BB53_6 Depth=1
	s_or_b64 exec, exec, s[26:27]
.LBB53_10:                              ;   in Loop: Header=BB53_6 Depth=1
	s_or_b64 exec, exec, s[24:25]
	s_and_saveexec_b64 s[8:9], s[2:3]
	s_cbranch_execz .LBB53_5
; %bb.11:                               ;   in Loop: Header=BB53_6 Depth=1
	v_lshl_add_u32 v5, v2, 2, s28
	v_add_f32_e32 v4, v7, v4
	ds_write_b32 v5, v4
	s_branch .LBB53_5
.LBB53_12:
	s_or_b64 exec, exec, s[10:11]
	s_cmp_lt_i32 s14, 1
	s_waitcnt lgkmcnt(0)
	s_barrier
	s_cbranch_scc1 .LBB53_15
; %bb.13:
	v_mov_b32_e32 v1, s28
	s_mov_b32 s2, 0xff800000
	v_mov_b32_e32 v2, 0xff800000
.LBB53_14:                              ; =>This Inner Loop Header: Depth=1
	ds_read2_b32 v[4:5], v1 offset1:1
	s_add_i32 s14, s14, -1
	s_cmp_lg_u32 s14, 0
	s_waitcnt lgkmcnt(0)
	v_cmp_nlg_f32_e32 vcc, s2, v4
	v_cndmask_b32_e64 v3, 0, 1, vcc
	v_cmp_lg_f32_e32 vcc, s2, v4
	v_cndmask_b32_e32 v4, v2, v4, vcc
	v_lshlrev_b32_e32 v3, 1, v3
	v_cmp_ngt_f32_e32 vcc, v5, v4
	v_cndmask_b32_e32 v3, 1, v3, vcc
	v_lshlrev_b32_e32 v3, 2, v3
	v_add_u32_e32 v3, s28, v3
	ds_write_b32 v3, v2
	s_cbranch_scc1 .LBB53_14
.LBB53_15:
	v_lshlrev_b32_e32 v6, 2, v0
	s_and_saveexec_b64 s[2:3], s[0:1]
	s_cbranch_execz .LBB53_20
; %bb.16:
	s_abs_i32 s12, s29
	v_cvt_f32_u32_e32 v2, s12
	s_load_dword s10, s[4:5], 0x4c
	s_sub_i32 s11, 0, s12
	s_ashr_i32 s14, s29, 31
	v_rcp_iflag_f32_e32 v2, v2
	v_lshlrev_b32_e32 v1, 2, v0
	s_waitcnt lgkmcnt(0)
	s_and_b32 s15, s10, 0xffff
	v_lshl_add_u32 v7, v0, 4, 0
	v_mul_f32_e32 v2, 0x4f7ffffe, v2
	v_cvt_u32_f32_e32 v2, v2
	s_mov_b64 s[8:9], 0
	s_lshl_b32 s22, s15, 2
	s_lshl_b32 s23, s15, 4
	v_mul_lo_u32 v3, s11, v2
	v_mul_hi_u32 v3, v2, v3
	v_add_u32_e32 v9, v2, v3
	s_mov_b32 s24, 0xff800000
	v_mov_b32_e32 v2, 0xff800000
	v_mov_b32_e32 v10, v0
	s_branch .LBB53_18
.LBB53_17:                              ;   in Loop: Header=BB53_18 Depth=1
	s_or_b64 exec, exec, s[10:11]
	v_add_u32_e32 v10, s15, v10
	v_cmp_le_i32_e32 vcc, s7, v10
	v_add_u32_e32 v1, s22, v1
	s_or_b64 s[8:9], vcc, s[8:9]
	v_add_u32_e32 v7, s23, v7
	s_andn2_b64 exec, exec, s[8:9]
	s_cbranch_execz .LBB53_20
.LBB53_18:                              ; =>This Inner Loop Header: Depth=1
	v_mul_hi_u32 v3, v1, v9
	v_mul_lo_u32 v4, v3, s12
	v_sub_u32_e32 v4, v1, v4
	v_add_u32_e32 v5, 1, v3
	v_cmp_le_u32_e32 vcc, s12, v4
	v_cndmask_b32_e32 v3, v3, v5, vcc
	v_subrev_u32_e32 v5, s12, v4
	v_cndmask_b32_e32 v4, v4, v5, vcc
	v_add_u32_e32 v5, 1, v3
	v_cmp_le_u32_e32 vcc, s12, v4
	v_cndmask_b32_e32 v3, v3, v5, vcc
	v_xor_b32_e32 v3, s14, v3
	v_subrev_u32_e32 v3, s14, v3
	v_lshl_add_u32 v3, v3, 2, s28
	ds_read_b32 v3, v3
	s_waitcnt lgkmcnt(0)
	v_cmp_neq_f32_e32 vcc, s24, v3
	s_and_saveexec_b64 s[10:11], vcc
	s_cbranch_execz .LBB53_17
; %bb.19:                               ;   in Loop: Header=BB53_18 Depth=1
	v_mov_b32_e32 v3, v2
	v_mov_b32_e32 v4, v2
	;; [unrolled: 1-line block ×3, first 2 shown]
	ds_write_b128 v7, v[2:5]
	s_branch .LBB53_17
.LBB53_20:
	s_or_b64 exec, exec, s[2:3]
	s_cmp_lt_i32 s13, 1
	s_waitcnt lgkmcnt(0)
	s_barrier
	s_cbranch_scc1 .LBB53_27
; %bb.21:
	s_add_u32 s2, s4, 64
	s_addc_u32 s3, s5, 0
	s_mov_b32 s12, 0
	v_mov_b32_e32 v4, 0
	v_mov_b32_e32 v5, 0xff800000
	;; [unrolled: 1-line block ×3, first 2 shown]
                                        ; implicit-def: $vgpr2
                                        ; implicit-def: $vgpr1
	s_branch .LBB53_23
.LBB53_22:                              ;   in Loop: Header=BB53_23 Depth=1
	s_or_b64 exec, exec, s[8:9]
	v_mov_b32_dpp v11, v9 quad_perm:[1,0,3,2] row_mask:0xf bank_mask:0xf
	v_cmp_lt_f32_e32 vcc, v9, v11
	v_cndmask_b32_e32 v9, v9, v11, vcc
	v_mov_b32_dpp v10, v7 quad_perm:[1,0,3,2] row_mask:0xf bank_mask:0xf
	v_cndmask_b32_e32 v7, v7, v10, vcc
	v_mov_b32_dpp v11, v9 quad_perm:[2,3,0,1] row_mask:0xf bank_mask:0xf
	v_cmp_gt_f32_e32 vcc, v11, v9
	v_cndmask_b32_e32 v9, v9, v11, vcc
	v_mov_b32_dpp v10, v7 quad_perm:[2,3,0,1] row_mask:0xf bank_mask:0xf
	v_cndmask_b32_e32 v7, v7, v10, vcc
	v_mov_b32_dpp v11, v9 row_half_mirror row_mask:0xf bank_mask:0xf
	v_cmp_gt_f32_e32 vcc, v11, v9
	v_cndmask_b32_e32 v9, v9, v11, vcc
	v_mov_b32_dpp v10, v7 row_half_mirror row_mask:0xf bank_mask:0xf
	v_cndmask_b32_e32 v7, v7, v10, vcc
	v_mov_b32_dpp v11, v9 row_mirror row_mask:0xf bank_mask:0xf
	v_cmp_gt_f32_e32 vcc, v11, v9
	v_cndmask_b32_e32 v9, v9, v11, vcc
	v_mov_b32_dpp v10, v7 row_mirror row_mask:0xf bank_mask:0xf
	v_cndmask_b32_e32 v7, v7, v10, vcc
	v_mov_b32_dpp v11, v9 row_bcast:15 row_mask:0xf bank_mask:0xf
	v_cmp_gt_f32_e32 vcc, v11, v9
	v_mov_b32_dpp v10, v7 row_bcast:15 row_mask:0xf bank_mask:0xf
	v_cndmask_b32_e32 v9, v9, v11, vcc
	v_cndmask_b32_e32 v7, v7, v10, vcc
	s_nop 0
	v_mov_b32_dpp v11, v9 row_bcast:31 row_mask:0xf bank_mask:0xf
	v_mov_b32_dpp v10, v7 row_bcast:31 row_mask:0xf bank_mask:0xf
	v_cmp_gt_f32_e32 vcc, v11, v9
	v_cndmask_b32_e32 v7, v7, v10, vcc
	v_readlane_b32 s8, v7, 63
	s_ashr_i32 s9, s8, 31
	s_lshl_b64 s[10:11], s[8:9], 1
	s_add_u32 s10, s16, s10
	s_addc_u32 s11, s17, s11
	global_load_ushort v7, v4, s[10:11]
	v_cndmask_b32_e32 v9, v9, v11, vcc
	v_readlane_b32 s9, v9, 63
	v_mov_b32_e32 v9, s8
	s_lshl_b32 s8, s8, 2
	v_cmp_eq_u32_e32 vcc, s12, v0
	s_add_i32 s12, s12, 1
	s_add_i32 s8, s8, 0
	v_cndmask_b32_e32 v1, v1, v9, vcc
	v_mov_b32_e32 v9, s8
	s_cmp_eq_u32 s12, s13
	ds_write_b32 v9, v5
	s_waitcnt vmcnt(0)
	v_cvt_f32_f16_e32 v7, v7
	v_sub_f32_e32 v7, s9, v7
	v_cndmask_b32_e32 v2, v2, v7, vcc
	v_add_f32_e32 v3, v3, v7
	s_cbranch_scc1 .LBB53_28
.LBB53_23:                              ; =>This Loop Header: Depth=1
                                        ;     Child Loop BB53_25 Depth 2
	v_mov_b32_e32 v7, s12
	v_mov_b32_e32 v9, 0xff800000
	s_and_saveexec_b64 s[8:9], s[0:1]
	s_cbranch_execz .LBB53_22
; %bb.24:                               ;   in Loop: Header=BB53_23 Depth=1
	s_load_dword s14, s[2:3], 0xc
	s_mov_b64 s[10:11], 0
	v_mov_b32_e32 v7, s12
	v_mov_b32_e32 v9, 0xff800000
	;; [unrolled: 1-line block ×3, first 2 shown]
	s_waitcnt lgkmcnt(0)
	s_and_b32 s14, s14, 0xffff
	s_lshl_b32 s15, s14, 2
	s_lshl_b32 s22, s14, 4
	v_mov_b32_e32 v11, v6
	v_mov_b32_e32 v12, v0
.LBB53_25:                              ;   Parent Loop BB53_23 Depth=1
                                        ; =>  This Inner Loop Header: Depth=2
	ds_read_b128 v[14:17], v10
	v_add_u32_e32 v12, s14, v12
	v_cmp_le_i32_e32 vcc, s7, v12
	s_or_b64 s[10:11], vcc, s[10:11]
	v_add_u32_e32 v13, 1, v11
	s_waitcnt lgkmcnt(0)
	v_cmp_gt_f32_e32 vcc, v14, v9
	v_cndmask_b32_e32 v9, v9, v14, vcc
	v_cndmask_b32_e32 v7, v7, v11, vcc
	v_cmp_gt_f32_e32 vcc, v15, v9
	v_cndmask_b32_e32 v9, v9, v15, vcc
	v_cndmask_b32_e32 v7, v7, v13, vcc
	v_cmp_gt_f32_e32 vcc, v16, v9
	v_add_u32_e32 v18, 2, v11
	v_cndmask_b32_e32 v9, v9, v16, vcc
	v_add_u32_e32 v19, 3, v11
	v_cndmask_b32_e32 v7, v7, v18, vcc
	v_cmp_gt_f32_e32 vcc, v17, v9
	v_add_u32_e32 v10, s22, v10
	v_add_u32_e32 v11, s15, v11
	v_cndmask_b32_e32 v9, v9, v17, vcc
	v_cndmask_b32_e32 v7, v7, v19, vcc
	s_andn2_b64 exec, exec, s[10:11]
	s_cbranch_execnz .LBB53_25
; %bb.26:                               ;   in Loop: Header=BB53_23 Depth=1
	s_or_b64 exec, exec, s[10:11]
	s_branch .LBB53_22
.LBB53_27:
	v_mov_b32_e32 v3, 0
                                        ; implicit-def: $vgpr2
                                        ; implicit-def: $vgpr1
.LBB53_28:
	v_cmp_gt_i32_e32 vcc, s13, v0
	s_and_saveexec_b64 s[0:1], vcc
	s_cbranch_execz .LBB53_31
; %bb.29:
	s_load_dword s7, s[4:5], 0x38
	s_load_dwordx2 s[0:1], s[4:5], 0x20
	s_load_dword s8, s[4:5], 0x4c
	s_waitcnt lgkmcnt(0)
	v_div_scale_f32 v4, s[2:3], v3, v3, s7
	v_rcp_f32_e32 v5, v4
	v_div_scale_f32 v6, vcc, s7, v3, s7
	s_ashr_i32 s2, s6, 31
	v_fma_f32 v7, -v4, v5, 1.0
	v_fmac_f32_e32 v5, v7, v5
	v_mul_f32_e32 v7, v6, v5
	v_fma_f32 v8, -v4, v7, v6
	v_fmac_f32_e32 v7, v8, v5
	v_fma_f32 v4, -v4, v7, v6
	s_mul_i32 s1, s6, s1
	s_mul_hi_u32 s3, s6, s0
	v_div_fmas_f32 v4, v4, v5, v7
	s_add_i32 s1, s3, s1
	s_mul_i32 s2, s2, s0
	v_div_fixup_f32 v3, v4, v3, s7
	s_add_i32 s4, s1, s2
	v_mul_f32_e32 v2, v3, v2
	s_mul_i32 s2, s6, s0
	s_and_b32 s3, s8, 0xffff
	s_mov_b64 s[0:1], 0
	v_mov_b32_e32 v3, s4
	v_mov_b32_e32 v4, s19
	;; [unrolled: 1-line block ×3, first 2 shown]
.LBB53_30:                              ; =>This Inner Loop Header: Depth=1
	v_ashrrev_i32_e32 v7, 31, v0
	v_add_co_u32_e32 v6, vcc, s2, v0
	v_addc_co_u32_e32 v7, vcc, v3, v7, vcc
	v_add_u32_e32 v0, s3, v0
	v_cmp_le_i32_e32 vcc, s13, v0
	v_lshlrev_b64 v[6:7], 2, v[6:7]
	s_or_b64 s[0:1], vcc, s[0:1]
	v_add_co_u32_e32 v8, vcc, s18, v6
	v_addc_co_u32_e32 v9, vcc, v4, v7, vcc
	v_add_co_u32_e32 v6, vcc, s20, v6
	v_addc_co_u32_e32 v7, vcc, v5, v7, vcc
	global_store_dword v[8:9], v2, off
	global_store_dword v[6:7], v1, off
	s_andn2_b64 exec, exec, s[0:1]
	s_cbranch_execnz .LBB53_30
.LBB53_31:
	s_endpgm
	.section	.rodata,"a",@progbits
	.p2align	6, 0x0
	.amdhsa_kernel _ZN5aiter19grouped_topk_kernelIN3c104HalfEDv4_fLi2ELb1ELb1ELb0EEEvPT_PKS4_PfPimiiiif
		.amdhsa_group_segment_fixed_size 0
		.amdhsa_private_segment_fixed_size 0
		.amdhsa_kernarg_size 320
		.amdhsa_user_sgpr_count 6
		.amdhsa_user_sgpr_private_segment_buffer 1
		.amdhsa_user_sgpr_dispatch_ptr 0
		.amdhsa_user_sgpr_queue_ptr 0
		.amdhsa_user_sgpr_kernarg_segment_ptr 1
		.amdhsa_user_sgpr_dispatch_id 0
		.amdhsa_user_sgpr_flat_scratch_init 0
		.amdhsa_user_sgpr_kernarg_preload_length 0
		.amdhsa_user_sgpr_kernarg_preload_offset 0
		.amdhsa_user_sgpr_private_segment_size 0
		.amdhsa_uses_dynamic_stack 0
		.amdhsa_system_sgpr_private_segment_wavefront_offset 0
		.amdhsa_system_sgpr_workgroup_id_x 1
		.amdhsa_system_sgpr_workgroup_id_y 0
		.amdhsa_system_sgpr_workgroup_id_z 0
		.amdhsa_system_sgpr_workgroup_info 0
		.amdhsa_system_vgpr_workitem_id 0
		.amdhsa_next_free_vgpr 38
		.amdhsa_next_free_sgpr 35
		.amdhsa_accum_offset 40
		.amdhsa_reserve_vcc 1
		.amdhsa_reserve_flat_scratch 0
		.amdhsa_float_round_mode_32 0
		.amdhsa_float_round_mode_16_64 0
		.amdhsa_float_denorm_mode_32 3
		.amdhsa_float_denorm_mode_16_64 3
		.amdhsa_dx10_clamp 1
		.amdhsa_ieee_mode 1
		.amdhsa_fp16_overflow 0
		.amdhsa_tg_split 0
		.amdhsa_exception_fp_ieee_invalid_op 0
		.amdhsa_exception_fp_denorm_src 0
		.amdhsa_exception_fp_ieee_div_zero 0
		.amdhsa_exception_fp_ieee_overflow 0
		.amdhsa_exception_fp_ieee_underflow 0
		.amdhsa_exception_fp_ieee_inexact 0
		.amdhsa_exception_int_div_zero 0
	.end_amdhsa_kernel
	.section	.text._ZN5aiter19grouped_topk_kernelIN3c104HalfEDv4_fLi2ELb1ELb1ELb0EEEvPT_PKS4_PfPimiiiif,"axG",@progbits,_ZN5aiter19grouped_topk_kernelIN3c104HalfEDv4_fLi2ELb1ELb1ELb0EEEvPT_PKS4_PfPimiiiif,comdat
.Lfunc_end53:
	.size	_ZN5aiter19grouped_topk_kernelIN3c104HalfEDv4_fLi2ELb1ELb1ELb0EEEvPT_PKS4_PfPimiiiif, .Lfunc_end53-_ZN5aiter19grouped_topk_kernelIN3c104HalfEDv4_fLi2ELb1ELb1ELb0EEEvPT_PKS4_PfPimiiiif
                                        ; -- End function
	.section	.AMDGPU.csdata,"",@progbits
; Kernel info:
; codeLenInByte = 2576
; NumSgprs: 39
; NumVgprs: 38
; NumAgprs: 0
; TotalNumVgprs: 38
; ScratchSize: 0
; MemoryBound: 0
; FloatMode: 240
; IeeeMode: 1
; LDSByteSize: 0 bytes/workgroup (compile time only)
; SGPRBlocks: 4
; VGPRBlocks: 4
; NumSGPRsForWavesPerEU: 39
; NumVGPRsForWavesPerEU: 38
; AccumOffset: 40
; Occupancy: 8
; WaveLimiterHint : 0
; COMPUTE_PGM_RSRC2:SCRATCH_EN: 0
; COMPUTE_PGM_RSRC2:USER_SGPR: 6
; COMPUTE_PGM_RSRC2:TRAP_HANDLER: 0
; COMPUTE_PGM_RSRC2:TGID_X_EN: 1
; COMPUTE_PGM_RSRC2:TGID_Y_EN: 0
; COMPUTE_PGM_RSRC2:TGID_Z_EN: 0
; COMPUTE_PGM_RSRC2:TIDIG_COMP_CNT: 0
; COMPUTE_PGM_RSRC3_GFX90A:ACCUM_OFFSET: 9
; COMPUTE_PGM_RSRC3_GFX90A:TG_SPLIT: 0
	.section	.text._ZN5aiter19grouped_topk_kernelIN3c108BFloat16EDv4_fLi2ELb1ELb1ELb0EEEvPT_PKS4_PfPimiiiif,"axG",@progbits,_ZN5aiter19grouped_topk_kernelIN3c108BFloat16EDv4_fLi2ELb1ELb1ELb0EEEvPT_PKS4_PfPimiiiif,comdat
	.protected	_ZN5aiter19grouped_topk_kernelIN3c108BFloat16EDv4_fLi2ELb1ELb1ELb0EEEvPT_PKS4_PfPimiiiif ; -- Begin function _ZN5aiter19grouped_topk_kernelIN3c108BFloat16EDv4_fLi2ELb1ELb1ELb0EEEvPT_PKS4_PfPimiiiif
	.globl	_ZN5aiter19grouped_topk_kernelIN3c108BFloat16EDv4_fLi2ELb1ELb1ELb0EEEvPT_PKS4_PfPimiiiif
	.p2align	8
	.type	_ZN5aiter19grouped_topk_kernelIN3c108BFloat16EDv4_fLi2ELb1ELb1ELb0EEEvPT_PKS4_PfPimiiiif,@function
_ZN5aiter19grouped_topk_kernelIN3c108BFloat16EDv4_fLi2ELb1ELb1ELb0EEEvPT_PKS4_PfPimiiiif: ; @_ZN5aiter19grouped_topk_kernelIN3c108BFloat16EDv4_fLi2ELb1ELb1ELb0EEEvPT_PKS4_PfPimiiiif
; %bb.0:
	s_load_dwordx4 s[12:15], s[4:5], 0x28
	s_load_dwordx4 s[16:19], s[4:5], 0x8
	s_load_dwordx2 s[20:21], s[4:5], 0x18
	v_lshl_add_u32 v8, v0, 4, 0
	s_waitcnt lgkmcnt(0)
	s_ashr_i32 s15, s12, 31
	s_lshr_b32 s0, s15, 30
	s_add_i32 s0, s12, s0
	s_ashr_i32 s7, s0, 2
	v_cmp_gt_i32_e64 s[0:1], s7, v0
	s_and_saveexec_b64 s[22:23], s[0:1]
	s_cbranch_execz .LBB54_3
; %bb.1:
	s_load_dwordx2 s[2:3], s[4:5], 0x0
	s_load_dword s10, s[4:5], 0x4c
	s_mul_i32 s8, s6, s12
	s_ashr_i32 s9, s8, 31
	s_lshl_b64 s[8:9], s[8:9], 1
	s_waitcnt lgkmcnt(0)
	s_add_u32 s26, s2, s8
	s_addc_u32 s2, s3, s9
	s_and_b32 s27, s10, 0xffff
	s_mov_b32 s3, 0
	v_lshlrev_b32_e32 v2, 3, v0
	v_mov_b32_e32 v1, 0
	s_lshl_b32 s28, s27, 3
	v_lshl_add_u32 v3, v0, 4, 0
	s_lshl_b32 s29, s27, 4
	s_mov_b64 s[24:25], 0
	v_mov_b32_e32 v9, s2
	v_mov_b32_e32 v10, s17
	s_mov_b32 s30, 0xbfb8aa3b
	s_mov_b32 s31, 0x42ce8ed0
	;; [unrolled: 1-line block ×3, first 2 shown]
	v_mov_b32_e32 v11, 0x7f800000
	v_mov_b32_e32 v12, s3
	;; [unrolled: 1-line block ×3, first 2 shown]
.LBB54_2:                               ; =>This Inner Loop Header: Depth=1
	v_add_co_u32_e32 v4, vcc, s26, v2
	v_addc_co_u32_e32 v5, vcc, v9, v1, vcc
	v_add_co_u32_e32 v6, vcc, s16, v2
	v_addc_co_u32_e32 v7, vcc, v10, v1, vcc
	global_load_dwordx2 v[14:15], v[4:5], off
	global_load_dwordx2 v[16:17], v[6:7], off
	v_add_co_u32_e32 v2, vcc, s28, v2
	v_add_u32_e32 v13, s27, v13
	v_addc_co_u32_e32 v1, vcc, v1, v12, vcc
	v_cmp_le_i32_e32 vcc, s7, v13
	s_or_b64 s[24:25], vcc, s[24:25]
	s_waitcnt vmcnt(1)
	v_cvt_f32_u32_sdwa v18, v14 dst_sel:DWORD dst_unused:UNUSED_PAD src0_sel:WORD_0
	v_cvt_f32_u32_sdwa v14, v14 dst_sel:DWORD dst_unused:UNUSED_PAD src0_sel:WORD_1
	s_waitcnt vmcnt(0)
	v_cvt_f32_u32_sdwa v5, v16 dst_sel:DWORD dst_unused:UNUSED_PAD src0_sel:WORD_1
	v_cvt_f32_u32_sdwa v4, v16 dst_sel:DWORD dst_unused:UNUSED_PAD src0_sel:WORD_0
	v_cvt_f32_u32_sdwa v16, v15 dst_sel:DWORD dst_unused:UNUSED_PAD src0_sel:WORD_0
	v_cvt_f32_u32_sdwa v15, v15 dst_sel:DWORD dst_unused:UNUSED_PAD src0_sel:WORD_1
	v_cvt_f32_u32_sdwa v7, v17 dst_sel:DWORD dst_unused:UNUSED_PAD src0_sel:WORD_1
	v_cvt_f32_u32_sdwa v6, v17 dst_sel:DWORD dst_unused:UNUSED_PAD src0_sel:WORD_0
	v_mul_f32_e32 v17, 0xbfb8aa3b, v14
	v_mul_f32_e32 v19, 0xbfb8aa3b, v18
	;; [unrolled: 1-line block ×3, first 2 shown]
	v_fma_f32 v22, v14, s30, -v17
	v_rndne_f32_e32 v23, v17
	v_fma_f32 v24, v18, s30, -v19
	v_rndne_f32_e32 v25, v19
	v_mul_f32_e32 v21, 0xbfb8aa3b, v16
	v_fma_f32 v26, v15, s30, -v20
	v_rndne_f32_e32 v27, v20
	v_fmac_f32_e32 v22, 0xb2a5705f, v14
	v_sub_f32_e32 v17, v17, v23
	v_fmac_f32_e32 v24, 0xb2a5705f, v18
	v_sub_f32_e32 v19, v19, v25
	v_fma_f32 v28, v16, s30, -v21
	v_rndne_f32_e32 v29, v21
	v_fmac_f32_e32 v26, 0xb2a5705f, v15
	v_sub_f32_e32 v20, v20, v27
	v_add_f32_e32 v17, v17, v22
	v_add_f32_e32 v19, v19, v24
	v_cvt_i32_f32_e32 v23, v23
	v_cvt_i32_f32_e32 v25, v25
	v_fmac_f32_e32 v28, 0xb2a5705f, v16
	v_sub_f32_e32 v21, v21, v29
	v_add_f32_e32 v20, v20, v26
	v_exp_f32_e32 v17, v17
	v_exp_f32_e32 v19, v19
	v_cvt_i32_f32_e32 v27, v27
	v_add_f32_e32 v21, v21, v28
	v_exp_f32_e32 v20, v20
	v_cvt_i32_f32_e32 v29, v29
	v_exp_f32_e32 v21, v21
	v_ldexp_f32 v17, v17, v23
	v_ldexp_f32 v19, v19, v25
	v_cmp_nlt_f32_e32 vcc, s31, v18
	v_cmp_nlt_f32_e64 s[10:11], s31, v14
	v_ldexp_f32 v20, v20, v27
	v_cmp_nlt_f32_e64 s[2:3], s31, v15
	v_cndmask_b32_e64 v17, 0, v17, s[10:11]
	v_cndmask_b32_e32 v19, 0, v19, vcc
	v_cmp_ngt_f32_e32 vcc, s33, v18
	v_cmp_ngt_f32_e64 s[10:11], s33, v14
	v_ldexp_f32 v21, v21, v29
	v_cmp_nlt_f32_e64 s[8:9], s31, v16
	v_cndmask_b32_e64 v18, 0, v20, s[2:3]
	v_cmp_ngt_f32_e64 s[2:3], s33, v15
	v_cndmask_b32_e64 v15, v11, v17, s[10:11]
	v_cndmask_b32_e32 v14, v11, v19, vcc
	v_cndmask_b32_e64 v20, 0, v21, s[8:9]
	v_cmp_ngt_f32_e64 s[8:9], s33, v16
	v_pk_add_f32 v[14:15], v[14:15], 1.0 op_sel_hi:[1,0]
	v_cndmask_b32_e64 v17, v11, v18, s[2:3]
	v_cndmask_b32_e64 v16, v11, v20, s[8:9]
	v_div_scale_f32 v18, s[2:3], v15, v15, 1.0
	v_pk_add_f32 v[16:17], v[16:17], 1.0 op_sel_hi:[1,0]
	v_div_scale_f32 v20, s[2:3], v14, v14, 1.0
	v_rcp_f32_e32 v26, v18
	v_div_scale_f32 v22, s[8:9], v17, v17, 1.0
	v_rcp_f32_e32 v27, v20
	;; [unrolled: 2-line block ×3, first 2 shown]
	v_rcp_f32_e32 v29, v24
	v_fma_f32 v30, -v18, v26, 1.0
	v_div_scale_f32 v19, vcc, 1.0, v15, 1.0
	v_fma_f32 v31, -v20, v27, 1.0
	v_fmac_f32_e32 v26, v30, v26
	v_div_scale_f32 v21, s[2:3], 1.0, v14, 1.0
	v_fma_f32 v32, -v22, v28, 1.0
	v_fmac_f32_e32 v27, v31, v27
	v_mul_f32_e32 v30, v19, v26
	v_div_scale_f32 v23, s[8:9], 1.0, v17, 1.0
	v_fma_f32 v33, -v24, v29, 1.0
	v_fmac_f32_e32 v28, v32, v28
	v_mul_f32_e32 v31, v21, v27
	v_fma_f32 v34, -v18, v30, v19
	v_div_scale_f32 v25, s[10:11], 1.0, v16, 1.0
	v_fmac_f32_e32 v29, v33, v29
	v_mul_f32_e32 v32, v23, v28
	v_fma_f32 v35, -v20, v31, v21
	v_fmac_f32_e32 v30, v34, v26
	v_mul_f32_e32 v33, v25, v29
	v_fma_f32 v36, -v22, v32, v23
	v_fmac_f32_e32 v31, v35, v27
	v_fma_f32 v18, -v18, v30, v19
	v_fma_f32 v37, -v24, v33, v25
	v_fmac_f32_e32 v32, v36, v28
	v_fma_f32 v19, -v20, v31, v21
	v_div_fmas_f32 v18, v18, v26, v30
	s_mov_b64 vcc, s[2:3]
	v_fmac_f32_e32 v33, v37, v29
	v_fma_f32 v20, -v22, v32, v23
	v_div_fixup_f32 v15, v18, v15, 1.0
	v_div_fmas_f32 v18, v19, v27, v31
	s_mov_b64 vcc, s[8:9]
	v_fma_f32 v21, -v24, v33, v25
	v_div_fixup_f32 v14, v18, v14, 1.0
	v_div_fmas_f32 v18, v20, v28, v32
	s_mov_b64 vcc, s[10:11]
	v_div_fixup_f32 v17, v18, v17, 1.0
	v_div_fmas_f32 v18, v21, v29, v33
	v_div_fixup_f32 v16, v18, v16, 1.0
	v_pk_add_f32 v[4:5], v[14:15], v[4:5]
	v_pk_add_f32 v[6:7], v[16:17], v[6:7]
	ds_write_b128 v3, v[4:7]
	v_add_u32_e32 v3, s29, v3
	s_andn2_b64 exec, exec, s[24:25]
	s_cbranch_execnz .LBB54_2
.LBB54_3:
	s_or_b64 exec, exec, s[22:23]
	s_lshr_b32 s2, s12, 31
	s_add_i32 s2, s12, s2
	s_ashr_i32 s29, s2, 1
	s_lshl_b32 s2, s12, 2
	s_add_i32 s28, s2, 0
	v_cmp_gt_u32_e32 vcc, 64, v0
	s_waitcnt lgkmcnt(0)
	s_barrier
	s_and_saveexec_b64 s[10:11], vcc
	s_cbranch_execz .LBB54_12
; %bb.4:
	s_load_dword s8, s[4:5], 0x4c
	v_lshrrev_b32_e32 v2, 5, v0
	s_lshr_b32 s2, s15, 29
	v_and_b32_e32 v1, 31, v0
	s_add_i32 s2, s12, s2
	s_waitcnt lgkmcnt(0)
	s_bfe_u32 s15, s8, 0xb0005
	v_mul_lo_u32 v3, s29, v2
	s_ashr_i32 s12, s2, 3
	v_lshlrev_b32_e32 v3, 2, v3
	v_lshlrev_b32_e32 v4, 4, v1
	s_mul_i32 s8, s29, s15
	v_cmp_gt_i32_e32 vcc, s12, v1
	v_cmp_eq_u32_e64 s[2:3], 0, v1
	v_add3_u32 v3, v3, v4, 0
	s_lshl_b32 s30, s8, 2
	s_mov_b64 s[22:23], 0
	s_branch .LBB54_6
.LBB54_5:                               ;   in Loop: Header=BB54_6 Depth=1
	s_or_b64 exec, exec, s[8:9]
	v_add_u32_e32 v2, s15, v2
	v_cmp_lt_u32_e64 s[8:9], 1, v2
	s_or_b64 s[22:23], s[8:9], s[22:23]
	v_add_u32_e32 v3, s30, v3
	s_andn2_b64 exec, exec, s[22:23]
	s_cbranch_execz .LBB54_12
.LBB54_6:                               ; =>This Loop Header: Depth=1
                                        ;     Child Loop BB54_8 Depth 2
	v_mov_b32_e32 v4, 0xff800000
	v_mov_b32_e32 v7, 0xff800000
	s_and_saveexec_b64 s[24:25], vcc
	s_cbranch_execz .LBB54_10
; %bb.7:                                ;   in Loop: Header=BB54_6 Depth=1
	s_mov_b64 s[26:27], 0
	v_mov_b32_e32 v4, 0xff800000
	v_mov_b32_e32 v5, v3
	;; [unrolled: 1-line block ×4, first 2 shown]
.LBB54_8:                               ;   Parent Loop BB54_6 Depth=1
                                        ; =>  This Inner Loop Header: Depth=2
	ds_read_b128 v[10:13], v5
	v_add_u32_e32 v6, 32, v6
	v_max_f32_e32 v7, v7, v7
	v_cmp_le_i32_e64 s[8:9], s12, v6
	s_or_b64 s[26:27], s[8:9], s[26:27]
	s_waitcnt lgkmcnt(0)
	v_max_f32_e32 v14, v10, v10
	v_max_f32_e32 v7, v14, v7
	v_cmp_gt_f32_e64 s[8:9], v10, v4
	v_max_f32_e32 v9, v4, v4
	v_cndmask_b32_e64 v4, v7, v4, s[8:9]
	v_max_f32_e32 v15, v11, v11
	v_max_f32_e32 v9, v14, v9
	;; [unrolled: 1-line block ×4, first 2 shown]
	v_cmp_gt_f32_e64 s[8:9], v11, v9
	v_max_f32_e32 v16, v12, v12
	v_max_f32_e32 v7, v15, v9
	v_cndmask_b32_e64 v9, v14, v9, s[8:9]
	v_max_f32_e32 v9, v16, v9
	v_cmp_gt_f32_e64 s[8:9], v12, v7
	v_max_f32_e32 v17, v13, v13
	v_max_f32_e32 v10, v16, v7
	v_cndmask_b32_e64 v7, v9, v7, s[8:9]
	v_max_f32_e32 v7, v17, v7
	v_cmp_gt_f32_e64 s[8:9], v13, v10
	v_add_u32_e32 v5, 0x200, v5
	v_max_f32_e32 v4, v17, v10
	v_cndmask_b32_e64 v7, v7, v10, s[8:9]
	s_andn2_b64 exec, exec, s[26:27]
	s_cbranch_execnz .LBB54_8
; %bb.9:                                ;   in Loop: Header=BB54_6 Depth=1
	s_or_b64 exec, exec, s[26:27]
.LBB54_10:                              ;   in Loop: Header=BB54_6 Depth=1
	s_or_b64 exec, exec, s[24:25]
	s_and_saveexec_b64 s[8:9], s[2:3]
	s_cbranch_execz .LBB54_5
; %bb.11:                               ;   in Loop: Header=BB54_6 Depth=1
	v_lshl_add_u32 v5, v2, 2, s28
	v_add_f32_e32 v4, v7, v4
	ds_write_b32 v5, v4
	s_branch .LBB54_5
.LBB54_12:
	s_or_b64 exec, exec, s[10:11]
	s_cmp_lt_i32 s14, 1
	s_waitcnt lgkmcnt(0)
	s_barrier
	s_cbranch_scc1 .LBB54_15
; %bb.13:
	v_mov_b32_e32 v1, s28
	s_mov_b32 s2, 0xff800000
	v_mov_b32_e32 v2, 0xff800000
.LBB54_14:                              ; =>This Inner Loop Header: Depth=1
	ds_read2_b32 v[4:5], v1 offset1:1
	s_add_i32 s14, s14, -1
	s_cmp_lg_u32 s14, 0
	s_waitcnt lgkmcnt(0)
	v_cmp_nlg_f32_e32 vcc, s2, v4
	v_cndmask_b32_e64 v3, 0, 1, vcc
	v_cmp_lg_f32_e32 vcc, s2, v4
	v_cndmask_b32_e32 v4, v2, v4, vcc
	v_lshlrev_b32_e32 v3, 1, v3
	v_cmp_ngt_f32_e32 vcc, v5, v4
	v_cndmask_b32_e32 v3, 1, v3, vcc
	v_lshlrev_b32_e32 v3, 2, v3
	v_add_u32_e32 v3, s28, v3
	ds_write_b32 v3, v2
	s_cbranch_scc1 .LBB54_14
.LBB54_15:
	v_lshlrev_b32_e32 v6, 2, v0
	s_and_saveexec_b64 s[2:3], s[0:1]
	s_cbranch_execz .LBB54_20
; %bb.16:
	s_abs_i32 s12, s29
	v_cvt_f32_u32_e32 v2, s12
	s_load_dword s10, s[4:5], 0x4c
	s_sub_i32 s11, 0, s12
	s_ashr_i32 s14, s29, 31
	v_rcp_iflag_f32_e32 v2, v2
	v_lshlrev_b32_e32 v1, 2, v0
	s_waitcnt lgkmcnt(0)
	s_and_b32 s15, s10, 0xffff
	v_lshl_add_u32 v7, v0, 4, 0
	v_mul_f32_e32 v2, 0x4f7ffffe, v2
	v_cvt_u32_f32_e32 v2, v2
	s_mov_b64 s[8:9], 0
	s_lshl_b32 s22, s15, 2
	s_lshl_b32 s23, s15, 4
	v_mul_lo_u32 v3, s11, v2
	v_mul_hi_u32 v3, v2, v3
	v_add_u32_e32 v9, v2, v3
	s_mov_b32 s24, 0xff800000
	v_mov_b32_e32 v2, 0xff800000
	v_mov_b32_e32 v10, v0
	s_branch .LBB54_18
.LBB54_17:                              ;   in Loop: Header=BB54_18 Depth=1
	s_or_b64 exec, exec, s[10:11]
	v_add_u32_e32 v10, s15, v10
	v_cmp_le_i32_e32 vcc, s7, v10
	v_add_u32_e32 v1, s22, v1
	s_or_b64 s[8:9], vcc, s[8:9]
	v_add_u32_e32 v7, s23, v7
	s_andn2_b64 exec, exec, s[8:9]
	s_cbranch_execz .LBB54_20
.LBB54_18:                              ; =>This Inner Loop Header: Depth=1
	v_mul_hi_u32 v3, v1, v9
	v_mul_lo_u32 v4, v3, s12
	v_sub_u32_e32 v4, v1, v4
	v_add_u32_e32 v5, 1, v3
	v_cmp_le_u32_e32 vcc, s12, v4
	v_cndmask_b32_e32 v3, v3, v5, vcc
	v_subrev_u32_e32 v5, s12, v4
	v_cndmask_b32_e32 v4, v4, v5, vcc
	v_add_u32_e32 v5, 1, v3
	v_cmp_le_u32_e32 vcc, s12, v4
	v_cndmask_b32_e32 v3, v3, v5, vcc
	v_xor_b32_e32 v3, s14, v3
	v_subrev_u32_e32 v3, s14, v3
	v_lshl_add_u32 v3, v3, 2, s28
	ds_read_b32 v3, v3
	s_waitcnt lgkmcnt(0)
	v_cmp_neq_f32_e32 vcc, s24, v3
	s_and_saveexec_b64 s[10:11], vcc
	s_cbranch_execz .LBB54_17
; %bb.19:                               ;   in Loop: Header=BB54_18 Depth=1
	v_mov_b32_e32 v3, v2
	v_mov_b32_e32 v4, v2
	;; [unrolled: 1-line block ×3, first 2 shown]
	ds_write_b128 v7, v[2:5]
	s_branch .LBB54_17
.LBB54_20:
	s_or_b64 exec, exec, s[2:3]
	s_cmp_lt_i32 s13, 1
	s_waitcnt lgkmcnt(0)
	s_barrier
	s_cbranch_scc1 .LBB54_27
; %bb.21:
	s_add_u32 s2, s4, 64
	s_addc_u32 s3, s5, 0
	s_mov_b32 s12, 0
	v_mov_b32_e32 v4, 0
	v_mov_b32_e32 v5, 0xff800000
	;; [unrolled: 1-line block ×3, first 2 shown]
                                        ; implicit-def: $vgpr2
                                        ; implicit-def: $vgpr1
	s_branch .LBB54_23
.LBB54_22:                              ;   in Loop: Header=BB54_23 Depth=1
	s_or_b64 exec, exec, s[8:9]
	v_mov_b32_dpp v11, v9 quad_perm:[1,0,3,2] row_mask:0xf bank_mask:0xf
	v_cmp_lt_f32_e32 vcc, v9, v11
	v_cndmask_b32_e32 v9, v9, v11, vcc
	v_mov_b32_dpp v10, v7 quad_perm:[1,0,3,2] row_mask:0xf bank_mask:0xf
	v_cndmask_b32_e32 v7, v7, v10, vcc
	v_mov_b32_dpp v11, v9 quad_perm:[2,3,0,1] row_mask:0xf bank_mask:0xf
	v_cmp_gt_f32_e32 vcc, v11, v9
	v_cndmask_b32_e32 v9, v9, v11, vcc
	v_mov_b32_dpp v10, v7 quad_perm:[2,3,0,1] row_mask:0xf bank_mask:0xf
	v_cndmask_b32_e32 v7, v7, v10, vcc
	v_mov_b32_dpp v11, v9 row_half_mirror row_mask:0xf bank_mask:0xf
	v_cmp_gt_f32_e32 vcc, v11, v9
	v_cndmask_b32_e32 v9, v9, v11, vcc
	v_mov_b32_dpp v10, v7 row_half_mirror row_mask:0xf bank_mask:0xf
	v_cndmask_b32_e32 v7, v7, v10, vcc
	v_mov_b32_dpp v11, v9 row_mirror row_mask:0xf bank_mask:0xf
	v_cmp_gt_f32_e32 vcc, v11, v9
	v_cndmask_b32_e32 v9, v9, v11, vcc
	v_mov_b32_dpp v10, v7 row_mirror row_mask:0xf bank_mask:0xf
	v_cndmask_b32_e32 v7, v7, v10, vcc
	v_mov_b32_dpp v11, v9 row_bcast:15 row_mask:0xf bank_mask:0xf
	v_cmp_gt_f32_e32 vcc, v11, v9
	v_mov_b32_dpp v10, v7 row_bcast:15 row_mask:0xf bank_mask:0xf
	v_cndmask_b32_e32 v9, v9, v11, vcc
	v_cndmask_b32_e32 v7, v7, v10, vcc
	s_nop 0
	v_mov_b32_dpp v11, v9 row_bcast:31 row_mask:0xf bank_mask:0xf
	v_mov_b32_dpp v10, v7 row_bcast:31 row_mask:0xf bank_mask:0xf
	v_cmp_gt_f32_e32 vcc, v11, v9
	v_cndmask_b32_e32 v7, v7, v10, vcc
	v_readlane_b32 s8, v7, 63
	s_ashr_i32 s9, s8, 31
	s_lshl_b64 s[10:11], s[8:9], 1
	s_add_u32 s10, s16, s10
	s_addc_u32 s11, s17, s11
	global_load_ushort v7, v4, s[10:11]
	v_cndmask_b32_e32 v9, v9, v11, vcc
	v_readlane_b32 s9, v9, 63
	v_mov_b32_e32 v9, s8
	s_lshl_b32 s8, s8, 2
	v_cmp_eq_u32_e32 vcc, s12, v0
	s_add_i32 s8, s8, 0
	v_cndmask_b32_e32 v1, v1, v9, vcc
	v_mov_b32_e32 v9, s8
	ds_write_b32 v9, v5
	s_add_i32 s12, s12, 1
	s_cmp_eq_u32 s12, s13
	s_waitcnt vmcnt(0)
	v_and_b32_e32 v9, 0xff, v7
	v_lshlrev_b32_e32 v7, 16, v7
	v_lshlrev_b32_e32 v9, 16, v9
	v_and_b32_e32 v7, 0xff000000, v7
	v_or_b32_e32 v7, v9, v7
	v_sub_f32_e32 v7, s9, v7
	v_cndmask_b32_e32 v2, v2, v7, vcc
	v_add_f32_e32 v3, v3, v7
	s_cbranch_scc1 .LBB54_28
.LBB54_23:                              ; =>This Loop Header: Depth=1
                                        ;     Child Loop BB54_25 Depth 2
	v_mov_b32_e32 v7, s12
	v_mov_b32_e32 v9, 0xff800000
	s_and_saveexec_b64 s[8:9], s[0:1]
	s_cbranch_execz .LBB54_22
; %bb.24:                               ;   in Loop: Header=BB54_23 Depth=1
	s_load_dword s14, s[2:3], 0xc
	s_mov_b64 s[10:11], 0
	v_mov_b32_e32 v7, s12
	v_mov_b32_e32 v9, 0xff800000
	;; [unrolled: 1-line block ×3, first 2 shown]
	s_waitcnt lgkmcnt(0)
	s_and_b32 s14, s14, 0xffff
	s_lshl_b32 s15, s14, 2
	s_lshl_b32 s22, s14, 4
	v_mov_b32_e32 v11, v6
	v_mov_b32_e32 v12, v0
.LBB54_25:                              ;   Parent Loop BB54_23 Depth=1
                                        ; =>  This Inner Loop Header: Depth=2
	ds_read_b128 v[14:17], v10
	v_add_u32_e32 v12, s14, v12
	v_cmp_le_i32_e32 vcc, s7, v12
	s_or_b64 s[10:11], vcc, s[10:11]
	v_add_u32_e32 v13, 1, v11
	s_waitcnt lgkmcnt(0)
	v_cmp_gt_f32_e32 vcc, v14, v9
	v_cndmask_b32_e32 v9, v9, v14, vcc
	v_cndmask_b32_e32 v7, v7, v11, vcc
	v_cmp_gt_f32_e32 vcc, v15, v9
	v_cndmask_b32_e32 v9, v9, v15, vcc
	v_cndmask_b32_e32 v7, v7, v13, vcc
	v_cmp_gt_f32_e32 vcc, v16, v9
	v_add_u32_e32 v18, 2, v11
	v_cndmask_b32_e32 v9, v9, v16, vcc
	v_add_u32_e32 v19, 3, v11
	v_cndmask_b32_e32 v7, v7, v18, vcc
	v_cmp_gt_f32_e32 vcc, v17, v9
	v_add_u32_e32 v10, s22, v10
	v_add_u32_e32 v11, s15, v11
	v_cndmask_b32_e32 v9, v9, v17, vcc
	v_cndmask_b32_e32 v7, v7, v19, vcc
	s_andn2_b64 exec, exec, s[10:11]
	s_cbranch_execnz .LBB54_25
; %bb.26:                               ;   in Loop: Header=BB54_23 Depth=1
	s_or_b64 exec, exec, s[10:11]
	s_branch .LBB54_22
.LBB54_27:
	v_mov_b32_e32 v3, 0
                                        ; implicit-def: $vgpr2
                                        ; implicit-def: $vgpr1
.LBB54_28:
	v_cmp_gt_i32_e32 vcc, s13, v0
	s_and_saveexec_b64 s[0:1], vcc
	s_cbranch_execz .LBB54_31
; %bb.29:
	s_load_dword s7, s[4:5], 0x38
	s_load_dwordx2 s[0:1], s[4:5], 0x20
	s_load_dword s8, s[4:5], 0x4c
	s_waitcnt lgkmcnt(0)
	v_div_scale_f32 v4, s[2:3], v3, v3, s7
	v_rcp_f32_e32 v5, v4
	v_div_scale_f32 v6, vcc, s7, v3, s7
	s_ashr_i32 s2, s6, 31
	v_fma_f32 v7, -v4, v5, 1.0
	v_fmac_f32_e32 v5, v7, v5
	v_mul_f32_e32 v7, v6, v5
	v_fma_f32 v8, -v4, v7, v6
	v_fmac_f32_e32 v7, v8, v5
	v_fma_f32 v4, -v4, v7, v6
	s_mul_i32 s1, s6, s1
	s_mul_hi_u32 s3, s6, s0
	v_div_fmas_f32 v4, v4, v5, v7
	s_add_i32 s1, s3, s1
	s_mul_i32 s2, s2, s0
	v_div_fixup_f32 v3, v4, v3, s7
	s_add_i32 s4, s1, s2
	v_mul_f32_e32 v2, v3, v2
	s_mul_i32 s2, s6, s0
	s_and_b32 s3, s8, 0xffff
	s_mov_b64 s[0:1], 0
	v_mov_b32_e32 v3, s4
	v_mov_b32_e32 v4, s19
	;; [unrolled: 1-line block ×3, first 2 shown]
.LBB54_30:                              ; =>This Inner Loop Header: Depth=1
	v_ashrrev_i32_e32 v7, 31, v0
	v_add_co_u32_e32 v6, vcc, s2, v0
	v_addc_co_u32_e32 v7, vcc, v3, v7, vcc
	v_add_u32_e32 v0, s3, v0
	v_cmp_le_i32_e32 vcc, s13, v0
	v_lshlrev_b64 v[6:7], 2, v[6:7]
	s_or_b64 s[0:1], vcc, s[0:1]
	v_add_co_u32_e32 v8, vcc, s18, v6
	v_addc_co_u32_e32 v9, vcc, v4, v7, vcc
	v_add_co_u32_e32 v6, vcc, s20, v6
	v_addc_co_u32_e32 v7, vcc, v5, v7, vcc
	global_store_dword v[8:9], v2, off
	global_store_dword v[6:7], v1, off
	s_andn2_b64 exec, exec, s[0:1]
	s_cbranch_execnz .LBB54_30
.LBB54_31:
	s_endpgm
	.section	.rodata,"a",@progbits
	.p2align	6, 0x0
	.amdhsa_kernel _ZN5aiter19grouped_topk_kernelIN3c108BFloat16EDv4_fLi2ELb1ELb1ELb0EEEvPT_PKS4_PfPimiiiif
		.amdhsa_group_segment_fixed_size 0
		.amdhsa_private_segment_fixed_size 0
		.amdhsa_kernarg_size 320
		.amdhsa_user_sgpr_count 6
		.amdhsa_user_sgpr_private_segment_buffer 1
		.amdhsa_user_sgpr_dispatch_ptr 0
		.amdhsa_user_sgpr_queue_ptr 0
		.amdhsa_user_sgpr_kernarg_segment_ptr 1
		.amdhsa_user_sgpr_dispatch_id 0
		.amdhsa_user_sgpr_flat_scratch_init 0
		.amdhsa_user_sgpr_kernarg_preload_length 0
		.amdhsa_user_sgpr_kernarg_preload_offset 0
		.amdhsa_user_sgpr_private_segment_size 0
		.amdhsa_uses_dynamic_stack 0
		.amdhsa_system_sgpr_private_segment_wavefront_offset 0
		.amdhsa_system_sgpr_workgroup_id_x 1
		.amdhsa_system_sgpr_workgroup_id_y 0
		.amdhsa_system_sgpr_workgroup_id_z 0
		.amdhsa_system_sgpr_workgroup_info 0
		.amdhsa_system_vgpr_workitem_id 0
		.amdhsa_next_free_vgpr 38
		.amdhsa_next_free_sgpr 34
		.amdhsa_accum_offset 40
		.amdhsa_reserve_vcc 1
		.amdhsa_reserve_flat_scratch 0
		.amdhsa_float_round_mode_32 0
		.amdhsa_float_round_mode_16_64 0
		.amdhsa_float_denorm_mode_32 3
		.amdhsa_float_denorm_mode_16_64 3
		.amdhsa_dx10_clamp 1
		.amdhsa_ieee_mode 1
		.amdhsa_fp16_overflow 0
		.amdhsa_tg_split 0
		.amdhsa_exception_fp_ieee_invalid_op 0
		.amdhsa_exception_fp_denorm_src 0
		.amdhsa_exception_fp_ieee_div_zero 0
		.amdhsa_exception_fp_ieee_overflow 0
		.amdhsa_exception_fp_ieee_underflow 0
		.amdhsa_exception_fp_ieee_inexact 0
		.amdhsa_exception_int_div_zero 0
	.end_amdhsa_kernel
	.section	.text._ZN5aiter19grouped_topk_kernelIN3c108BFloat16EDv4_fLi2ELb1ELb1ELb0EEEvPT_PKS4_PfPimiiiif,"axG",@progbits,_ZN5aiter19grouped_topk_kernelIN3c108BFloat16EDv4_fLi2ELb1ELb1ELb0EEEvPT_PKS4_PfPimiiiif,comdat
.Lfunc_end54:
	.size	_ZN5aiter19grouped_topk_kernelIN3c108BFloat16EDv4_fLi2ELb1ELb1ELb0EEEvPT_PKS4_PfPimiiiif, .Lfunc_end54-_ZN5aiter19grouped_topk_kernelIN3c108BFloat16EDv4_fLi2ELb1ELb1ELb0EEEvPT_PKS4_PfPimiiiif
                                        ; -- End function
	.section	.AMDGPU.csdata,"",@progbits
; Kernel info:
; codeLenInByte = 2600
; NumSgprs: 38
; NumVgprs: 38
; NumAgprs: 0
; TotalNumVgprs: 38
; ScratchSize: 0
; MemoryBound: 0
; FloatMode: 240
; IeeeMode: 1
; LDSByteSize: 0 bytes/workgroup (compile time only)
; SGPRBlocks: 4
; VGPRBlocks: 4
; NumSGPRsForWavesPerEU: 38
; NumVGPRsForWavesPerEU: 38
; AccumOffset: 40
; Occupancy: 8
; WaveLimiterHint : 0
; COMPUTE_PGM_RSRC2:SCRATCH_EN: 0
; COMPUTE_PGM_RSRC2:USER_SGPR: 6
; COMPUTE_PGM_RSRC2:TRAP_HANDLER: 0
; COMPUTE_PGM_RSRC2:TGID_X_EN: 1
; COMPUTE_PGM_RSRC2:TGID_Y_EN: 0
; COMPUTE_PGM_RSRC2:TGID_Z_EN: 0
; COMPUTE_PGM_RSRC2:TIDIG_COMP_CNT: 0
; COMPUTE_PGM_RSRC3_GFX90A:ACCUM_OFFSET: 9
; COMPUTE_PGM_RSRC3_GFX90A:TG_SPLIT: 0
	.section	.text._ZN5aiter19grouped_topk_kernelIfDv4_fLi2ELb1ELb0ELb1EEEvPT_PKS2_PfPimiiiif,"axG",@progbits,_ZN5aiter19grouped_topk_kernelIfDv4_fLi2ELb1ELb0ELb1EEEvPT_PKS2_PfPimiiiif,comdat
	.protected	_ZN5aiter19grouped_topk_kernelIfDv4_fLi2ELb1ELb0ELb1EEEvPT_PKS2_PfPimiiiif ; -- Begin function _ZN5aiter19grouped_topk_kernelIfDv4_fLi2ELb1ELb0ELb1EEEvPT_PKS2_PfPimiiiif
	.globl	_ZN5aiter19grouped_topk_kernelIfDv4_fLi2ELb1ELb0ELb1EEEvPT_PKS2_PfPimiiiif
	.p2align	8
	.type	_ZN5aiter19grouped_topk_kernelIfDv4_fLi2ELb1ELb0ELb1EEEvPT_PKS2_PfPimiiiif,@function
_ZN5aiter19grouped_topk_kernelIfDv4_fLi2ELb1ELb0ELb1EEEvPT_PKS2_PfPimiiiif: ; @_ZN5aiter19grouped_topk_kernelIfDv4_fLi2ELb1ELb0ELb1EEEvPT_PKS2_PfPimiiiif
; %bb.0:
	s_load_dwordx4 s[8:11], s[4:5], 0x28
	s_load_dwordx4 s[12:15], s[4:5], 0x10
	v_mov_b32_e32 v1, 0xff800000
	s_waitcnt lgkmcnt(0)
	v_cmp_gt_i32_e32 vcc, s8, v0
	s_and_saveexec_b64 s[2:3], vcc
	s_cbranch_execz .LBB55_4
; %bb.1:
	s_load_dword s0, s[4:5], 0x4c
	s_load_dwordx2 s[16:17], s[4:5], 0x0
	s_mul_i32 s7, s6, s8
	v_lshl_add_u32 v2, v0, 2, 0
	s_mov_b64 s[18:19], 0
	s_waitcnt lgkmcnt(0)
	s_and_b32 s11, s0, 0xffff
	s_lshl_b32 s20, s11, 2
	v_mov_b32_e32 v1, 0xff800000
	v_mov_b32_e32 v3, s17
	v_mov_b32_e32 v4, v0
.LBB55_2:                               ; =>This Inner Loop Header: Depth=1
	v_add_u32_e32 v6, s7, v4
	v_ashrrev_i32_e32 v7, 31, v6
	v_lshlrev_b64 v[6:7], 2, v[6:7]
	v_add_co_u32_e64 v6, s[0:1], s16, v6
	v_addc_co_u32_e64 v7, s[0:1], v3, v7, s[0:1]
	global_load_dword v5, v[6:7], off
	v_add_u32_e32 v4, s11, v4
	v_cmp_le_i32_e64 s[0:1], s8, v4
	s_or_b64 s[18:19], s[0:1], s[18:19]
	s_waitcnt vmcnt(0)
	v_cmp_gt_f32_e64 s[0:1], v5, v1
	ds_write_b32 v2, v5
	v_cndmask_b32_e64 v1, v1, v5, s[0:1]
	v_add_u32_e32 v2, s20, v2
	s_andn2_b64 exec, exec, s[18:19]
	s_cbranch_execnz .LBB55_2
; %bb.3:
	s_or_b64 exec, exec, s[18:19]
.LBB55_4:
	s_or_b64 exec, exec, s[2:3]
	v_mov_b32_dpp v2, v1 quad_perm:[1,0,3,2] row_mask:0xf bank_mask:0xf
	v_cmp_lt_f32_e64 s[0:1], v1, v2
	v_cndmask_b32_e64 v1, v1, v2, s[0:1]
	v_bfrev_b32_e32 v3, 0.5
	s_waitcnt lgkmcnt(0)
	v_mov_b32_dpp v2, v1 quad_perm:[2,3,0,1] row_mask:0xf bank_mask:0xf
	v_cmp_lt_f32_e64 s[0:1], v1, v2
	v_cndmask_b32_e64 v1, v1, v2, s[0:1]
	s_barrier
	s_nop 0
	v_mov_b32_dpp v2, v1 row_half_mirror row_mask:0xf bank_mask:0xf
	v_cmp_lt_f32_e64 s[0:1], v1, v2
	v_cndmask_b32_e64 v1, v1, v2, s[0:1]
	s_nop 1
	v_mov_b32_dpp v2, v1 row_mirror row_mask:0xf bank_mask:0xf
	v_cmp_lt_f32_e64 s[0:1], v1, v2
	v_cndmask_b32_e64 v1, v1, v2, s[0:1]
	s_nop 1
	v_mov_b32_dpp v2, v1 row_bcast:15 row_mask:0xf bank_mask:0xf
	v_cmp_lt_f32_e64 s[0:1], v1, v2
	v_cndmask_b32_e64 v1, v1, v2, s[0:1]
	s_nop 1
	v_mov_b32_dpp v2, v1 row_bcast:31 row_mask:0xf bank_mask:0xf
	v_cmp_lt_f32_e64 s[0:1], v1, v2
	v_cndmask_b32_e64 v2, v1, v2, s[0:1]
	v_mbcnt_lo_u32_b32 v1, -1, 0
	v_mbcnt_hi_u32_b32 v1, -1, v1
	v_lshl_or_b32 v1, v1, 2, v3
	ds_bpermute_b32 v3, v1, v2
	v_mov_b32_e32 v2, 0
	s_and_saveexec_b64 s[2:3], vcc
	s_cbranch_execz .LBB55_8
; %bb.5:
	s_load_dword s0, s[4:5], 0x4c
	v_lshl_add_u32 v4, v0, 2, 0
	s_mov_b64 s[16:17], 0
	v_mov_b32_e32 v2, 0
	s_mov_b32 s7, 0x3fb8aa3b
	s_waitcnt lgkmcnt(0)
	s_and_b32 s11, s0, 0xffff
	s_lshl_b32 s18, s11, 2
	s_mov_b32 s19, 0xc2ce8ed0
	s_mov_b32 s20, 0x42b17218
	v_mov_b32_e32 v5, 0x7f800000
	v_mov_b32_e32 v6, v0
.LBB55_6:                               ; =>This Inner Loop Header: Depth=1
	ds_read_b32 v7, v4
	v_add_u32_e32 v6, s11, v6
	s_waitcnt lgkmcnt(0)
	v_sub_f32_e32 v7, v7, v3
	v_mul_f32_e32 v8, 0x3fb8aa3b, v7
	v_fma_f32 v9, v7, s7, -v8
	v_rndne_f32_e32 v10, v8
	v_fmac_f32_e32 v9, 0x32a5705f, v7
	v_sub_f32_e32 v8, v8, v10
	v_add_f32_e32 v8, v8, v9
	v_cvt_i32_f32_e32 v10, v10
	v_exp_f32_e32 v8, v8
	v_cmp_ngt_f32_e64 s[0:1], s19, v7
	v_ldexp_f32 v8, v8, v10
	v_cndmask_b32_e64 v8, 0, v8, s[0:1]
	v_cmp_nlt_f32_e64 s[0:1], s20, v7
	v_cndmask_b32_e64 v7, v5, v8, s[0:1]
	v_cmp_le_i32_e64 s[0:1], s8, v6
	ds_write_b32 v4, v7
	v_add_f32_e32 v2, v2, v7
	s_or_b64 s[16:17], s[0:1], s[16:17]
	v_add_u32_e32 v4, s18, v4
	s_andn2_b64 exec, exec, s[16:17]
	s_cbranch_execnz .LBB55_6
; %bb.7:
	s_or_b64 exec, exec, s[16:17]
.LBB55_8:
	s_or_b64 exec, exec, s[2:3]
	s_waitcnt lgkmcnt(0)
	v_mov_b32_dpp v3, v2 quad_perm:[1,0,3,2] row_mask:0xf bank_mask:0xf
	v_add_f32_e32 v2, v2, v3
	s_barrier
	s_nop 0
	v_mov_b32_dpp v3, v2 quad_perm:[2,3,0,1] row_mask:0xf bank_mask:0xf
	v_add_f32_e32 v2, v2, v3
	s_nop 1
	v_mov_b32_dpp v3, v2 row_half_mirror row_mask:0xf bank_mask:0xf
	v_add_f32_e32 v2, v2, v3
	s_nop 1
	v_mov_b32_dpp v3, v2 row_mirror row_mask:0xf bank_mask:0xf
	v_add_f32_e32 v2, v2, v3
	s_nop 1
	v_mov_b32_dpp v3, v2 row_bcast:15 row_mask:0xf bank_mask:0xf
	v_add_f32_e32 v2, v2, v3
	s_nop 1
	v_mov_b32_dpp v3, v2 row_bcast:31 row_mask:0xf bank_mask:0xf
	v_add_f32_e32 v2, v2, v3
	ds_bpermute_b32 v1, v1, v2
	s_and_saveexec_b64 s[0:1], vcc
	s_cbranch_execz .LBB55_11
; %bb.9:
	s_load_dword s7, s[4:5], 0x4c
	v_lshl_add_u32 v2, v0, 2, 0
	s_mov_b64 s[2:3], 0
	v_mov_b32_e32 v3, v0
	s_waitcnt lgkmcnt(0)
	s_and_b32 s7, s7, 0xffff
	s_lshl_b32 s11, s7, 2
.LBB55_10:                              ; =>This Inner Loop Header: Depth=1
	ds_read_b32 v4, v2
	v_add_u32_e32 v3, s7, v3
	v_cmp_le_i32_e32 vcc, s8, v3
	s_or_b64 s[2:3], vcc, s[2:3]
	s_waitcnt lgkmcnt(0)
	v_div_scale_f32 v5, s[16:17], v1, v1, v4
	v_rcp_f32_e32 v6, v5
	v_div_scale_f32 v7, vcc, v4, v1, v4
	v_fma_f32 v8, -v5, v6, 1.0
	v_fmac_f32_e32 v6, v8, v6
	v_mul_f32_e32 v8, v7, v6
	v_fma_f32 v9, -v5, v8, v7
	v_fmac_f32_e32 v8, v9, v6
	v_fma_f32 v5, -v5, v8, v7
	v_div_fmas_f32 v5, v5, v6, v8
	v_div_fixup_f32 v4, v5, v1, v4
	ds_write_b32 v2, v4
	v_add_u32_e32 v2, s11, v2
	s_andn2_b64 exec, exec, s[2:3]
	s_cbranch_execnz .LBB55_10
.LBB55_11:
	s_or_b64 exec, exec, s[0:1]
	s_lshr_b32 s0, s8, 31
	s_add_i32 s0, s8, s0
	s_ashr_i32 s11, s0, 1
	s_lshl_b32 s0, s8, 2
	s_add_i32 s20, s0, 0
	v_cmp_gt_u32_e32 vcc, 2, v0
	s_waitcnt lgkmcnt(0)
	s_barrier
	s_and_saveexec_b64 s[2:3], vcc
	s_cbranch_execz .LBB55_18
; %bb.12:
	s_load_dword s0, s[4:5], 0x4c
	v_mul_lo_u32 v1, v0, s11
	v_lshl_add_u32 v1, v1, 2, 0
	s_waitcnt lgkmcnt(0)
	s_and_b32 s7, s0, 0xffff
	s_cmp_gt_i32 s8, 1
	s_cselect_b64 s[0:1], -1, 0
	s_mul_i32 s16, s11, s7
	v_cndmask_b32_e64 v2, 0, 1, s[0:1]
	s_lshl_b32 s21, s16, 2
	s_mov_b64 s[16:17], 0
	v_cmp_ne_u32_e64 s[0:1], 1, v2
	v_mov_b32_e32 v2, v0
	s_branch .LBB55_14
.LBB55_13:                              ;   in Loop: Header=BB55_14 Depth=1
	v_lshl_add_u32 v4, v2, 2, s20
	v_add_u32_e32 v2, s7, v2
	v_cmp_lt_u32_e32 vcc, 1, v2
	s_or_b64 s[16:17], vcc, s[16:17]
	v_add_u32_e32 v1, s21, v1
	ds_write_b32 v4, v3
	s_andn2_b64 exec, exec, s[16:17]
	s_cbranch_execz .LBB55_18
.LBB55_14:                              ; =>This Loop Header: Depth=1
                                        ;     Child Loop BB55_16 Depth 2
	s_and_b64 vcc, exec, s[0:1]
	v_mov_b32_e32 v3, 0xff800000
	s_cbranch_vccnz .LBB55_13
; %bb.15:                               ;   in Loop: Header=BB55_14 Depth=1
	v_mul_lo_u32 v4, v2, s11
	v_add_u32_e32 v5, s11, v4
	s_mov_b64 s[18:19], 0
	v_mov_b32_e32 v3, 0xff800000
	v_mov_b32_e32 v6, v1
.LBB55_16:                              ;   Parent Loop BB55_14 Depth=1
                                        ; =>  This Inner Loop Header: Depth=2
	ds_read_b32 v7, v6
	v_add_u32_e32 v4, 1, v4
	v_cmp_ge_i32_e32 vcc, v4, v5
	s_or_b64 s[18:19], vcc, s[18:19]
	v_add_u32_e32 v6, 4, v6
	s_waitcnt lgkmcnt(0)
	v_cmp_gt_f32_e32 vcc, v7, v3
	v_cndmask_b32_e32 v3, v3, v7, vcc
	s_andn2_b64 exec, exec, s[18:19]
	s_cbranch_execnz .LBB55_16
; %bb.17:                               ;   in Loop: Header=BB55_14 Depth=1
	s_or_b64 exec, exec, s[18:19]
	s_branch .LBB55_13
.LBB55_18:
	s_or_b64 exec, exec, s[2:3]
	s_cmp_lt_i32 s10, 1
	s_waitcnt lgkmcnt(0)
	s_barrier
	s_cbranch_scc1 .LBB55_21
; %bb.19:
	v_mov_b32_e32 v1, s20
	s_mov_b32 s0, 0xff800000
	v_mov_b32_e32 v2, 0xff800000
.LBB55_20:                              ; =>This Inner Loop Header: Depth=1
	ds_read2_b32 v[4:5], v1 offset1:1
	s_add_i32 s10, s10, -1
	s_cmp_lg_u32 s10, 0
	s_waitcnt lgkmcnt(0)
	v_cmp_nlg_f32_e32 vcc, s0, v4
	v_cndmask_b32_e64 v3, 0, 1, vcc
	v_cmp_lg_f32_e32 vcc, s0, v4
	v_cndmask_b32_e32 v4, v2, v4, vcc
	v_lshlrev_b32_e32 v3, 1, v3
	v_cmp_ngt_f32_e32 vcc, v5, v4
	v_cndmask_b32_e32 v3, 1, v3, vcc
	v_lshlrev_b32_e32 v3, 2, v3
	v_add_u32_e32 v3, s20, v3
	ds_write_b32 v3, v2
	s_cbranch_scc1 .LBB55_20
.LBB55_21:
	s_ashr_i32 s0, s8, 31
	s_lshr_b32 s0, s0, 30
	s_add_i32 s0, s8, s0
	s_ashr_i32 s7, s0, 2
	v_cmp_gt_i32_e32 vcc, s7, v0
	v_lshlrev_b32_e32 v1, 2, v0
	v_lshl_add_u32 v6, v0, 4, 0
	s_and_saveexec_b64 s[2:3], vcc
	s_cbranch_execz .LBB55_26
; %bb.22:
	s_abs_i32 s8, s11
	v_cvt_f32_u32_e32 v2, s8
	s_load_dword s0, s[4:5], 0x4c
	s_sub_i32 s1, 0, s8
	s_ashr_i32 s18, s11, 31
	v_rcp_iflag_f32_e32 v2, v2
	v_lshlrev_b32_e32 v7, 2, v0
	s_waitcnt lgkmcnt(0)
	s_and_b32 s19, s0, 0xffff
	v_lshl_add_u32 v8, v0, 4, 0
	v_mul_f32_e32 v2, 0x4f7ffffe, v2
	v_cvt_u32_f32_e32 v2, v2
	s_mov_b64 s[10:11], 0
	s_lshl_b32 s21, s19, 2
	s_lshl_b32 s22, s19, 4
	v_mul_lo_u32 v3, s1, v2
	v_mul_hi_u32 v3, v2, v3
	v_add_u32_e32 v9, v2, v3
	s_mov_b32 s23, 0xff800000
	v_mov_b32_e32 v2, 0xff800000
	v_mov_b32_e32 v10, v0
	s_branch .LBB55_24
.LBB55_23:                              ;   in Loop: Header=BB55_24 Depth=1
	s_or_b64 exec, exec, s[16:17]
	v_add_u32_e32 v10, s19, v10
	v_cmp_le_i32_e64 s[0:1], s7, v10
	v_add_u32_e32 v7, s21, v7
	s_or_b64 s[10:11], s[0:1], s[10:11]
	v_add_u32_e32 v8, s22, v8
	s_andn2_b64 exec, exec, s[10:11]
	s_cbranch_execz .LBB55_26
.LBB55_24:                              ; =>This Inner Loop Header: Depth=1
	v_mul_hi_u32 v3, v7, v9
	v_mul_lo_u32 v4, v3, s8
	v_sub_u32_e32 v4, v7, v4
	v_add_u32_e32 v5, 1, v3
	v_cmp_le_u32_e64 s[0:1], s8, v4
	v_cndmask_b32_e64 v3, v3, v5, s[0:1]
	v_subrev_u32_e32 v5, s8, v4
	v_cndmask_b32_e64 v4, v4, v5, s[0:1]
	v_add_u32_e32 v5, 1, v3
	v_cmp_le_u32_e64 s[0:1], s8, v4
	v_cndmask_b32_e64 v3, v3, v5, s[0:1]
	v_xor_b32_e32 v3, s18, v3
	v_subrev_u32_e32 v3, s18, v3
	v_lshl_add_u32 v3, v3, 2, s20
	ds_read_b32 v3, v3
	s_waitcnt lgkmcnt(0)
	v_cmp_neq_f32_e64 s[0:1], s23, v3
	s_and_saveexec_b64 s[16:17], s[0:1]
	s_cbranch_execz .LBB55_23
; %bb.25:                               ;   in Loop: Header=BB55_24 Depth=1
	v_mov_b32_e32 v3, v2
	v_mov_b32_e32 v4, v2
	;; [unrolled: 1-line block ×3, first 2 shown]
	ds_write_b128 v8, v[2:5]
	s_branch .LBB55_23
.LBB55_26:
	s_or_b64 exec, exec, s[2:3]
	s_cmp_lt_i32 s9, 1
	s_waitcnt lgkmcnt(0)
	s_barrier
	s_cbranch_scc1 .LBB55_33
; %bb.27:
	s_add_u32 s2, s4, 64
	s_addc_u32 s3, s5, 0
	s_mov_b32 s8, 0
	v_mov_b32_e32 v3, 0
	v_mov_b32_e32 v5, 0xff800000
                                        ; implicit-def: $vgpr4
                                        ; implicit-def: $vgpr2
	s_branch .LBB55_29
.LBB55_28:                              ;   in Loop: Header=BB55_29 Depth=1
	s_or_b64 exec, exec, s[10:11]
	v_mov_b32_dpp v10, v8 quad_perm:[1,0,3,2] row_mask:0xf bank_mask:0xf
	v_cmp_lt_f32_e64 s[0:1], v8, v10
	v_cndmask_b32_e64 v8, v8, v10, s[0:1]
	v_mov_b32_dpp v9, v7 quad_perm:[1,0,3,2] row_mask:0xf bank_mask:0xf
	v_cndmask_b32_e64 v7, v7, v9, s[0:1]
	v_mov_b32_dpp v10, v8 quad_perm:[2,3,0,1] row_mask:0xf bank_mask:0xf
	v_cmp_gt_f32_e64 s[0:1], v10, v8
	v_cndmask_b32_e64 v8, v8, v10, s[0:1]
	v_mov_b32_dpp v9, v7 quad_perm:[2,3,0,1] row_mask:0xf bank_mask:0xf
	v_cndmask_b32_e64 v7, v7, v9, s[0:1]
	v_mov_b32_dpp v10, v8 row_half_mirror row_mask:0xf bank_mask:0xf
	v_cmp_gt_f32_e64 s[0:1], v10, v8
	v_cndmask_b32_e64 v8, v8, v10, s[0:1]
	v_mov_b32_dpp v9, v7 row_half_mirror row_mask:0xf bank_mask:0xf
	v_cndmask_b32_e64 v7, v7, v9, s[0:1]
	v_mov_b32_dpp v10, v8 row_mirror row_mask:0xf bank_mask:0xf
	v_cmp_gt_f32_e64 s[0:1], v10, v8
	v_cndmask_b32_e64 v8, v8, v10, s[0:1]
	v_mov_b32_dpp v9, v7 row_mirror row_mask:0xf bank_mask:0xf
	v_cndmask_b32_e64 v7, v7, v9, s[0:1]
	v_mov_b32_dpp v10, v8 row_bcast:15 row_mask:0xf bank_mask:0xf
	v_cmp_gt_f32_e64 s[0:1], v10, v8
	v_mov_b32_dpp v9, v7 row_bcast:15 row_mask:0xf bank_mask:0xf
	v_cndmask_b32_e64 v8, v8, v10, s[0:1]
	v_cndmask_b32_e64 v7, v7, v9, s[0:1]
	s_nop 0
	v_mov_b32_dpp v10, v8 row_bcast:31 row_mask:0xf bank_mask:0xf
	v_mov_b32_dpp v9, v7 row_bcast:31 row_mask:0xf bank_mask:0xf
	v_cmp_gt_f32_e64 s[0:1], v10, v8
	v_cndmask_b32_e64 v7, v7, v9, s[0:1]
	v_cndmask_b32_e64 v8, v8, v10, s[0:1]
	v_readlane_b32 s0, v7, 63
	s_lshl_b32 s1, s0, 2
	s_add_i32 s1, s1, 0
	v_mov_b32_e32 v7, s1
	v_readlane_b32 s10, v8, 63
	ds_write_b32 v7, v5
	v_mov_b32_e32 v7, s0
	v_cmp_eq_u32_e64 s[0:1], s8, v0
	v_cndmask_b32_e64 v2, v2, v7, s[0:1]
	v_mov_b32_e32 v7, s10
	s_add_i32 s8, s8, 1
	v_cndmask_b32_e64 v4, v4, v7, s[0:1]
	s_cmp_eq_u32 s8, s9
	v_add_f32_e32 v3, s10, v3
	s_cbranch_scc1 .LBB55_34
.LBB55_29:                              ; =>This Loop Header: Depth=1
                                        ;     Child Loop BB55_31 Depth 2
	v_mov_b32_e32 v7, s8
	v_mov_b32_e32 v8, 0xff800000
	s_and_saveexec_b64 s[10:11], vcc
	s_cbranch_execz .LBB55_28
; %bb.30:                               ;   in Loop: Header=BB55_29 Depth=1
	s_load_dword s0, s[2:3], 0xc
	s_mov_b64 s[16:17], 0
	v_mov_b32_e32 v7, s8
	v_mov_b32_e32 v8, 0xff800000
	;; [unrolled: 1-line block ×3, first 2 shown]
	s_waitcnt lgkmcnt(0)
	s_and_b32 s18, s0, 0xffff
	s_lshl_b32 s19, s18, 2
	s_lshl_b32 s20, s18, 4
	v_mov_b32_e32 v10, v1
	v_mov_b32_e32 v11, v0
.LBB55_31:                              ;   Parent Loop BB55_29 Depth=1
                                        ; =>  This Inner Loop Header: Depth=2
	ds_read_b128 v[12:15], v9
	v_add_u32_e32 v11, s18, v11
	v_cmp_le_i32_e64 s[0:1], s7, v11
	s_or_b64 s[16:17], s[0:1], s[16:17]
	v_add_u32_e32 v16, 1, v10
	s_waitcnt lgkmcnt(0)
	v_cmp_gt_f32_e64 s[0:1], v12, v8
	v_cndmask_b32_e64 v8, v8, v12, s[0:1]
	v_cndmask_b32_e64 v7, v7, v10, s[0:1]
	v_cmp_gt_f32_e64 s[0:1], v13, v8
	v_cndmask_b32_e64 v8, v8, v13, s[0:1]
	v_cndmask_b32_e64 v7, v7, v16, s[0:1]
	v_cmp_gt_f32_e64 s[0:1], v14, v8
	v_add_u32_e32 v17, 2, v10
	v_cndmask_b32_e64 v8, v8, v14, s[0:1]
	v_add_u32_e32 v18, 3, v10
	v_cndmask_b32_e64 v7, v7, v17, s[0:1]
	v_cmp_gt_f32_e64 s[0:1], v15, v8
	v_add_u32_e32 v9, s20, v9
	v_add_u32_e32 v10, s19, v10
	v_cndmask_b32_e64 v8, v8, v15, s[0:1]
	v_cndmask_b32_e64 v7, v7, v18, s[0:1]
	s_andn2_b64 exec, exec, s[16:17]
	s_cbranch_execnz .LBB55_31
; %bb.32:                               ;   in Loop: Header=BB55_29 Depth=1
	s_or_b64 exec, exec, s[16:17]
	s_branch .LBB55_28
.LBB55_33:
	v_mov_b32_e32 v3, 0
                                        ; implicit-def: $vgpr4
                                        ; implicit-def: $vgpr2
.LBB55_34:
	v_cmp_gt_i32_e32 vcc, s9, v0
	s_and_saveexec_b64 s[0:1], vcc
	s_cbranch_execz .LBB55_37
; %bb.35:
	s_load_dword s7, s[4:5], 0x38
	s_load_dwordx2 s[0:1], s[4:5], 0x20
	s_load_dword s8, s[4:5], 0x4c
	s_waitcnt lgkmcnt(0)
	v_div_scale_f32 v1, s[2:3], v3, v3, s7
	v_rcp_f32_e32 v5, v1
	v_div_scale_f32 v6, vcc, s7, v3, s7
	s_ashr_i32 s2, s6, 31
	v_fma_f32 v7, -v1, v5, 1.0
	v_fmac_f32_e32 v5, v7, v5
	v_mul_f32_e32 v7, v6, v5
	v_fma_f32 v8, -v1, v7, v6
	v_fmac_f32_e32 v7, v8, v5
	v_fma_f32 v1, -v1, v7, v6
	s_mul_i32 s1, s6, s1
	s_mul_hi_u32 s3, s6, s0
	v_div_fmas_f32 v1, v1, v5, v7
	s_add_i32 s1, s3, s1
	s_mul_i32 s2, s2, s0
	v_div_fixup_f32 v1, v1, v3, s7
	s_add_i32 s4, s1, s2
	v_mul_f32_e32 v1, v1, v4
	s_mul_i32 s2, s6, s0
	s_and_b32 s3, s8, 0xffff
	s_mov_b64 s[0:1], 0
	v_mov_b32_e32 v3, s4
	v_mov_b32_e32 v4, s13
	;; [unrolled: 1-line block ×3, first 2 shown]
.LBB55_36:                              ; =>This Inner Loop Header: Depth=1
	v_ashrrev_i32_e32 v7, 31, v0
	v_add_co_u32_e32 v6, vcc, s2, v0
	v_addc_co_u32_e32 v7, vcc, v3, v7, vcc
	v_add_u32_e32 v0, s3, v0
	v_cmp_le_i32_e32 vcc, s9, v0
	v_lshlrev_b64 v[6:7], 2, v[6:7]
	s_or_b64 s[0:1], vcc, s[0:1]
	v_add_co_u32_e32 v8, vcc, s12, v6
	v_addc_co_u32_e32 v9, vcc, v4, v7, vcc
	v_add_co_u32_e32 v6, vcc, s14, v6
	v_addc_co_u32_e32 v7, vcc, v5, v7, vcc
	global_store_dword v[8:9], v1, off
	global_store_dword v[6:7], v2, off
	s_andn2_b64 exec, exec, s[0:1]
	s_cbranch_execnz .LBB55_36
.LBB55_37:
	s_endpgm
	.section	.rodata,"a",@progbits
	.p2align	6, 0x0
	.amdhsa_kernel _ZN5aiter19grouped_topk_kernelIfDv4_fLi2ELb1ELb0ELb1EEEvPT_PKS2_PfPimiiiif
		.amdhsa_group_segment_fixed_size 0
		.amdhsa_private_segment_fixed_size 0
		.amdhsa_kernarg_size 320
		.amdhsa_user_sgpr_count 6
		.amdhsa_user_sgpr_private_segment_buffer 1
		.amdhsa_user_sgpr_dispatch_ptr 0
		.amdhsa_user_sgpr_queue_ptr 0
		.amdhsa_user_sgpr_kernarg_segment_ptr 1
		.amdhsa_user_sgpr_dispatch_id 0
		.amdhsa_user_sgpr_flat_scratch_init 0
		.amdhsa_user_sgpr_kernarg_preload_length 0
		.amdhsa_user_sgpr_kernarg_preload_offset 0
		.amdhsa_user_sgpr_private_segment_size 0
		.amdhsa_uses_dynamic_stack 0
		.amdhsa_system_sgpr_private_segment_wavefront_offset 0
		.amdhsa_system_sgpr_workgroup_id_x 1
		.amdhsa_system_sgpr_workgroup_id_y 0
		.amdhsa_system_sgpr_workgroup_id_z 0
		.amdhsa_system_sgpr_workgroup_info 0
		.amdhsa_system_vgpr_workitem_id 0
		.amdhsa_next_free_vgpr 19
		.amdhsa_next_free_sgpr 24
		.amdhsa_accum_offset 20
		.amdhsa_reserve_vcc 1
		.amdhsa_reserve_flat_scratch 0
		.amdhsa_float_round_mode_32 0
		.amdhsa_float_round_mode_16_64 0
		.amdhsa_float_denorm_mode_32 3
		.amdhsa_float_denorm_mode_16_64 3
		.amdhsa_dx10_clamp 1
		.amdhsa_ieee_mode 1
		.amdhsa_fp16_overflow 0
		.amdhsa_tg_split 0
		.amdhsa_exception_fp_ieee_invalid_op 0
		.amdhsa_exception_fp_denorm_src 0
		.amdhsa_exception_fp_ieee_div_zero 0
		.amdhsa_exception_fp_ieee_overflow 0
		.amdhsa_exception_fp_ieee_underflow 0
		.amdhsa_exception_fp_ieee_inexact 0
		.amdhsa_exception_int_div_zero 0
	.end_amdhsa_kernel
	.section	.text._ZN5aiter19grouped_topk_kernelIfDv4_fLi2ELb1ELb0ELb1EEEvPT_PKS2_PfPimiiiif,"axG",@progbits,_ZN5aiter19grouped_topk_kernelIfDv4_fLi2ELb1ELb0ELb1EEEvPT_PKS2_PfPimiiiif,comdat
.Lfunc_end55:
	.size	_ZN5aiter19grouped_topk_kernelIfDv4_fLi2ELb1ELb0ELb1EEEvPT_PKS2_PfPimiiiif, .Lfunc_end55-_ZN5aiter19grouped_topk_kernelIfDv4_fLi2ELb1ELb0ELb1EEEvPT_PKS2_PfPimiiiif
                                        ; -- End function
	.section	.AMDGPU.csdata,"",@progbits
; Kernel info:
; codeLenInByte = 2492
; NumSgprs: 28
; NumVgprs: 19
; NumAgprs: 0
; TotalNumVgprs: 19
; ScratchSize: 0
; MemoryBound: 0
; FloatMode: 240
; IeeeMode: 1
; LDSByteSize: 0 bytes/workgroup (compile time only)
; SGPRBlocks: 3
; VGPRBlocks: 2
; NumSGPRsForWavesPerEU: 28
; NumVGPRsForWavesPerEU: 19
; AccumOffset: 20
; Occupancy: 8
; WaveLimiterHint : 0
; COMPUTE_PGM_RSRC2:SCRATCH_EN: 0
; COMPUTE_PGM_RSRC2:USER_SGPR: 6
; COMPUTE_PGM_RSRC2:TRAP_HANDLER: 0
; COMPUTE_PGM_RSRC2:TGID_X_EN: 1
; COMPUTE_PGM_RSRC2:TGID_Y_EN: 0
; COMPUTE_PGM_RSRC2:TGID_Z_EN: 0
; COMPUTE_PGM_RSRC2:TIDIG_COMP_CNT: 0
; COMPUTE_PGM_RSRC3_GFX90A:ACCUM_OFFSET: 4
; COMPUTE_PGM_RSRC3_GFX90A:TG_SPLIT: 0
	.section	.text._ZN5aiter19grouped_topk_kernelIN3c104HalfEDv4_fLi2ELb1ELb0ELb1EEEvPT_PKS4_PfPimiiiif,"axG",@progbits,_ZN5aiter19grouped_topk_kernelIN3c104HalfEDv4_fLi2ELb1ELb0ELb1EEEvPT_PKS4_PfPimiiiif,comdat
	.protected	_ZN5aiter19grouped_topk_kernelIN3c104HalfEDv4_fLi2ELb1ELb0ELb1EEEvPT_PKS4_PfPimiiiif ; -- Begin function _ZN5aiter19grouped_topk_kernelIN3c104HalfEDv4_fLi2ELb1ELb0ELb1EEEvPT_PKS4_PfPimiiiif
	.globl	_ZN5aiter19grouped_topk_kernelIN3c104HalfEDv4_fLi2ELb1ELb0ELb1EEEvPT_PKS4_PfPimiiiif
	.p2align	8
	.type	_ZN5aiter19grouped_topk_kernelIN3c104HalfEDv4_fLi2ELb1ELb0ELb1EEEvPT_PKS4_PfPimiiiif,@function
_ZN5aiter19grouped_topk_kernelIN3c104HalfEDv4_fLi2ELb1ELb0ELb1EEEvPT_PKS4_PfPimiiiif: ; @_ZN5aiter19grouped_topk_kernelIN3c104HalfEDv4_fLi2ELb1ELb0ELb1EEEvPT_PKS4_PfPimiiiif
; %bb.0:
	s_load_dwordx4 s[8:11], s[4:5], 0x28
	s_load_dwordx4 s[12:15], s[4:5], 0x10
	v_mov_b32_e32 v1, 0xff800000
	s_waitcnt lgkmcnt(0)
	v_cmp_gt_i32_e32 vcc, s8, v0
	s_and_saveexec_b64 s[2:3], vcc
	s_cbranch_execz .LBB56_4
; %bb.1:
	s_load_dword s0, s[4:5], 0x4c
	s_load_dwordx2 s[16:17], s[4:5], 0x0
	s_mul_i32 s7, s6, s8
	v_lshl_add_u32 v2, v0, 2, 0
	s_mov_b64 s[18:19], 0
	s_waitcnt lgkmcnt(0)
	s_and_b32 s11, s0, 0xffff
	s_lshl_b32 s20, s11, 2
	v_mov_b32_e32 v1, 0xff800000
	v_mov_b32_e32 v3, s17
	v_mov_b32_e32 v4, v0
.LBB56_2:                               ; =>This Inner Loop Header: Depth=1
	v_add_u32_e32 v6, s7, v4
	v_ashrrev_i32_e32 v7, 31, v6
	v_lshlrev_b64 v[6:7], 1, v[6:7]
	v_add_co_u32_e64 v6, s[0:1], s16, v6
	v_addc_co_u32_e64 v7, s[0:1], v3, v7, s[0:1]
	global_load_ushort v5, v[6:7], off
	v_add_u32_e32 v4, s11, v4
	v_cmp_le_i32_e64 s[0:1], s8, v4
	s_or_b64 s[18:19], s[0:1], s[18:19]
	s_waitcnt vmcnt(0)
	v_cvt_f32_f16_e32 v5, v5
	v_cmp_lt_f32_e64 s[0:1], v1, v5
	ds_write_b32 v2, v5
	v_cndmask_b32_e64 v1, v1, v5, s[0:1]
	v_add_u32_e32 v2, s20, v2
	s_andn2_b64 exec, exec, s[18:19]
	s_cbranch_execnz .LBB56_2
; %bb.3:
	s_or_b64 exec, exec, s[18:19]
.LBB56_4:
	s_or_b64 exec, exec, s[2:3]
	v_mov_b32_dpp v2, v1 quad_perm:[1,0,3,2] row_mask:0xf bank_mask:0xf
	v_cmp_lt_f32_e64 s[0:1], v1, v2
	v_cndmask_b32_e64 v1, v1, v2, s[0:1]
	v_bfrev_b32_e32 v3, 0.5
	s_waitcnt lgkmcnt(0)
	v_mov_b32_dpp v2, v1 quad_perm:[2,3,0,1] row_mask:0xf bank_mask:0xf
	v_cmp_lt_f32_e64 s[0:1], v1, v2
	v_cndmask_b32_e64 v1, v1, v2, s[0:1]
	s_barrier
	s_nop 0
	v_mov_b32_dpp v2, v1 row_half_mirror row_mask:0xf bank_mask:0xf
	v_cmp_lt_f32_e64 s[0:1], v1, v2
	v_cndmask_b32_e64 v1, v1, v2, s[0:1]
	s_nop 1
	v_mov_b32_dpp v2, v1 row_mirror row_mask:0xf bank_mask:0xf
	v_cmp_lt_f32_e64 s[0:1], v1, v2
	v_cndmask_b32_e64 v1, v1, v2, s[0:1]
	s_nop 1
	v_mov_b32_dpp v2, v1 row_bcast:15 row_mask:0xf bank_mask:0xf
	v_cmp_lt_f32_e64 s[0:1], v1, v2
	v_cndmask_b32_e64 v1, v1, v2, s[0:1]
	s_nop 1
	v_mov_b32_dpp v2, v1 row_bcast:31 row_mask:0xf bank_mask:0xf
	v_cmp_lt_f32_e64 s[0:1], v1, v2
	v_cndmask_b32_e64 v2, v1, v2, s[0:1]
	v_mbcnt_lo_u32_b32 v1, -1, 0
	v_mbcnt_hi_u32_b32 v1, -1, v1
	v_lshl_or_b32 v1, v1, 2, v3
	ds_bpermute_b32 v3, v1, v2
	v_mov_b32_e32 v2, 0
	s_and_saveexec_b64 s[2:3], vcc
	s_cbranch_execz .LBB56_8
; %bb.5:
	s_load_dword s0, s[4:5], 0x4c
	v_lshl_add_u32 v4, v0, 2, 0
	s_mov_b64 s[16:17], 0
	v_mov_b32_e32 v2, 0
	s_mov_b32 s7, 0x3fb8aa3b
	s_waitcnt lgkmcnt(0)
	s_and_b32 s11, s0, 0xffff
	s_lshl_b32 s18, s11, 2
	s_mov_b32 s19, 0xc2ce8ed0
	s_mov_b32 s20, 0x42b17218
	v_mov_b32_e32 v5, 0x7f800000
	v_mov_b32_e32 v6, v0
.LBB56_6:                               ; =>This Inner Loop Header: Depth=1
	ds_read_b32 v7, v4
	v_add_u32_e32 v6, s11, v6
	s_waitcnt lgkmcnt(0)
	v_sub_f32_e32 v7, v7, v3
	v_mul_f32_e32 v8, 0x3fb8aa3b, v7
	v_fma_f32 v9, v7, s7, -v8
	v_rndne_f32_e32 v10, v8
	v_fmac_f32_e32 v9, 0x32a5705f, v7
	v_sub_f32_e32 v8, v8, v10
	v_add_f32_e32 v8, v8, v9
	v_cvt_i32_f32_e32 v10, v10
	v_exp_f32_e32 v8, v8
	v_cmp_ngt_f32_e64 s[0:1], s19, v7
	v_ldexp_f32 v8, v8, v10
	v_cndmask_b32_e64 v8, 0, v8, s[0:1]
	v_cmp_nlt_f32_e64 s[0:1], s20, v7
	v_cndmask_b32_e64 v7, v5, v8, s[0:1]
	v_cmp_le_i32_e64 s[0:1], s8, v6
	ds_write_b32 v4, v7
	v_add_f32_e32 v2, v2, v7
	s_or_b64 s[16:17], s[0:1], s[16:17]
	v_add_u32_e32 v4, s18, v4
	s_andn2_b64 exec, exec, s[16:17]
	s_cbranch_execnz .LBB56_6
; %bb.7:
	s_or_b64 exec, exec, s[16:17]
.LBB56_8:
	s_or_b64 exec, exec, s[2:3]
	s_waitcnt lgkmcnt(0)
	v_mov_b32_dpp v3, v2 quad_perm:[1,0,3,2] row_mask:0xf bank_mask:0xf
	v_add_f32_e32 v2, v2, v3
	s_barrier
	s_nop 0
	v_mov_b32_dpp v3, v2 quad_perm:[2,3,0,1] row_mask:0xf bank_mask:0xf
	v_add_f32_e32 v2, v2, v3
	s_nop 1
	v_mov_b32_dpp v3, v2 row_half_mirror row_mask:0xf bank_mask:0xf
	v_add_f32_e32 v2, v2, v3
	s_nop 1
	v_mov_b32_dpp v3, v2 row_mirror row_mask:0xf bank_mask:0xf
	v_add_f32_e32 v2, v2, v3
	s_nop 1
	v_mov_b32_dpp v3, v2 row_bcast:15 row_mask:0xf bank_mask:0xf
	v_add_f32_e32 v2, v2, v3
	s_nop 1
	v_mov_b32_dpp v3, v2 row_bcast:31 row_mask:0xf bank_mask:0xf
	v_add_f32_e32 v2, v2, v3
	ds_bpermute_b32 v1, v1, v2
	s_and_saveexec_b64 s[0:1], vcc
	s_cbranch_execz .LBB56_11
; %bb.9:
	s_load_dword s7, s[4:5], 0x4c
	v_lshl_add_u32 v2, v0, 2, 0
	s_mov_b64 s[2:3], 0
	v_mov_b32_e32 v3, v0
	s_waitcnt lgkmcnt(0)
	s_and_b32 s7, s7, 0xffff
	s_lshl_b32 s11, s7, 2
.LBB56_10:                              ; =>This Inner Loop Header: Depth=1
	ds_read_b32 v4, v2
	v_add_u32_e32 v3, s7, v3
	v_cmp_le_i32_e32 vcc, s8, v3
	s_or_b64 s[2:3], vcc, s[2:3]
	s_waitcnt lgkmcnt(0)
	v_div_scale_f32 v5, s[16:17], v1, v1, v4
	v_rcp_f32_e32 v6, v5
	v_div_scale_f32 v7, vcc, v4, v1, v4
	v_fma_f32 v8, -v5, v6, 1.0
	v_fmac_f32_e32 v6, v8, v6
	v_mul_f32_e32 v8, v7, v6
	v_fma_f32 v9, -v5, v8, v7
	v_fmac_f32_e32 v8, v9, v6
	v_fma_f32 v5, -v5, v8, v7
	v_div_fmas_f32 v5, v5, v6, v8
	v_div_fixup_f32 v4, v5, v1, v4
	ds_write_b32 v2, v4
	v_add_u32_e32 v2, s11, v2
	s_andn2_b64 exec, exec, s[2:3]
	s_cbranch_execnz .LBB56_10
.LBB56_11:
	s_or_b64 exec, exec, s[0:1]
	s_lshr_b32 s0, s8, 31
	s_add_i32 s0, s8, s0
	s_ashr_i32 s11, s0, 1
	s_lshl_b32 s0, s8, 2
	s_add_i32 s20, s0, 0
	v_cmp_gt_u32_e32 vcc, 2, v0
	s_waitcnt lgkmcnt(0)
	s_barrier
	s_and_saveexec_b64 s[2:3], vcc
	s_cbranch_execz .LBB56_18
; %bb.12:
	s_load_dword s0, s[4:5], 0x4c
	v_mul_lo_u32 v1, v0, s11
	v_lshl_add_u32 v1, v1, 2, 0
	s_waitcnt lgkmcnt(0)
	s_and_b32 s7, s0, 0xffff
	s_cmp_gt_i32 s8, 1
	s_cselect_b64 s[0:1], -1, 0
	s_mul_i32 s16, s11, s7
	v_cndmask_b32_e64 v2, 0, 1, s[0:1]
	s_lshl_b32 s21, s16, 2
	s_mov_b64 s[16:17], 0
	v_cmp_ne_u32_e64 s[0:1], 1, v2
	v_mov_b32_e32 v2, v0
	s_branch .LBB56_14
.LBB56_13:                              ;   in Loop: Header=BB56_14 Depth=1
	v_lshl_add_u32 v4, v2, 2, s20
	v_add_u32_e32 v2, s7, v2
	v_cmp_lt_u32_e32 vcc, 1, v2
	s_or_b64 s[16:17], vcc, s[16:17]
	v_add_u32_e32 v1, s21, v1
	ds_write_b32 v4, v3
	s_andn2_b64 exec, exec, s[16:17]
	s_cbranch_execz .LBB56_18
.LBB56_14:                              ; =>This Loop Header: Depth=1
                                        ;     Child Loop BB56_16 Depth 2
	s_and_b64 vcc, exec, s[0:1]
	v_mov_b32_e32 v3, 0xff800000
	s_cbranch_vccnz .LBB56_13
; %bb.15:                               ;   in Loop: Header=BB56_14 Depth=1
	v_mul_lo_u32 v4, v2, s11
	v_add_u32_e32 v5, s11, v4
	s_mov_b64 s[18:19], 0
	v_mov_b32_e32 v3, 0xff800000
	v_mov_b32_e32 v6, v1
.LBB56_16:                              ;   Parent Loop BB56_14 Depth=1
                                        ; =>  This Inner Loop Header: Depth=2
	ds_read_b32 v7, v6
	v_add_u32_e32 v4, 1, v4
	v_cmp_ge_i32_e32 vcc, v4, v5
	s_or_b64 s[18:19], vcc, s[18:19]
	v_add_u32_e32 v6, 4, v6
	s_waitcnt lgkmcnt(0)
	v_cmp_gt_f32_e32 vcc, v7, v3
	v_cndmask_b32_e32 v3, v3, v7, vcc
	s_andn2_b64 exec, exec, s[18:19]
	s_cbranch_execnz .LBB56_16
; %bb.17:                               ;   in Loop: Header=BB56_14 Depth=1
	s_or_b64 exec, exec, s[18:19]
	s_branch .LBB56_13
.LBB56_18:
	s_or_b64 exec, exec, s[2:3]
	s_cmp_lt_i32 s10, 1
	s_waitcnt lgkmcnt(0)
	s_barrier
	s_cbranch_scc1 .LBB56_21
; %bb.19:
	v_mov_b32_e32 v1, s20
	s_mov_b32 s0, 0xff800000
	v_mov_b32_e32 v2, 0xff800000
.LBB56_20:                              ; =>This Inner Loop Header: Depth=1
	ds_read2_b32 v[4:5], v1 offset1:1
	s_add_i32 s10, s10, -1
	s_cmp_lg_u32 s10, 0
	s_waitcnt lgkmcnt(0)
	v_cmp_nlg_f32_e32 vcc, s0, v4
	v_cndmask_b32_e64 v3, 0, 1, vcc
	v_cmp_lg_f32_e32 vcc, s0, v4
	v_cndmask_b32_e32 v4, v2, v4, vcc
	v_lshlrev_b32_e32 v3, 1, v3
	v_cmp_ngt_f32_e32 vcc, v5, v4
	v_cndmask_b32_e32 v3, 1, v3, vcc
	v_lshlrev_b32_e32 v3, 2, v3
	v_add_u32_e32 v3, s20, v3
	ds_write_b32 v3, v2
	s_cbranch_scc1 .LBB56_20
.LBB56_21:
	s_ashr_i32 s0, s8, 31
	s_lshr_b32 s0, s0, 30
	s_add_i32 s0, s8, s0
	s_ashr_i32 s7, s0, 2
	v_cmp_gt_i32_e32 vcc, s7, v0
	v_lshlrev_b32_e32 v1, 2, v0
	v_lshl_add_u32 v6, v0, 4, 0
	s_and_saveexec_b64 s[2:3], vcc
	s_cbranch_execz .LBB56_26
; %bb.22:
	s_abs_i32 s8, s11
	v_cvt_f32_u32_e32 v2, s8
	s_load_dword s0, s[4:5], 0x4c
	s_sub_i32 s1, 0, s8
	s_ashr_i32 s18, s11, 31
	v_rcp_iflag_f32_e32 v2, v2
	v_lshlrev_b32_e32 v7, 2, v0
	s_waitcnt lgkmcnt(0)
	s_and_b32 s19, s0, 0xffff
	v_lshl_add_u32 v8, v0, 4, 0
	v_mul_f32_e32 v2, 0x4f7ffffe, v2
	v_cvt_u32_f32_e32 v2, v2
	s_mov_b64 s[10:11], 0
	s_lshl_b32 s21, s19, 2
	s_lshl_b32 s22, s19, 4
	v_mul_lo_u32 v3, s1, v2
	v_mul_hi_u32 v3, v2, v3
	v_add_u32_e32 v9, v2, v3
	s_mov_b32 s23, 0xff800000
	v_mov_b32_e32 v2, 0xff800000
	v_mov_b32_e32 v10, v0
	s_branch .LBB56_24
.LBB56_23:                              ;   in Loop: Header=BB56_24 Depth=1
	s_or_b64 exec, exec, s[16:17]
	v_add_u32_e32 v10, s19, v10
	v_cmp_le_i32_e64 s[0:1], s7, v10
	v_add_u32_e32 v7, s21, v7
	s_or_b64 s[10:11], s[0:1], s[10:11]
	v_add_u32_e32 v8, s22, v8
	s_andn2_b64 exec, exec, s[10:11]
	s_cbranch_execz .LBB56_26
.LBB56_24:                              ; =>This Inner Loop Header: Depth=1
	v_mul_hi_u32 v3, v7, v9
	v_mul_lo_u32 v4, v3, s8
	v_sub_u32_e32 v4, v7, v4
	v_add_u32_e32 v5, 1, v3
	v_cmp_le_u32_e64 s[0:1], s8, v4
	v_cndmask_b32_e64 v3, v3, v5, s[0:1]
	v_subrev_u32_e32 v5, s8, v4
	v_cndmask_b32_e64 v4, v4, v5, s[0:1]
	v_add_u32_e32 v5, 1, v3
	v_cmp_le_u32_e64 s[0:1], s8, v4
	v_cndmask_b32_e64 v3, v3, v5, s[0:1]
	v_xor_b32_e32 v3, s18, v3
	v_subrev_u32_e32 v3, s18, v3
	v_lshl_add_u32 v3, v3, 2, s20
	ds_read_b32 v3, v3
	s_waitcnt lgkmcnt(0)
	v_cmp_neq_f32_e64 s[0:1], s23, v3
	s_and_saveexec_b64 s[16:17], s[0:1]
	s_cbranch_execz .LBB56_23
; %bb.25:                               ;   in Loop: Header=BB56_24 Depth=1
	v_mov_b32_e32 v3, v2
	v_mov_b32_e32 v4, v2
	;; [unrolled: 1-line block ×3, first 2 shown]
	ds_write_b128 v8, v[2:5]
	s_branch .LBB56_23
.LBB56_26:
	s_or_b64 exec, exec, s[2:3]
	s_cmp_lt_i32 s9, 1
	s_waitcnt lgkmcnt(0)
	s_barrier
	s_cbranch_scc1 .LBB56_33
; %bb.27:
	s_add_u32 s2, s4, 64
	s_addc_u32 s3, s5, 0
	s_mov_b32 s8, 0
	v_mov_b32_e32 v3, 0
	v_mov_b32_e32 v5, 0xff800000
                                        ; implicit-def: $vgpr4
                                        ; implicit-def: $vgpr2
	s_branch .LBB56_29
.LBB56_28:                              ;   in Loop: Header=BB56_29 Depth=1
	s_or_b64 exec, exec, s[10:11]
	v_mov_b32_dpp v10, v8 quad_perm:[1,0,3,2] row_mask:0xf bank_mask:0xf
	v_cmp_lt_f32_e64 s[0:1], v8, v10
	v_cndmask_b32_e64 v8, v8, v10, s[0:1]
	v_mov_b32_dpp v9, v7 quad_perm:[1,0,3,2] row_mask:0xf bank_mask:0xf
	v_cndmask_b32_e64 v7, v7, v9, s[0:1]
	v_mov_b32_dpp v10, v8 quad_perm:[2,3,0,1] row_mask:0xf bank_mask:0xf
	v_cmp_gt_f32_e64 s[0:1], v10, v8
	v_cndmask_b32_e64 v8, v8, v10, s[0:1]
	v_mov_b32_dpp v9, v7 quad_perm:[2,3,0,1] row_mask:0xf bank_mask:0xf
	v_cndmask_b32_e64 v7, v7, v9, s[0:1]
	v_mov_b32_dpp v10, v8 row_half_mirror row_mask:0xf bank_mask:0xf
	v_cmp_gt_f32_e64 s[0:1], v10, v8
	v_cndmask_b32_e64 v8, v8, v10, s[0:1]
	v_mov_b32_dpp v9, v7 row_half_mirror row_mask:0xf bank_mask:0xf
	v_cndmask_b32_e64 v7, v7, v9, s[0:1]
	v_mov_b32_dpp v10, v8 row_mirror row_mask:0xf bank_mask:0xf
	v_cmp_gt_f32_e64 s[0:1], v10, v8
	v_cndmask_b32_e64 v8, v8, v10, s[0:1]
	v_mov_b32_dpp v9, v7 row_mirror row_mask:0xf bank_mask:0xf
	v_cndmask_b32_e64 v7, v7, v9, s[0:1]
	v_mov_b32_dpp v10, v8 row_bcast:15 row_mask:0xf bank_mask:0xf
	v_cmp_gt_f32_e64 s[0:1], v10, v8
	v_mov_b32_dpp v9, v7 row_bcast:15 row_mask:0xf bank_mask:0xf
	v_cndmask_b32_e64 v8, v8, v10, s[0:1]
	v_cndmask_b32_e64 v7, v7, v9, s[0:1]
	s_nop 0
	v_mov_b32_dpp v10, v8 row_bcast:31 row_mask:0xf bank_mask:0xf
	v_mov_b32_dpp v9, v7 row_bcast:31 row_mask:0xf bank_mask:0xf
	v_cmp_gt_f32_e64 s[0:1], v10, v8
	v_cndmask_b32_e64 v7, v7, v9, s[0:1]
	v_cndmask_b32_e64 v8, v8, v10, s[0:1]
	v_readlane_b32 s0, v7, 63
	s_lshl_b32 s1, s0, 2
	s_add_i32 s1, s1, 0
	v_mov_b32_e32 v7, s1
	v_readlane_b32 s10, v8, 63
	ds_write_b32 v7, v5
	v_mov_b32_e32 v7, s0
	v_cmp_eq_u32_e64 s[0:1], s8, v0
	v_cndmask_b32_e64 v2, v2, v7, s[0:1]
	v_mov_b32_e32 v7, s10
	s_add_i32 s8, s8, 1
	v_cndmask_b32_e64 v4, v4, v7, s[0:1]
	s_cmp_eq_u32 s8, s9
	v_add_f32_e32 v3, s10, v3
	s_cbranch_scc1 .LBB56_34
.LBB56_29:                              ; =>This Loop Header: Depth=1
                                        ;     Child Loop BB56_31 Depth 2
	v_mov_b32_e32 v7, s8
	v_mov_b32_e32 v8, 0xff800000
	s_and_saveexec_b64 s[10:11], vcc
	s_cbranch_execz .LBB56_28
; %bb.30:                               ;   in Loop: Header=BB56_29 Depth=1
	s_load_dword s0, s[2:3], 0xc
	s_mov_b64 s[16:17], 0
	v_mov_b32_e32 v7, s8
	v_mov_b32_e32 v8, 0xff800000
	v_mov_b32_e32 v9, v6
	s_waitcnt lgkmcnt(0)
	s_and_b32 s18, s0, 0xffff
	s_lshl_b32 s19, s18, 2
	s_lshl_b32 s20, s18, 4
	v_mov_b32_e32 v10, v1
	v_mov_b32_e32 v11, v0
.LBB56_31:                              ;   Parent Loop BB56_29 Depth=1
                                        ; =>  This Inner Loop Header: Depth=2
	ds_read_b128 v[12:15], v9
	v_add_u32_e32 v11, s18, v11
	v_cmp_le_i32_e64 s[0:1], s7, v11
	s_or_b64 s[16:17], s[0:1], s[16:17]
	v_add_u32_e32 v16, 1, v10
	s_waitcnt lgkmcnt(0)
	v_cmp_gt_f32_e64 s[0:1], v12, v8
	v_cndmask_b32_e64 v8, v8, v12, s[0:1]
	v_cndmask_b32_e64 v7, v7, v10, s[0:1]
	v_cmp_gt_f32_e64 s[0:1], v13, v8
	v_cndmask_b32_e64 v8, v8, v13, s[0:1]
	v_cndmask_b32_e64 v7, v7, v16, s[0:1]
	v_cmp_gt_f32_e64 s[0:1], v14, v8
	v_add_u32_e32 v17, 2, v10
	v_cndmask_b32_e64 v8, v8, v14, s[0:1]
	v_add_u32_e32 v18, 3, v10
	v_cndmask_b32_e64 v7, v7, v17, s[0:1]
	v_cmp_gt_f32_e64 s[0:1], v15, v8
	v_add_u32_e32 v9, s20, v9
	v_add_u32_e32 v10, s19, v10
	v_cndmask_b32_e64 v8, v8, v15, s[0:1]
	v_cndmask_b32_e64 v7, v7, v18, s[0:1]
	s_andn2_b64 exec, exec, s[16:17]
	s_cbranch_execnz .LBB56_31
; %bb.32:                               ;   in Loop: Header=BB56_29 Depth=1
	s_or_b64 exec, exec, s[16:17]
	s_branch .LBB56_28
.LBB56_33:
	v_mov_b32_e32 v3, 0
                                        ; implicit-def: $vgpr4
                                        ; implicit-def: $vgpr2
.LBB56_34:
	v_cmp_gt_i32_e32 vcc, s9, v0
	s_and_saveexec_b64 s[0:1], vcc
	s_cbranch_execz .LBB56_37
; %bb.35:
	s_load_dword s7, s[4:5], 0x38
	s_load_dwordx2 s[0:1], s[4:5], 0x20
	s_load_dword s8, s[4:5], 0x4c
	s_waitcnt lgkmcnt(0)
	v_div_scale_f32 v1, s[2:3], v3, v3, s7
	v_rcp_f32_e32 v5, v1
	v_div_scale_f32 v6, vcc, s7, v3, s7
	s_ashr_i32 s2, s6, 31
	v_fma_f32 v7, -v1, v5, 1.0
	v_fmac_f32_e32 v5, v7, v5
	v_mul_f32_e32 v7, v6, v5
	v_fma_f32 v8, -v1, v7, v6
	v_fmac_f32_e32 v7, v8, v5
	v_fma_f32 v1, -v1, v7, v6
	s_mul_i32 s1, s6, s1
	s_mul_hi_u32 s3, s6, s0
	v_div_fmas_f32 v1, v1, v5, v7
	s_add_i32 s1, s3, s1
	s_mul_i32 s2, s2, s0
	v_div_fixup_f32 v1, v1, v3, s7
	s_add_i32 s4, s1, s2
	v_mul_f32_e32 v1, v1, v4
	s_mul_i32 s2, s6, s0
	s_and_b32 s3, s8, 0xffff
	s_mov_b64 s[0:1], 0
	v_mov_b32_e32 v3, s4
	v_mov_b32_e32 v4, s13
	;; [unrolled: 1-line block ×3, first 2 shown]
.LBB56_36:                              ; =>This Inner Loop Header: Depth=1
	v_ashrrev_i32_e32 v7, 31, v0
	v_add_co_u32_e32 v6, vcc, s2, v0
	v_addc_co_u32_e32 v7, vcc, v3, v7, vcc
	v_add_u32_e32 v0, s3, v0
	v_cmp_le_i32_e32 vcc, s9, v0
	v_lshlrev_b64 v[6:7], 2, v[6:7]
	s_or_b64 s[0:1], vcc, s[0:1]
	v_add_co_u32_e32 v8, vcc, s12, v6
	v_addc_co_u32_e32 v9, vcc, v4, v7, vcc
	v_add_co_u32_e32 v6, vcc, s14, v6
	v_addc_co_u32_e32 v7, vcc, v5, v7, vcc
	global_store_dword v[8:9], v1, off
	global_store_dword v[6:7], v2, off
	s_andn2_b64 exec, exec, s[0:1]
	s_cbranch_execnz .LBB56_36
.LBB56_37:
	s_endpgm
	.section	.rodata,"a",@progbits
	.p2align	6, 0x0
	.amdhsa_kernel _ZN5aiter19grouped_topk_kernelIN3c104HalfEDv4_fLi2ELb1ELb0ELb1EEEvPT_PKS4_PfPimiiiif
		.amdhsa_group_segment_fixed_size 0
		.amdhsa_private_segment_fixed_size 0
		.amdhsa_kernarg_size 320
		.amdhsa_user_sgpr_count 6
		.amdhsa_user_sgpr_private_segment_buffer 1
		.amdhsa_user_sgpr_dispatch_ptr 0
		.amdhsa_user_sgpr_queue_ptr 0
		.amdhsa_user_sgpr_kernarg_segment_ptr 1
		.amdhsa_user_sgpr_dispatch_id 0
		.amdhsa_user_sgpr_flat_scratch_init 0
		.amdhsa_user_sgpr_kernarg_preload_length 0
		.amdhsa_user_sgpr_kernarg_preload_offset 0
		.amdhsa_user_sgpr_private_segment_size 0
		.amdhsa_uses_dynamic_stack 0
		.amdhsa_system_sgpr_private_segment_wavefront_offset 0
		.amdhsa_system_sgpr_workgroup_id_x 1
		.amdhsa_system_sgpr_workgroup_id_y 0
		.amdhsa_system_sgpr_workgroup_id_z 0
		.amdhsa_system_sgpr_workgroup_info 0
		.amdhsa_system_vgpr_workitem_id 0
		.amdhsa_next_free_vgpr 19
		.amdhsa_next_free_sgpr 24
		.amdhsa_accum_offset 20
		.amdhsa_reserve_vcc 1
		.amdhsa_reserve_flat_scratch 0
		.amdhsa_float_round_mode_32 0
		.amdhsa_float_round_mode_16_64 0
		.amdhsa_float_denorm_mode_32 3
		.amdhsa_float_denorm_mode_16_64 3
		.amdhsa_dx10_clamp 1
		.amdhsa_ieee_mode 1
		.amdhsa_fp16_overflow 0
		.amdhsa_tg_split 0
		.amdhsa_exception_fp_ieee_invalid_op 0
		.amdhsa_exception_fp_denorm_src 0
		.amdhsa_exception_fp_ieee_div_zero 0
		.amdhsa_exception_fp_ieee_overflow 0
		.amdhsa_exception_fp_ieee_underflow 0
		.amdhsa_exception_fp_ieee_inexact 0
		.amdhsa_exception_int_div_zero 0
	.end_amdhsa_kernel
	.section	.text._ZN5aiter19grouped_topk_kernelIN3c104HalfEDv4_fLi2ELb1ELb0ELb1EEEvPT_PKS4_PfPimiiiif,"axG",@progbits,_ZN5aiter19grouped_topk_kernelIN3c104HalfEDv4_fLi2ELb1ELb0ELb1EEEvPT_PKS4_PfPimiiiif,comdat
.Lfunc_end56:
	.size	_ZN5aiter19grouped_topk_kernelIN3c104HalfEDv4_fLi2ELb1ELb0ELb1EEEvPT_PKS4_PfPimiiiif, .Lfunc_end56-_ZN5aiter19grouped_topk_kernelIN3c104HalfEDv4_fLi2ELb1ELb0ELb1EEEvPT_PKS4_PfPimiiiif
                                        ; -- End function
	.section	.AMDGPU.csdata,"",@progbits
; Kernel info:
; codeLenInByte = 2496
; NumSgprs: 28
; NumVgprs: 19
; NumAgprs: 0
; TotalNumVgprs: 19
; ScratchSize: 0
; MemoryBound: 0
; FloatMode: 240
; IeeeMode: 1
; LDSByteSize: 0 bytes/workgroup (compile time only)
; SGPRBlocks: 3
; VGPRBlocks: 2
; NumSGPRsForWavesPerEU: 28
; NumVGPRsForWavesPerEU: 19
; AccumOffset: 20
; Occupancy: 8
; WaveLimiterHint : 0
; COMPUTE_PGM_RSRC2:SCRATCH_EN: 0
; COMPUTE_PGM_RSRC2:USER_SGPR: 6
; COMPUTE_PGM_RSRC2:TRAP_HANDLER: 0
; COMPUTE_PGM_RSRC2:TGID_X_EN: 1
; COMPUTE_PGM_RSRC2:TGID_Y_EN: 0
; COMPUTE_PGM_RSRC2:TGID_Z_EN: 0
; COMPUTE_PGM_RSRC2:TIDIG_COMP_CNT: 0
; COMPUTE_PGM_RSRC3_GFX90A:ACCUM_OFFSET: 4
; COMPUTE_PGM_RSRC3_GFX90A:TG_SPLIT: 0
	.section	.text._ZN5aiter19grouped_topk_kernelIN3c108BFloat16EDv4_fLi2ELb1ELb0ELb1EEEvPT_PKS4_PfPimiiiif,"axG",@progbits,_ZN5aiter19grouped_topk_kernelIN3c108BFloat16EDv4_fLi2ELb1ELb0ELb1EEEvPT_PKS4_PfPimiiiif,comdat
	.protected	_ZN5aiter19grouped_topk_kernelIN3c108BFloat16EDv4_fLi2ELb1ELb0ELb1EEEvPT_PKS4_PfPimiiiif ; -- Begin function _ZN5aiter19grouped_topk_kernelIN3c108BFloat16EDv4_fLi2ELb1ELb0ELb1EEEvPT_PKS4_PfPimiiiif
	.globl	_ZN5aiter19grouped_topk_kernelIN3c108BFloat16EDv4_fLi2ELb1ELb0ELb1EEEvPT_PKS4_PfPimiiiif
	.p2align	8
	.type	_ZN5aiter19grouped_topk_kernelIN3c108BFloat16EDv4_fLi2ELb1ELb0ELb1EEEvPT_PKS4_PfPimiiiif,@function
_ZN5aiter19grouped_topk_kernelIN3c108BFloat16EDv4_fLi2ELb1ELb0ELb1EEEvPT_PKS4_PfPimiiiif: ; @_ZN5aiter19grouped_topk_kernelIN3c108BFloat16EDv4_fLi2ELb1ELb0ELb1EEEvPT_PKS4_PfPimiiiif
; %bb.0:
	s_load_dwordx4 s[8:11], s[4:5], 0x28
	s_load_dwordx4 s[12:15], s[4:5], 0x10
	v_mov_b32_e32 v1, 0xff800000
	s_waitcnt lgkmcnt(0)
	v_cmp_gt_i32_e32 vcc, s8, v0
	s_and_saveexec_b64 s[2:3], vcc
	s_cbranch_execz .LBB57_4
; %bb.1:
	s_load_dword s0, s[4:5], 0x4c
	s_load_dwordx2 s[16:17], s[4:5], 0x0
	s_mul_i32 s7, s6, s8
	v_lshl_add_u32 v2, v0, 2, 0
	s_mov_b64 s[18:19], 0
	s_waitcnt lgkmcnt(0)
	s_and_b32 s11, s0, 0xffff
	s_lshl_b32 s20, s11, 2
	v_mov_b32_e32 v1, 0xff800000
	v_mov_b32_e32 v3, s17
	;; [unrolled: 1-line block ×3, first 2 shown]
.LBB57_2:                               ; =>This Inner Loop Header: Depth=1
	v_add_u32_e32 v6, s7, v4
	v_ashrrev_i32_e32 v7, 31, v6
	v_lshlrev_b64 v[6:7], 1, v[6:7]
	v_add_co_u32_e64 v6, s[0:1], s16, v6
	v_addc_co_u32_e64 v7, s[0:1], v3, v7, s[0:1]
	global_load_ushort v5, v[6:7], off
	v_add_u32_e32 v4, s11, v4
	v_cmp_le_i32_e64 s[0:1], s8, v4
	s_or_b64 s[18:19], s[0:1], s[18:19]
	s_waitcnt vmcnt(0)
	v_lshrrev_b16_e32 v6, 8, v5
	v_and_b32_e32 v5, 0xff, v5
	v_lshlrev_b32_e32 v5, 16, v5
	v_lshl_or_b32 v5, v6, 24, v5
	v_cmp_lt_f32_e64 s[0:1], v1, v5
	ds_write_b32 v2, v5
	v_cndmask_b32_e64 v1, v1, v5, s[0:1]
	v_add_u32_e32 v2, s20, v2
	s_andn2_b64 exec, exec, s[18:19]
	s_cbranch_execnz .LBB57_2
; %bb.3:
	s_or_b64 exec, exec, s[18:19]
.LBB57_4:
	s_or_b64 exec, exec, s[2:3]
	v_mov_b32_dpp v2, v1 quad_perm:[1,0,3,2] row_mask:0xf bank_mask:0xf
	v_cmp_lt_f32_e64 s[0:1], v1, v2
	v_cndmask_b32_e64 v1, v1, v2, s[0:1]
	v_bfrev_b32_e32 v3, 0.5
	s_waitcnt lgkmcnt(0)
	v_mov_b32_dpp v2, v1 quad_perm:[2,3,0,1] row_mask:0xf bank_mask:0xf
	v_cmp_lt_f32_e64 s[0:1], v1, v2
	v_cndmask_b32_e64 v1, v1, v2, s[0:1]
	s_barrier
	s_nop 0
	v_mov_b32_dpp v2, v1 row_half_mirror row_mask:0xf bank_mask:0xf
	v_cmp_lt_f32_e64 s[0:1], v1, v2
	v_cndmask_b32_e64 v1, v1, v2, s[0:1]
	s_nop 1
	v_mov_b32_dpp v2, v1 row_mirror row_mask:0xf bank_mask:0xf
	v_cmp_lt_f32_e64 s[0:1], v1, v2
	v_cndmask_b32_e64 v1, v1, v2, s[0:1]
	s_nop 1
	v_mov_b32_dpp v2, v1 row_bcast:15 row_mask:0xf bank_mask:0xf
	v_cmp_lt_f32_e64 s[0:1], v1, v2
	v_cndmask_b32_e64 v1, v1, v2, s[0:1]
	s_nop 1
	v_mov_b32_dpp v2, v1 row_bcast:31 row_mask:0xf bank_mask:0xf
	v_cmp_lt_f32_e64 s[0:1], v1, v2
	v_cndmask_b32_e64 v2, v1, v2, s[0:1]
	v_mbcnt_lo_u32_b32 v1, -1, 0
	v_mbcnt_hi_u32_b32 v1, -1, v1
	v_lshl_or_b32 v1, v1, 2, v3
	ds_bpermute_b32 v3, v1, v2
	v_mov_b32_e32 v2, 0
	s_and_saveexec_b64 s[2:3], vcc
	s_cbranch_execz .LBB57_8
; %bb.5:
	s_load_dword s0, s[4:5], 0x4c
	v_lshl_add_u32 v4, v0, 2, 0
	s_mov_b64 s[16:17], 0
	v_mov_b32_e32 v2, 0
	s_mov_b32 s7, 0x3fb8aa3b
	s_waitcnt lgkmcnt(0)
	s_and_b32 s11, s0, 0xffff
	s_lshl_b32 s18, s11, 2
	s_mov_b32 s19, 0xc2ce8ed0
	s_mov_b32 s20, 0x42b17218
	v_mov_b32_e32 v5, 0x7f800000
	v_mov_b32_e32 v6, v0
.LBB57_6:                               ; =>This Inner Loop Header: Depth=1
	ds_read_b32 v7, v4
	v_add_u32_e32 v6, s11, v6
	s_waitcnt lgkmcnt(0)
	v_sub_f32_e32 v7, v7, v3
	v_mul_f32_e32 v8, 0x3fb8aa3b, v7
	v_fma_f32 v9, v7, s7, -v8
	v_rndne_f32_e32 v10, v8
	v_fmac_f32_e32 v9, 0x32a5705f, v7
	v_sub_f32_e32 v8, v8, v10
	v_add_f32_e32 v8, v8, v9
	v_cvt_i32_f32_e32 v10, v10
	v_exp_f32_e32 v8, v8
	v_cmp_ngt_f32_e64 s[0:1], s19, v7
	v_ldexp_f32 v8, v8, v10
	v_cndmask_b32_e64 v8, 0, v8, s[0:1]
	v_cmp_nlt_f32_e64 s[0:1], s20, v7
	v_cndmask_b32_e64 v7, v5, v8, s[0:1]
	v_cmp_le_i32_e64 s[0:1], s8, v6
	ds_write_b32 v4, v7
	v_add_f32_e32 v2, v2, v7
	s_or_b64 s[16:17], s[0:1], s[16:17]
	v_add_u32_e32 v4, s18, v4
	s_andn2_b64 exec, exec, s[16:17]
	s_cbranch_execnz .LBB57_6
; %bb.7:
	s_or_b64 exec, exec, s[16:17]
.LBB57_8:
	s_or_b64 exec, exec, s[2:3]
	s_waitcnt lgkmcnt(0)
	v_mov_b32_dpp v3, v2 quad_perm:[1,0,3,2] row_mask:0xf bank_mask:0xf
	v_add_f32_e32 v2, v2, v3
	s_barrier
	s_nop 0
	v_mov_b32_dpp v3, v2 quad_perm:[2,3,0,1] row_mask:0xf bank_mask:0xf
	v_add_f32_e32 v2, v2, v3
	s_nop 1
	v_mov_b32_dpp v3, v2 row_half_mirror row_mask:0xf bank_mask:0xf
	v_add_f32_e32 v2, v2, v3
	s_nop 1
	v_mov_b32_dpp v3, v2 row_mirror row_mask:0xf bank_mask:0xf
	v_add_f32_e32 v2, v2, v3
	s_nop 1
	v_mov_b32_dpp v3, v2 row_bcast:15 row_mask:0xf bank_mask:0xf
	v_add_f32_e32 v2, v2, v3
	s_nop 1
	v_mov_b32_dpp v3, v2 row_bcast:31 row_mask:0xf bank_mask:0xf
	v_add_f32_e32 v2, v2, v3
	ds_bpermute_b32 v1, v1, v2
	s_and_saveexec_b64 s[0:1], vcc
	s_cbranch_execz .LBB57_11
; %bb.9:
	s_load_dword s7, s[4:5], 0x4c
	v_lshl_add_u32 v2, v0, 2, 0
	s_mov_b64 s[2:3], 0
	v_mov_b32_e32 v3, v0
	s_waitcnt lgkmcnt(0)
	s_and_b32 s7, s7, 0xffff
	s_lshl_b32 s11, s7, 2
.LBB57_10:                              ; =>This Inner Loop Header: Depth=1
	ds_read_b32 v4, v2
	v_add_u32_e32 v3, s7, v3
	v_cmp_le_i32_e32 vcc, s8, v3
	s_or_b64 s[2:3], vcc, s[2:3]
	s_waitcnt lgkmcnt(0)
	v_div_scale_f32 v5, s[16:17], v1, v1, v4
	v_rcp_f32_e32 v6, v5
	v_div_scale_f32 v7, vcc, v4, v1, v4
	v_fma_f32 v8, -v5, v6, 1.0
	v_fmac_f32_e32 v6, v8, v6
	v_mul_f32_e32 v8, v7, v6
	v_fma_f32 v9, -v5, v8, v7
	v_fmac_f32_e32 v8, v9, v6
	v_fma_f32 v5, -v5, v8, v7
	v_div_fmas_f32 v5, v5, v6, v8
	v_div_fixup_f32 v4, v5, v1, v4
	ds_write_b32 v2, v4
	v_add_u32_e32 v2, s11, v2
	s_andn2_b64 exec, exec, s[2:3]
	s_cbranch_execnz .LBB57_10
.LBB57_11:
	s_or_b64 exec, exec, s[0:1]
	s_lshr_b32 s0, s8, 31
	s_add_i32 s0, s8, s0
	s_ashr_i32 s11, s0, 1
	s_lshl_b32 s0, s8, 2
	s_add_i32 s20, s0, 0
	v_cmp_gt_u32_e32 vcc, 2, v0
	s_waitcnt lgkmcnt(0)
	s_barrier
	s_and_saveexec_b64 s[2:3], vcc
	s_cbranch_execz .LBB57_18
; %bb.12:
	s_load_dword s0, s[4:5], 0x4c
	v_mul_lo_u32 v1, v0, s11
	v_lshl_add_u32 v1, v1, 2, 0
	s_waitcnt lgkmcnt(0)
	s_and_b32 s7, s0, 0xffff
	s_cmp_gt_i32 s8, 1
	s_cselect_b64 s[0:1], -1, 0
	s_mul_i32 s16, s11, s7
	v_cndmask_b32_e64 v2, 0, 1, s[0:1]
	s_lshl_b32 s21, s16, 2
	s_mov_b64 s[16:17], 0
	v_cmp_ne_u32_e64 s[0:1], 1, v2
	v_mov_b32_e32 v2, v0
	s_branch .LBB57_14
.LBB57_13:                              ;   in Loop: Header=BB57_14 Depth=1
	v_lshl_add_u32 v4, v2, 2, s20
	v_add_u32_e32 v2, s7, v2
	v_cmp_lt_u32_e32 vcc, 1, v2
	s_or_b64 s[16:17], vcc, s[16:17]
	v_add_u32_e32 v1, s21, v1
	ds_write_b32 v4, v3
	s_andn2_b64 exec, exec, s[16:17]
	s_cbranch_execz .LBB57_18
.LBB57_14:                              ; =>This Loop Header: Depth=1
                                        ;     Child Loop BB57_16 Depth 2
	s_and_b64 vcc, exec, s[0:1]
	v_mov_b32_e32 v3, 0xff800000
	s_cbranch_vccnz .LBB57_13
; %bb.15:                               ;   in Loop: Header=BB57_14 Depth=1
	v_mul_lo_u32 v4, v2, s11
	v_add_u32_e32 v5, s11, v4
	s_mov_b64 s[18:19], 0
	v_mov_b32_e32 v3, 0xff800000
	v_mov_b32_e32 v6, v1
.LBB57_16:                              ;   Parent Loop BB57_14 Depth=1
                                        ; =>  This Inner Loop Header: Depth=2
	ds_read_b32 v7, v6
	v_add_u32_e32 v4, 1, v4
	v_cmp_ge_i32_e32 vcc, v4, v5
	s_or_b64 s[18:19], vcc, s[18:19]
	v_add_u32_e32 v6, 4, v6
	s_waitcnt lgkmcnt(0)
	v_cmp_gt_f32_e32 vcc, v7, v3
	v_cndmask_b32_e32 v3, v3, v7, vcc
	s_andn2_b64 exec, exec, s[18:19]
	s_cbranch_execnz .LBB57_16
; %bb.17:                               ;   in Loop: Header=BB57_14 Depth=1
	s_or_b64 exec, exec, s[18:19]
	s_branch .LBB57_13
.LBB57_18:
	s_or_b64 exec, exec, s[2:3]
	s_cmp_lt_i32 s10, 1
	s_waitcnt lgkmcnt(0)
	s_barrier
	s_cbranch_scc1 .LBB57_21
; %bb.19:
	v_mov_b32_e32 v1, s20
	s_mov_b32 s0, 0xff800000
	v_mov_b32_e32 v2, 0xff800000
.LBB57_20:                              ; =>This Inner Loop Header: Depth=1
	ds_read2_b32 v[4:5], v1 offset1:1
	s_add_i32 s10, s10, -1
	s_cmp_lg_u32 s10, 0
	s_waitcnt lgkmcnt(0)
	v_cmp_nlg_f32_e32 vcc, s0, v4
	v_cndmask_b32_e64 v3, 0, 1, vcc
	v_cmp_lg_f32_e32 vcc, s0, v4
	v_cndmask_b32_e32 v4, v2, v4, vcc
	v_lshlrev_b32_e32 v3, 1, v3
	v_cmp_ngt_f32_e32 vcc, v5, v4
	v_cndmask_b32_e32 v3, 1, v3, vcc
	v_lshlrev_b32_e32 v3, 2, v3
	v_add_u32_e32 v3, s20, v3
	ds_write_b32 v3, v2
	s_cbranch_scc1 .LBB57_20
.LBB57_21:
	s_ashr_i32 s0, s8, 31
	s_lshr_b32 s0, s0, 30
	s_add_i32 s0, s8, s0
	s_ashr_i32 s7, s0, 2
	v_cmp_gt_i32_e32 vcc, s7, v0
	v_lshlrev_b32_e32 v1, 2, v0
	v_lshl_add_u32 v6, v0, 4, 0
	s_and_saveexec_b64 s[2:3], vcc
	s_cbranch_execz .LBB57_26
; %bb.22:
	s_abs_i32 s8, s11
	v_cvt_f32_u32_e32 v2, s8
	s_load_dword s0, s[4:5], 0x4c
	s_sub_i32 s1, 0, s8
	s_ashr_i32 s18, s11, 31
	v_rcp_iflag_f32_e32 v2, v2
	v_lshlrev_b32_e32 v7, 2, v0
	s_waitcnt lgkmcnt(0)
	s_and_b32 s19, s0, 0xffff
	v_lshl_add_u32 v8, v0, 4, 0
	v_mul_f32_e32 v2, 0x4f7ffffe, v2
	v_cvt_u32_f32_e32 v2, v2
	s_mov_b64 s[10:11], 0
	s_lshl_b32 s21, s19, 2
	s_lshl_b32 s22, s19, 4
	v_mul_lo_u32 v3, s1, v2
	v_mul_hi_u32 v3, v2, v3
	v_add_u32_e32 v9, v2, v3
	s_mov_b32 s23, 0xff800000
	v_mov_b32_e32 v2, 0xff800000
	v_mov_b32_e32 v10, v0
	s_branch .LBB57_24
.LBB57_23:                              ;   in Loop: Header=BB57_24 Depth=1
	s_or_b64 exec, exec, s[16:17]
	v_add_u32_e32 v10, s19, v10
	v_cmp_le_i32_e64 s[0:1], s7, v10
	v_add_u32_e32 v7, s21, v7
	s_or_b64 s[10:11], s[0:1], s[10:11]
	v_add_u32_e32 v8, s22, v8
	s_andn2_b64 exec, exec, s[10:11]
	s_cbranch_execz .LBB57_26
.LBB57_24:                              ; =>This Inner Loop Header: Depth=1
	v_mul_hi_u32 v3, v7, v9
	v_mul_lo_u32 v4, v3, s8
	v_sub_u32_e32 v4, v7, v4
	v_add_u32_e32 v5, 1, v3
	v_cmp_le_u32_e64 s[0:1], s8, v4
	v_cndmask_b32_e64 v3, v3, v5, s[0:1]
	v_subrev_u32_e32 v5, s8, v4
	v_cndmask_b32_e64 v4, v4, v5, s[0:1]
	v_add_u32_e32 v5, 1, v3
	v_cmp_le_u32_e64 s[0:1], s8, v4
	v_cndmask_b32_e64 v3, v3, v5, s[0:1]
	v_xor_b32_e32 v3, s18, v3
	v_subrev_u32_e32 v3, s18, v3
	v_lshl_add_u32 v3, v3, 2, s20
	ds_read_b32 v3, v3
	s_waitcnt lgkmcnt(0)
	v_cmp_neq_f32_e64 s[0:1], s23, v3
	s_and_saveexec_b64 s[16:17], s[0:1]
	s_cbranch_execz .LBB57_23
; %bb.25:                               ;   in Loop: Header=BB57_24 Depth=1
	v_mov_b32_e32 v3, v2
	v_mov_b32_e32 v4, v2
	v_mov_b32_e32 v5, v2
	ds_write_b128 v8, v[2:5]
	s_branch .LBB57_23
.LBB57_26:
	s_or_b64 exec, exec, s[2:3]
	s_cmp_lt_i32 s9, 1
	s_waitcnt lgkmcnt(0)
	s_barrier
	s_cbranch_scc1 .LBB57_33
; %bb.27:
	s_add_u32 s2, s4, 64
	s_addc_u32 s3, s5, 0
	s_mov_b32 s8, 0
	v_mov_b32_e32 v3, 0
	v_mov_b32_e32 v5, 0xff800000
                                        ; implicit-def: $vgpr4
                                        ; implicit-def: $vgpr2
	s_branch .LBB57_29
.LBB57_28:                              ;   in Loop: Header=BB57_29 Depth=1
	s_or_b64 exec, exec, s[10:11]
	v_mov_b32_dpp v10, v8 quad_perm:[1,0,3,2] row_mask:0xf bank_mask:0xf
	v_cmp_lt_f32_e64 s[0:1], v8, v10
	v_cndmask_b32_e64 v8, v8, v10, s[0:1]
	v_mov_b32_dpp v9, v7 quad_perm:[1,0,3,2] row_mask:0xf bank_mask:0xf
	v_cndmask_b32_e64 v7, v7, v9, s[0:1]
	v_mov_b32_dpp v10, v8 quad_perm:[2,3,0,1] row_mask:0xf bank_mask:0xf
	v_cmp_gt_f32_e64 s[0:1], v10, v8
	v_cndmask_b32_e64 v8, v8, v10, s[0:1]
	v_mov_b32_dpp v9, v7 quad_perm:[2,3,0,1] row_mask:0xf bank_mask:0xf
	v_cndmask_b32_e64 v7, v7, v9, s[0:1]
	v_mov_b32_dpp v10, v8 row_half_mirror row_mask:0xf bank_mask:0xf
	v_cmp_gt_f32_e64 s[0:1], v10, v8
	v_cndmask_b32_e64 v8, v8, v10, s[0:1]
	v_mov_b32_dpp v9, v7 row_half_mirror row_mask:0xf bank_mask:0xf
	v_cndmask_b32_e64 v7, v7, v9, s[0:1]
	v_mov_b32_dpp v10, v8 row_mirror row_mask:0xf bank_mask:0xf
	v_cmp_gt_f32_e64 s[0:1], v10, v8
	v_cndmask_b32_e64 v8, v8, v10, s[0:1]
	v_mov_b32_dpp v9, v7 row_mirror row_mask:0xf bank_mask:0xf
	v_cndmask_b32_e64 v7, v7, v9, s[0:1]
	v_mov_b32_dpp v10, v8 row_bcast:15 row_mask:0xf bank_mask:0xf
	v_cmp_gt_f32_e64 s[0:1], v10, v8
	v_mov_b32_dpp v9, v7 row_bcast:15 row_mask:0xf bank_mask:0xf
	v_cndmask_b32_e64 v8, v8, v10, s[0:1]
	v_cndmask_b32_e64 v7, v7, v9, s[0:1]
	s_nop 0
	v_mov_b32_dpp v10, v8 row_bcast:31 row_mask:0xf bank_mask:0xf
	v_mov_b32_dpp v9, v7 row_bcast:31 row_mask:0xf bank_mask:0xf
	v_cmp_gt_f32_e64 s[0:1], v10, v8
	v_cndmask_b32_e64 v7, v7, v9, s[0:1]
	v_cndmask_b32_e64 v8, v8, v10, s[0:1]
	v_readlane_b32 s0, v7, 63
	s_lshl_b32 s1, s0, 2
	s_add_i32 s1, s1, 0
	v_mov_b32_e32 v7, s1
	v_readlane_b32 s10, v8, 63
	ds_write_b32 v7, v5
	v_mov_b32_e32 v7, s0
	v_cmp_eq_u32_e64 s[0:1], s8, v0
	v_cndmask_b32_e64 v2, v2, v7, s[0:1]
	v_mov_b32_e32 v7, s10
	s_add_i32 s8, s8, 1
	v_cndmask_b32_e64 v4, v4, v7, s[0:1]
	s_cmp_eq_u32 s8, s9
	v_add_f32_e32 v3, s10, v3
	s_cbranch_scc1 .LBB57_34
.LBB57_29:                              ; =>This Loop Header: Depth=1
                                        ;     Child Loop BB57_31 Depth 2
	v_mov_b32_e32 v7, s8
	v_mov_b32_e32 v8, 0xff800000
	s_and_saveexec_b64 s[10:11], vcc
	s_cbranch_execz .LBB57_28
; %bb.30:                               ;   in Loop: Header=BB57_29 Depth=1
	s_load_dword s0, s[2:3], 0xc
	s_mov_b64 s[16:17], 0
	v_mov_b32_e32 v7, s8
	v_mov_b32_e32 v8, 0xff800000
	v_mov_b32_e32 v9, v6
	s_waitcnt lgkmcnt(0)
	s_and_b32 s18, s0, 0xffff
	s_lshl_b32 s19, s18, 2
	s_lshl_b32 s20, s18, 4
	v_mov_b32_e32 v10, v1
	v_mov_b32_e32 v11, v0
.LBB57_31:                              ;   Parent Loop BB57_29 Depth=1
                                        ; =>  This Inner Loop Header: Depth=2
	ds_read_b128 v[12:15], v9
	v_add_u32_e32 v11, s18, v11
	v_cmp_le_i32_e64 s[0:1], s7, v11
	s_or_b64 s[16:17], s[0:1], s[16:17]
	v_add_u32_e32 v16, 1, v10
	s_waitcnt lgkmcnt(0)
	v_cmp_gt_f32_e64 s[0:1], v12, v8
	v_cndmask_b32_e64 v8, v8, v12, s[0:1]
	v_cndmask_b32_e64 v7, v7, v10, s[0:1]
	v_cmp_gt_f32_e64 s[0:1], v13, v8
	v_cndmask_b32_e64 v8, v8, v13, s[0:1]
	v_cndmask_b32_e64 v7, v7, v16, s[0:1]
	v_cmp_gt_f32_e64 s[0:1], v14, v8
	v_add_u32_e32 v17, 2, v10
	v_cndmask_b32_e64 v8, v8, v14, s[0:1]
	v_add_u32_e32 v18, 3, v10
	v_cndmask_b32_e64 v7, v7, v17, s[0:1]
	v_cmp_gt_f32_e64 s[0:1], v15, v8
	v_add_u32_e32 v9, s20, v9
	v_add_u32_e32 v10, s19, v10
	v_cndmask_b32_e64 v8, v8, v15, s[0:1]
	v_cndmask_b32_e64 v7, v7, v18, s[0:1]
	s_andn2_b64 exec, exec, s[16:17]
	s_cbranch_execnz .LBB57_31
; %bb.32:                               ;   in Loop: Header=BB57_29 Depth=1
	s_or_b64 exec, exec, s[16:17]
	s_branch .LBB57_28
.LBB57_33:
	v_mov_b32_e32 v3, 0
                                        ; implicit-def: $vgpr4
                                        ; implicit-def: $vgpr2
.LBB57_34:
	v_cmp_gt_i32_e32 vcc, s9, v0
	s_and_saveexec_b64 s[0:1], vcc
	s_cbranch_execz .LBB57_37
; %bb.35:
	s_load_dword s7, s[4:5], 0x38
	s_load_dwordx2 s[0:1], s[4:5], 0x20
	s_load_dword s8, s[4:5], 0x4c
	s_waitcnt lgkmcnt(0)
	v_div_scale_f32 v1, s[2:3], v3, v3, s7
	v_rcp_f32_e32 v5, v1
	v_div_scale_f32 v6, vcc, s7, v3, s7
	s_ashr_i32 s2, s6, 31
	v_fma_f32 v7, -v1, v5, 1.0
	v_fmac_f32_e32 v5, v7, v5
	v_mul_f32_e32 v7, v6, v5
	v_fma_f32 v8, -v1, v7, v6
	v_fmac_f32_e32 v7, v8, v5
	v_fma_f32 v1, -v1, v7, v6
	s_mul_i32 s1, s6, s1
	s_mul_hi_u32 s3, s6, s0
	v_div_fmas_f32 v1, v1, v5, v7
	s_add_i32 s1, s3, s1
	s_mul_i32 s2, s2, s0
	v_div_fixup_f32 v1, v1, v3, s7
	s_add_i32 s4, s1, s2
	v_mul_f32_e32 v1, v1, v4
	s_mul_i32 s2, s6, s0
	s_and_b32 s3, s8, 0xffff
	s_mov_b64 s[0:1], 0
	v_mov_b32_e32 v3, s4
	v_mov_b32_e32 v4, s13
	;; [unrolled: 1-line block ×3, first 2 shown]
.LBB57_36:                              ; =>This Inner Loop Header: Depth=1
	v_ashrrev_i32_e32 v7, 31, v0
	v_add_co_u32_e32 v6, vcc, s2, v0
	v_addc_co_u32_e32 v7, vcc, v3, v7, vcc
	v_add_u32_e32 v0, s3, v0
	v_cmp_le_i32_e32 vcc, s9, v0
	v_lshlrev_b64 v[6:7], 2, v[6:7]
	s_or_b64 s[0:1], vcc, s[0:1]
	v_add_co_u32_e32 v8, vcc, s12, v6
	v_addc_co_u32_e32 v9, vcc, v4, v7, vcc
	v_add_co_u32_e32 v6, vcc, s14, v6
	v_addc_co_u32_e32 v7, vcc, v5, v7, vcc
	global_store_dword v[8:9], v1, off
	global_store_dword v[6:7], v2, off
	s_andn2_b64 exec, exec, s[0:1]
	s_cbranch_execnz .LBB57_36
.LBB57_37:
	s_endpgm
	.section	.rodata,"a",@progbits
	.p2align	6, 0x0
	.amdhsa_kernel _ZN5aiter19grouped_topk_kernelIN3c108BFloat16EDv4_fLi2ELb1ELb0ELb1EEEvPT_PKS4_PfPimiiiif
		.amdhsa_group_segment_fixed_size 0
		.amdhsa_private_segment_fixed_size 0
		.amdhsa_kernarg_size 320
		.amdhsa_user_sgpr_count 6
		.amdhsa_user_sgpr_private_segment_buffer 1
		.amdhsa_user_sgpr_dispatch_ptr 0
		.amdhsa_user_sgpr_queue_ptr 0
		.amdhsa_user_sgpr_kernarg_segment_ptr 1
		.amdhsa_user_sgpr_dispatch_id 0
		.amdhsa_user_sgpr_flat_scratch_init 0
		.amdhsa_user_sgpr_kernarg_preload_length 0
		.amdhsa_user_sgpr_kernarg_preload_offset 0
		.amdhsa_user_sgpr_private_segment_size 0
		.amdhsa_uses_dynamic_stack 0
		.amdhsa_system_sgpr_private_segment_wavefront_offset 0
		.amdhsa_system_sgpr_workgroup_id_x 1
		.amdhsa_system_sgpr_workgroup_id_y 0
		.amdhsa_system_sgpr_workgroup_id_z 0
		.amdhsa_system_sgpr_workgroup_info 0
		.amdhsa_system_vgpr_workitem_id 0
		.amdhsa_next_free_vgpr 19
		.amdhsa_next_free_sgpr 24
		.amdhsa_accum_offset 20
		.amdhsa_reserve_vcc 1
		.amdhsa_reserve_flat_scratch 0
		.amdhsa_float_round_mode_32 0
		.amdhsa_float_round_mode_16_64 0
		.amdhsa_float_denorm_mode_32 3
		.amdhsa_float_denorm_mode_16_64 3
		.amdhsa_dx10_clamp 1
		.amdhsa_ieee_mode 1
		.amdhsa_fp16_overflow 0
		.amdhsa_tg_split 0
		.amdhsa_exception_fp_ieee_invalid_op 0
		.amdhsa_exception_fp_denorm_src 0
		.amdhsa_exception_fp_ieee_div_zero 0
		.amdhsa_exception_fp_ieee_overflow 0
		.amdhsa_exception_fp_ieee_underflow 0
		.amdhsa_exception_fp_ieee_inexact 0
		.amdhsa_exception_int_div_zero 0
	.end_amdhsa_kernel
	.section	.text._ZN5aiter19grouped_topk_kernelIN3c108BFloat16EDv4_fLi2ELb1ELb0ELb1EEEvPT_PKS4_PfPimiiiif,"axG",@progbits,_ZN5aiter19grouped_topk_kernelIN3c108BFloat16EDv4_fLi2ELb1ELb0ELb1EEEvPT_PKS4_PfPimiiiif,comdat
.Lfunc_end57:
	.size	_ZN5aiter19grouped_topk_kernelIN3c108BFloat16EDv4_fLi2ELb1ELb0ELb1EEEvPT_PKS4_PfPimiiiif, .Lfunc_end57-_ZN5aiter19grouped_topk_kernelIN3c108BFloat16EDv4_fLi2ELb1ELb0ELb1EEEvPT_PKS4_PfPimiiiif
                                        ; -- End function
	.section	.AMDGPU.csdata,"",@progbits
; Kernel info:
; codeLenInByte = 2516
; NumSgprs: 28
; NumVgprs: 19
; NumAgprs: 0
; TotalNumVgprs: 19
; ScratchSize: 0
; MemoryBound: 0
; FloatMode: 240
; IeeeMode: 1
; LDSByteSize: 0 bytes/workgroup (compile time only)
; SGPRBlocks: 3
; VGPRBlocks: 2
; NumSGPRsForWavesPerEU: 28
; NumVGPRsForWavesPerEU: 19
; AccumOffset: 20
; Occupancy: 8
; WaveLimiterHint : 0
; COMPUTE_PGM_RSRC2:SCRATCH_EN: 0
; COMPUTE_PGM_RSRC2:USER_SGPR: 6
; COMPUTE_PGM_RSRC2:TRAP_HANDLER: 0
; COMPUTE_PGM_RSRC2:TGID_X_EN: 1
; COMPUTE_PGM_RSRC2:TGID_Y_EN: 0
; COMPUTE_PGM_RSRC2:TGID_Z_EN: 0
; COMPUTE_PGM_RSRC2:TIDIG_COMP_CNT: 0
; COMPUTE_PGM_RSRC3_GFX90A:ACCUM_OFFSET: 4
; COMPUTE_PGM_RSRC3_GFX90A:TG_SPLIT: 0
	.section	.text._ZN5aiter19grouped_topk_kernelIfDv4_fLi2ELb1ELb0ELb0EEEvPT_PKS2_PfPimiiiif,"axG",@progbits,_ZN5aiter19grouped_topk_kernelIfDv4_fLi2ELb1ELb0ELb0EEEvPT_PKS2_PfPimiiiif,comdat
	.protected	_ZN5aiter19grouped_topk_kernelIfDv4_fLi2ELb1ELb0ELb0EEEvPT_PKS2_PfPimiiiif ; -- Begin function _ZN5aiter19grouped_topk_kernelIfDv4_fLi2ELb1ELb0ELb0EEEvPT_PKS2_PfPimiiiif
	.globl	_ZN5aiter19grouped_topk_kernelIfDv4_fLi2ELb1ELb0ELb0EEEvPT_PKS2_PfPimiiiif
	.p2align	8
	.type	_ZN5aiter19grouped_topk_kernelIfDv4_fLi2ELb1ELb0ELb0EEEvPT_PKS2_PfPimiiiif,@function
_ZN5aiter19grouped_topk_kernelIfDv4_fLi2ELb1ELb0ELb0EEEvPT_PKS2_PfPimiiiif: ; @_ZN5aiter19grouped_topk_kernelIfDv4_fLi2ELb1ELb0ELb0EEEvPT_PKS2_PfPimiiiif
; %bb.0:
	s_load_dwordx4 s[12:15], s[4:5], 0x28
	s_load_dwordx4 s[16:19], s[4:5], 0x10
	s_waitcnt lgkmcnt(0)
	s_ashr_i32 s0, s12, 31
	s_lshr_b32 s0, s0, 30
	s_add_i32 s0, s12, s0
	s_ashr_i32 s7, s0, 2
	v_cmp_gt_i32_e64 s[0:1], s7, v0
	s_and_saveexec_b64 s[20:21], s[0:1]
	s_cbranch_execz .LBB58_3
; %bb.1:
	s_load_dword s10, s[4:5], 0x4c
	s_load_dwordx2 s[2:3], s[4:5], 0x0
	s_mul_i32 s8, s6, s12
	s_ashr_i32 s9, s8, 31
	s_lshl_b64 s[8:9], s[8:9], 2
	s_waitcnt lgkmcnt(0)
	s_and_b32 s15, s10, 0xffff
	s_add_u32 s2, s2, s8
	v_lshlrev_b32_e32 v1, 4, v0
	s_addc_u32 s3, s3, s9
	s_mov_b32 s11, 0
	v_mov_b32_e32 v2, s3
	v_add_co_u32_e32 v6, vcc, s2, v1
	v_addc_co_u32_e32 v7, vcc, 0, v2, vcc
	s_lshl_b32 s24, s15, 4
	v_add_u32_e32 v1, 0, v1
	s_mov_b64 s[22:23], 0
	s_mov_b32 s25, 0xbfb8aa3b
	s_mov_b32 s26, 0x42ce8ed0
	;; [unrolled: 1-line block ×3, first 2 shown]
	v_mov_b32_e32 v8, 0x7f800000
	v_mov_b32_e32 v9, s11
	;; [unrolled: 1-line block ×3, first 2 shown]
.LBB58_2:                               ; =>This Inner Loop Header: Depth=1
	global_load_dwordx4 v[2:5], v[6:7], off
	v_add_co_u32_e32 v6, vcc, s24, v6
	v_add_u32_e32 v10, s15, v10
	v_addc_co_u32_e32 v7, vcc, v7, v9, vcc
	v_cmp_le_i32_e32 vcc, s7, v10
	s_or_b64 s[22:23], vcc, s[22:23]
	s_waitcnt vmcnt(0)
	v_mul_f32_e32 v11, 0xbfb8aa3b, v3
	v_mul_f32_e32 v12, 0xbfb8aa3b, v2
	v_rndne_f32_e32 v15, v11
	v_fma_f32 v16, v3, s25, -v11
	v_rndne_f32_e32 v17, v12
	v_fma_f32 v18, v2, s25, -v12
	v_mul_f32_e32 v13, 0xbfb8aa3b, v5
	v_mul_f32_e32 v14, 0xbfb8aa3b, v4
	v_sub_f32_e32 v11, v11, v15
	v_fmac_f32_e32 v16, 0xb2a5705f, v3
	v_sub_f32_e32 v12, v12, v17
	v_fmac_f32_e32 v18, 0xb2a5705f, v2
	v_rndne_f32_e32 v19, v13
	v_fma_f32 v20, v5, s25, -v13
	v_rndne_f32_e32 v21, v14
	v_fma_f32 v22, v4, s25, -v14
	v_add_f32_e32 v11, v11, v16
	v_add_f32_e32 v12, v12, v18
	v_cvt_i32_f32_e32 v15, v15
	v_cvt_i32_f32_e32 v17, v17
	v_sub_f32_e32 v13, v13, v19
	v_fmac_f32_e32 v20, 0xb2a5705f, v5
	v_sub_f32_e32 v14, v14, v21
	v_fmac_f32_e32 v22, 0xb2a5705f, v4
	v_exp_f32_e32 v11, v11
	v_exp_f32_e32 v12, v12
	v_add_f32_e32 v13, v13, v20
	v_add_f32_e32 v14, v14, v22
	v_cvt_i32_f32_e32 v19, v19
	v_cvt_i32_f32_e32 v21, v21
	v_exp_f32_e32 v13, v13
	v_exp_f32_e32 v14, v14
	v_ldexp_f32 v11, v11, v15
	v_ldexp_f32 v12, v12, v17
	v_cmp_nlt_f32_e32 vcc, s26, v2
	v_cmp_nlt_f32_e64 s[10:11], s26, v3
	v_cndmask_b32_e64 v11, 0, v11, s[10:11]
	v_cndmask_b32_e32 v12, 0, v12, vcc
	v_cmp_ngt_f32_e32 vcc, s27, v2
	v_cmp_ngt_f32_e64 s[10:11], s27, v3
	v_ldexp_f32 v13, v13, v19
	v_cmp_nlt_f32_e64 s[2:3], s26, v5
	v_ldexp_f32 v14, v14, v21
	v_cmp_nlt_f32_e64 s[8:9], s26, v4
	v_cndmask_b32_e64 v3, v8, v11, s[10:11]
	v_cndmask_b32_e32 v2, v8, v12, vcc
	v_cndmask_b32_e64 v13, 0, v13, s[2:3]
	v_cmp_ngt_f32_e64 s[2:3], s27, v5
	v_cndmask_b32_e64 v14, 0, v14, s[8:9]
	v_cmp_ngt_f32_e64 s[8:9], s27, v4
	v_pk_add_f32 v[2:3], v[2:3], 1.0 op_sel_hi:[1,0]
	v_cndmask_b32_e64 v5, v8, v13, s[2:3]
	v_cndmask_b32_e64 v4, v8, v14, s[8:9]
	v_div_scale_f32 v11, s[2:3], v3, v3, 1.0
	v_pk_add_f32 v[4:5], v[4:5], 1.0 op_sel_hi:[1,0]
	v_div_scale_f32 v13, s[2:3], v2, v2, 1.0
	v_rcp_f32_e32 v19, v11
	v_div_scale_f32 v15, s[8:9], v5, v5, 1.0
	v_rcp_f32_e32 v20, v13
	;; [unrolled: 2-line block ×3, first 2 shown]
	v_rcp_f32_e32 v22, v17
	v_fma_f32 v23, -v11, v19, 1.0
	v_div_scale_f32 v12, vcc, 1.0, v3, 1.0
	v_fma_f32 v24, -v13, v20, 1.0
	v_fmac_f32_e32 v19, v23, v19
	v_div_scale_f32 v14, s[2:3], 1.0, v2, 1.0
	v_fma_f32 v25, -v15, v21, 1.0
	v_fmac_f32_e32 v20, v24, v20
	v_mul_f32_e32 v23, v12, v19
	v_div_scale_f32 v16, s[8:9], 1.0, v5, 1.0
	v_fma_f32 v26, -v17, v22, 1.0
	v_fmac_f32_e32 v21, v25, v21
	v_mul_f32_e32 v24, v14, v20
	v_fma_f32 v27, -v11, v23, v12
	v_div_scale_f32 v18, s[10:11], 1.0, v4, 1.0
	v_fmac_f32_e32 v22, v26, v22
	v_mul_f32_e32 v25, v16, v21
	v_fma_f32 v28, -v13, v24, v14
	v_fmac_f32_e32 v23, v27, v19
	v_mul_f32_e32 v26, v18, v22
	v_fma_f32 v29, -v15, v25, v16
	v_fmac_f32_e32 v24, v28, v20
	v_fma_f32 v11, -v11, v23, v12
	v_fma_f32 v30, -v17, v26, v18
	v_fmac_f32_e32 v25, v29, v21
	v_fma_f32 v12, -v13, v24, v14
	v_div_fmas_f32 v11, v11, v19, v23
	s_mov_b64 vcc, s[2:3]
	v_fmac_f32_e32 v26, v30, v22
	v_fma_f32 v13, -v15, v25, v16
	v_div_fixup_f32 v3, v11, v3, 1.0
	v_div_fmas_f32 v11, v12, v20, v24
	s_mov_b64 vcc, s[8:9]
	v_fma_f32 v14, -v17, v26, v18
	v_div_fixup_f32 v2, v11, v2, 1.0
	v_div_fmas_f32 v11, v13, v21, v25
	s_mov_b64 vcc, s[10:11]
	v_div_fixup_f32 v5, v11, v5, 1.0
	v_div_fmas_f32 v11, v14, v22, v26
	v_div_fixup_f32 v4, v11, v4, 1.0
	ds_write_b128 v1, v[2:5]
	v_add_u32_e32 v1, s24, v1
	s_andn2_b64 exec, exec, s[22:23]
	s_cbranch_execnz .LBB58_2
.LBB58_3:
	s_or_b64 exec, exec, s[20:21]
	s_lshr_b32 s2, s12, 31
	s_add_i32 s2, s12, s2
	s_ashr_i32 s22, s2, 1
	s_lshl_b32 s2, s12, 2
	s_add_i32 s15, s2, 0
	v_cmp_gt_u32_e32 vcc, 2, v0
	s_waitcnt lgkmcnt(0)
	s_barrier
	s_and_saveexec_b64 s[8:9], vcc
	s_cbranch_execz .LBB58_10
; %bb.4:
	s_load_dword s2, s[4:5], 0x4c
	v_mul_lo_u32 v1, v0, s22
	v_lshl_add_u32 v1, v1, 2, 0
	s_waitcnt lgkmcnt(0)
	s_and_b32 s23, s2, 0xffff
	s_cmp_gt_i32 s12, 1
	s_cselect_b64 s[2:3], -1, 0
	s_mul_i32 s10, s22, s23
	v_cndmask_b32_e64 v2, 0, 1, s[2:3]
	s_lshl_b32 s12, s10, 2
	s_mov_b64 s[10:11], 0
	v_cmp_ne_u32_e64 s[2:3], 1, v2
	v_mov_b32_e32 v2, v0
	s_branch .LBB58_6
.LBB58_5:                               ;   in Loop: Header=BB58_6 Depth=1
	v_lshl_add_u32 v4, v2, 2, s15
	v_add_u32_e32 v2, s23, v2
	v_cmp_lt_u32_e32 vcc, 1, v2
	s_or_b64 s[10:11], vcc, s[10:11]
	v_add_u32_e32 v1, s12, v1
	ds_write_b32 v4, v3
	s_andn2_b64 exec, exec, s[10:11]
	s_cbranch_execz .LBB58_10
.LBB58_6:                               ; =>This Loop Header: Depth=1
                                        ;     Child Loop BB58_8 Depth 2
	s_and_b64 vcc, exec, s[2:3]
	v_mov_b32_e32 v3, 0xff800000
	s_cbranch_vccnz .LBB58_5
; %bb.7:                                ;   in Loop: Header=BB58_6 Depth=1
	v_mul_lo_u32 v4, v2, s22
	v_add_u32_e32 v5, s22, v4
	s_mov_b64 s[20:21], 0
	v_mov_b32_e32 v3, 0xff800000
	v_mov_b32_e32 v6, v1
.LBB58_8:                               ;   Parent Loop BB58_6 Depth=1
                                        ; =>  This Inner Loop Header: Depth=2
	ds_read_b32 v7, v6
	v_add_u32_e32 v4, 1, v4
	v_cmp_ge_i32_e32 vcc, v4, v5
	s_or_b64 s[20:21], vcc, s[20:21]
	v_add_u32_e32 v6, 4, v6
	s_waitcnt lgkmcnt(0)
	v_cmp_gt_f32_e32 vcc, v7, v3
	v_cndmask_b32_e32 v3, v3, v7, vcc
	s_andn2_b64 exec, exec, s[20:21]
	s_cbranch_execnz .LBB58_8
; %bb.9:                                ;   in Loop: Header=BB58_6 Depth=1
	s_or_b64 exec, exec, s[20:21]
	s_branch .LBB58_5
.LBB58_10:
	s_or_b64 exec, exec, s[8:9]
	s_cmp_lt_i32 s14, 1
	s_waitcnt lgkmcnt(0)
	s_barrier
	s_cbranch_scc1 .LBB58_13
; %bb.11:
	v_mov_b32_e32 v1, s15
	s_mov_b32 s2, 0xff800000
	v_mov_b32_e32 v2, 0xff800000
.LBB58_12:                              ; =>This Inner Loop Header: Depth=1
	ds_read2_b32 v[4:5], v1 offset1:1
	s_add_i32 s14, s14, -1
	s_cmp_lg_u32 s14, 0
	s_waitcnt lgkmcnt(0)
	v_cmp_nlg_f32_e32 vcc, s2, v4
	v_cndmask_b32_e64 v3, 0, 1, vcc
	v_cmp_lg_f32_e32 vcc, s2, v4
	v_cndmask_b32_e32 v4, v2, v4, vcc
	v_lshlrev_b32_e32 v3, 1, v3
	v_cmp_ngt_f32_e32 vcc, v5, v4
	v_cndmask_b32_e32 v3, 1, v3, vcc
	v_lshlrev_b32_e32 v3, 2, v3
	v_add_u32_e32 v3, s15, v3
	ds_write_b32 v3, v2
	s_cbranch_scc1 .LBB58_12
.LBB58_13:
	v_lshlrev_b32_e32 v1, 2, v0
	v_lshl_add_u32 v6, v0, 4, 0
	s_and_saveexec_b64 s[2:3], s[0:1]
	s_cbranch_execz .LBB58_18
; %bb.14:
	s_abs_i32 s12, s22
	v_cvt_f32_u32_e32 v2, s12
	s_load_dword s10, s[4:5], 0x4c
	s_sub_i32 s11, 0, s12
	s_ashr_i32 s14, s22, 31
	v_rcp_iflag_f32_e32 v2, v2
	v_lshlrev_b32_e32 v7, 2, v0
	s_waitcnt lgkmcnt(0)
	s_and_b32 s20, s10, 0xffff
	v_lshl_add_u32 v8, v0, 4, 0
	v_mul_f32_e32 v2, 0x4f7ffffe, v2
	v_cvt_u32_f32_e32 v2, v2
	s_mov_b64 s[8:9], 0
	s_lshl_b32 s21, s20, 2
	s_lshl_b32 s22, s20, 4
	v_mul_lo_u32 v3, s11, v2
	v_mul_hi_u32 v3, v2, v3
	v_add_u32_e32 v9, v2, v3
	s_mov_b32 s23, 0xff800000
	v_mov_b32_e32 v2, 0xff800000
	v_mov_b32_e32 v10, v0
	s_branch .LBB58_16
.LBB58_15:                              ;   in Loop: Header=BB58_16 Depth=1
	s_or_b64 exec, exec, s[10:11]
	v_add_u32_e32 v10, s20, v10
	v_cmp_le_i32_e32 vcc, s7, v10
	v_add_u32_e32 v7, s21, v7
	s_or_b64 s[8:9], vcc, s[8:9]
	v_add_u32_e32 v8, s22, v8
	s_andn2_b64 exec, exec, s[8:9]
	s_cbranch_execz .LBB58_18
.LBB58_16:                              ; =>This Inner Loop Header: Depth=1
	v_mul_hi_u32 v3, v7, v9
	v_mul_lo_u32 v4, v3, s12
	v_sub_u32_e32 v4, v7, v4
	v_add_u32_e32 v5, 1, v3
	v_cmp_le_u32_e32 vcc, s12, v4
	v_cndmask_b32_e32 v3, v3, v5, vcc
	v_subrev_u32_e32 v5, s12, v4
	v_cndmask_b32_e32 v4, v4, v5, vcc
	v_add_u32_e32 v5, 1, v3
	v_cmp_le_u32_e32 vcc, s12, v4
	v_cndmask_b32_e32 v3, v3, v5, vcc
	v_xor_b32_e32 v3, s14, v3
	v_subrev_u32_e32 v3, s14, v3
	v_lshl_add_u32 v3, v3, 2, s15
	ds_read_b32 v3, v3
	s_waitcnt lgkmcnt(0)
	v_cmp_neq_f32_e32 vcc, s23, v3
	s_and_saveexec_b64 s[10:11], vcc
	s_cbranch_execz .LBB58_15
; %bb.17:                               ;   in Loop: Header=BB58_16 Depth=1
	v_mov_b32_e32 v3, v2
	v_mov_b32_e32 v4, v2
	;; [unrolled: 1-line block ×3, first 2 shown]
	ds_write_b128 v8, v[2:5]
	s_branch .LBB58_15
.LBB58_18:
	s_or_b64 exec, exec, s[2:3]
	s_cmp_lt_i32 s13, 1
	s_waitcnt lgkmcnt(0)
	s_barrier
	s_cbranch_scc1 .LBB58_25
; %bb.19:
	s_add_u32 s2, s4, 64
	s_addc_u32 s3, s5, 0
	s_mov_b32 s12, 0
	v_mov_b32_e32 v3, 0
	v_mov_b32_e32 v5, 0xff800000
                                        ; implicit-def: $vgpr4
                                        ; implicit-def: $vgpr2
	s_branch .LBB58_21
.LBB58_20:                              ;   in Loop: Header=BB58_21 Depth=1
	s_or_b64 exec, exec, s[8:9]
	v_mov_b32_dpp v10, v8 quad_perm:[1,0,3,2] row_mask:0xf bank_mask:0xf
	v_cmp_lt_f32_e32 vcc, v8, v10
	v_cndmask_b32_e32 v8, v8, v10, vcc
	v_mov_b32_dpp v9, v7 quad_perm:[1,0,3,2] row_mask:0xf bank_mask:0xf
	v_cndmask_b32_e32 v7, v7, v9, vcc
	v_mov_b32_dpp v10, v8 quad_perm:[2,3,0,1] row_mask:0xf bank_mask:0xf
	v_cmp_gt_f32_e32 vcc, v10, v8
	v_cndmask_b32_e32 v8, v8, v10, vcc
	v_mov_b32_dpp v9, v7 quad_perm:[2,3,0,1] row_mask:0xf bank_mask:0xf
	v_cndmask_b32_e32 v7, v7, v9, vcc
	v_mov_b32_dpp v10, v8 row_half_mirror row_mask:0xf bank_mask:0xf
	v_cmp_gt_f32_e32 vcc, v10, v8
	v_cndmask_b32_e32 v8, v8, v10, vcc
	v_mov_b32_dpp v9, v7 row_half_mirror row_mask:0xf bank_mask:0xf
	v_cndmask_b32_e32 v7, v7, v9, vcc
	v_mov_b32_dpp v10, v8 row_mirror row_mask:0xf bank_mask:0xf
	v_cmp_gt_f32_e32 vcc, v10, v8
	v_cndmask_b32_e32 v8, v8, v10, vcc
	v_mov_b32_dpp v9, v7 row_mirror row_mask:0xf bank_mask:0xf
	v_cndmask_b32_e32 v7, v7, v9, vcc
	v_mov_b32_dpp v10, v8 row_bcast:15 row_mask:0xf bank_mask:0xf
	v_cmp_gt_f32_e32 vcc, v10, v8
	v_mov_b32_dpp v9, v7 row_bcast:15 row_mask:0xf bank_mask:0xf
	v_cndmask_b32_e32 v8, v8, v10, vcc
	v_cndmask_b32_e32 v7, v7, v9, vcc
	s_nop 0
	v_mov_b32_dpp v10, v8 row_bcast:31 row_mask:0xf bank_mask:0xf
	v_mov_b32_dpp v9, v7 row_bcast:31 row_mask:0xf bank_mask:0xf
	v_cmp_gt_f32_e32 vcc, v10, v8
	v_cndmask_b32_e32 v7, v7, v9, vcc
	v_readlane_b32 s9, v7, 63
	s_lshl_b32 s10, s9, 2
	s_add_i32 s10, s10, 0
	v_cndmask_b32_e32 v8, v8, v10, vcc
	v_mov_b32_e32 v7, s10
	v_readlane_b32 s8, v8, 63
	ds_write_b32 v7, v5
	v_mov_b32_e32 v7, s9
	v_cmp_eq_u32_e32 vcc, s12, v0
	v_cndmask_b32_e32 v2, v2, v7, vcc
	v_mov_b32_e32 v7, s8
	s_add_i32 s12, s12, 1
	v_cndmask_b32_e32 v4, v4, v7, vcc
	s_cmp_eq_u32 s12, s13
	v_add_f32_e32 v3, s8, v3
	s_cbranch_scc1 .LBB58_26
.LBB58_21:                              ; =>This Loop Header: Depth=1
                                        ;     Child Loop BB58_23 Depth 2
	v_mov_b32_e32 v7, s12
	v_mov_b32_e32 v8, 0xff800000
	s_and_saveexec_b64 s[8:9], s[0:1]
	s_cbranch_execz .LBB58_20
; %bb.22:                               ;   in Loop: Header=BB58_21 Depth=1
	s_load_dword s14, s[2:3], 0xc
	s_mov_b64 s[10:11], 0
	v_mov_b32_e32 v7, s12
	v_mov_b32_e32 v8, 0xff800000
	;; [unrolled: 1-line block ×3, first 2 shown]
	s_waitcnt lgkmcnt(0)
	s_and_b32 s14, s14, 0xffff
	s_lshl_b32 s15, s14, 2
	s_lshl_b32 s20, s14, 4
	v_mov_b32_e32 v10, v1
	v_mov_b32_e32 v11, v0
.LBB58_23:                              ;   Parent Loop BB58_21 Depth=1
                                        ; =>  This Inner Loop Header: Depth=2
	ds_read_b128 v[12:15], v9
	v_add_u32_e32 v11, s14, v11
	v_cmp_le_i32_e32 vcc, s7, v11
	s_or_b64 s[10:11], vcc, s[10:11]
	v_add_u32_e32 v16, 1, v10
	s_waitcnt lgkmcnt(0)
	v_cmp_gt_f32_e32 vcc, v12, v8
	v_cndmask_b32_e32 v8, v8, v12, vcc
	v_cndmask_b32_e32 v7, v7, v10, vcc
	v_cmp_gt_f32_e32 vcc, v13, v8
	v_cndmask_b32_e32 v8, v8, v13, vcc
	v_cndmask_b32_e32 v7, v7, v16, vcc
	v_cmp_gt_f32_e32 vcc, v14, v8
	v_add_u32_e32 v17, 2, v10
	v_cndmask_b32_e32 v8, v8, v14, vcc
	v_add_u32_e32 v18, 3, v10
	v_cndmask_b32_e32 v7, v7, v17, vcc
	v_cmp_gt_f32_e32 vcc, v15, v8
	v_add_u32_e32 v9, s20, v9
	v_add_u32_e32 v10, s15, v10
	v_cndmask_b32_e32 v8, v8, v15, vcc
	v_cndmask_b32_e32 v7, v7, v18, vcc
	s_andn2_b64 exec, exec, s[10:11]
	s_cbranch_execnz .LBB58_23
; %bb.24:                               ;   in Loop: Header=BB58_21 Depth=1
	s_or_b64 exec, exec, s[10:11]
	s_branch .LBB58_20
.LBB58_25:
	v_mov_b32_e32 v3, 0
                                        ; implicit-def: $vgpr4
                                        ; implicit-def: $vgpr2
.LBB58_26:
	v_cmp_gt_i32_e32 vcc, s13, v0
	s_and_saveexec_b64 s[0:1], vcc
	s_cbranch_execz .LBB58_29
; %bb.27:
	s_load_dword s7, s[4:5], 0x38
	s_load_dwordx2 s[0:1], s[4:5], 0x20
	s_load_dword s8, s[4:5], 0x4c
	s_waitcnt lgkmcnt(0)
	v_div_scale_f32 v1, s[2:3], v3, v3, s7
	v_rcp_f32_e32 v5, v1
	v_div_scale_f32 v6, vcc, s7, v3, s7
	s_ashr_i32 s2, s6, 31
	v_fma_f32 v7, -v1, v5, 1.0
	v_fmac_f32_e32 v5, v7, v5
	v_mul_f32_e32 v7, v6, v5
	v_fma_f32 v8, -v1, v7, v6
	v_fmac_f32_e32 v7, v8, v5
	v_fma_f32 v1, -v1, v7, v6
	s_mul_i32 s1, s6, s1
	s_mul_hi_u32 s3, s6, s0
	v_div_fmas_f32 v1, v1, v5, v7
	s_add_i32 s1, s3, s1
	s_mul_i32 s2, s2, s0
	v_div_fixup_f32 v1, v1, v3, s7
	s_add_i32 s4, s1, s2
	v_mul_f32_e32 v1, v1, v4
	s_mul_i32 s2, s6, s0
	s_and_b32 s3, s8, 0xffff
	s_mov_b64 s[0:1], 0
	v_mov_b32_e32 v3, s4
	v_mov_b32_e32 v4, s17
	;; [unrolled: 1-line block ×3, first 2 shown]
.LBB58_28:                              ; =>This Inner Loop Header: Depth=1
	v_ashrrev_i32_e32 v7, 31, v0
	v_add_co_u32_e32 v6, vcc, s2, v0
	v_addc_co_u32_e32 v7, vcc, v3, v7, vcc
	v_add_u32_e32 v0, s3, v0
	v_cmp_le_i32_e32 vcc, s13, v0
	v_lshlrev_b64 v[6:7], 2, v[6:7]
	s_or_b64 s[0:1], vcc, s[0:1]
	v_add_co_u32_e32 v8, vcc, s16, v6
	v_addc_co_u32_e32 v9, vcc, v4, v7, vcc
	v_add_co_u32_e32 v6, vcc, s18, v6
	v_addc_co_u32_e32 v7, vcc, v5, v7, vcc
	global_store_dword v[8:9], v1, off
	global_store_dword v[6:7], v2, off
	s_andn2_b64 exec, exec, s[0:1]
	s_cbranch_execnz .LBB58_28
.LBB58_29:
	s_endpgm
	.section	.rodata,"a",@progbits
	.p2align	6, 0x0
	.amdhsa_kernel _ZN5aiter19grouped_topk_kernelIfDv4_fLi2ELb1ELb0ELb0EEEvPT_PKS2_PfPimiiiif
		.amdhsa_group_segment_fixed_size 0
		.amdhsa_private_segment_fixed_size 0
		.amdhsa_kernarg_size 320
		.amdhsa_user_sgpr_count 6
		.amdhsa_user_sgpr_private_segment_buffer 1
		.amdhsa_user_sgpr_dispatch_ptr 0
		.amdhsa_user_sgpr_queue_ptr 0
		.amdhsa_user_sgpr_kernarg_segment_ptr 1
		.amdhsa_user_sgpr_dispatch_id 0
		.amdhsa_user_sgpr_flat_scratch_init 0
		.amdhsa_user_sgpr_kernarg_preload_length 0
		.amdhsa_user_sgpr_kernarg_preload_offset 0
		.amdhsa_user_sgpr_private_segment_size 0
		.amdhsa_uses_dynamic_stack 0
		.amdhsa_system_sgpr_private_segment_wavefront_offset 0
		.amdhsa_system_sgpr_workgroup_id_x 1
		.amdhsa_system_sgpr_workgroup_id_y 0
		.amdhsa_system_sgpr_workgroup_id_z 0
		.amdhsa_system_sgpr_workgroup_info 0
		.amdhsa_system_vgpr_workitem_id 0
		.amdhsa_next_free_vgpr 31
		.amdhsa_next_free_sgpr 28
		.amdhsa_accum_offset 32
		.amdhsa_reserve_vcc 1
		.amdhsa_reserve_flat_scratch 0
		.amdhsa_float_round_mode_32 0
		.amdhsa_float_round_mode_16_64 0
		.amdhsa_float_denorm_mode_32 3
		.amdhsa_float_denorm_mode_16_64 3
		.amdhsa_dx10_clamp 1
		.amdhsa_ieee_mode 1
		.amdhsa_fp16_overflow 0
		.amdhsa_tg_split 0
		.amdhsa_exception_fp_ieee_invalid_op 0
		.amdhsa_exception_fp_denorm_src 0
		.amdhsa_exception_fp_ieee_div_zero 0
		.amdhsa_exception_fp_ieee_overflow 0
		.amdhsa_exception_fp_ieee_underflow 0
		.amdhsa_exception_fp_ieee_inexact 0
		.amdhsa_exception_int_div_zero 0
	.end_amdhsa_kernel
	.section	.text._ZN5aiter19grouped_topk_kernelIfDv4_fLi2ELb1ELb0ELb0EEEvPT_PKS2_PfPimiiiif,"axG",@progbits,_ZN5aiter19grouped_topk_kernelIfDv4_fLi2ELb1ELb0ELb0EEEvPT_PKS2_PfPimiiiif,comdat
.Lfunc_end58:
	.size	_ZN5aiter19grouped_topk_kernelIfDv4_fLi2ELb1ELb0ELb0EEEvPT_PKS2_PfPimiiiif, .Lfunc_end58-_ZN5aiter19grouped_topk_kernelIfDv4_fLi2ELb1ELb0ELb0EEEvPT_PKS2_PfPimiiiif
                                        ; -- End function
	.section	.AMDGPU.csdata,"",@progbits
; Kernel info:
; codeLenInByte = 2248
; NumSgprs: 32
; NumVgprs: 31
; NumAgprs: 0
; TotalNumVgprs: 31
; ScratchSize: 0
; MemoryBound: 0
; FloatMode: 240
; IeeeMode: 1
; LDSByteSize: 0 bytes/workgroup (compile time only)
; SGPRBlocks: 3
; VGPRBlocks: 3
; NumSGPRsForWavesPerEU: 32
; NumVGPRsForWavesPerEU: 31
; AccumOffset: 32
; Occupancy: 8
; WaveLimiterHint : 0
; COMPUTE_PGM_RSRC2:SCRATCH_EN: 0
; COMPUTE_PGM_RSRC2:USER_SGPR: 6
; COMPUTE_PGM_RSRC2:TRAP_HANDLER: 0
; COMPUTE_PGM_RSRC2:TGID_X_EN: 1
; COMPUTE_PGM_RSRC2:TGID_Y_EN: 0
; COMPUTE_PGM_RSRC2:TGID_Z_EN: 0
; COMPUTE_PGM_RSRC2:TIDIG_COMP_CNT: 0
; COMPUTE_PGM_RSRC3_GFX90A:ACCUM_OFFSET: 7
; COMPUTE_PGM_RSRC3_GFX90A:TG_SPLIT: 0
	.section	.text._ZN5aiter19grouped_topk_kernelIN3c104HalfEDv4_fLi2ELb1ELb0ELb0EEEvPT_PKS4_PfPimiiiif,"axG",@progbits,_ZN5aiter19grouped_topk_kernelIN3c104HalfEDv4_fLi2ELb1ELb0ELb0EEEvPT_PKS4_PfPimiiiif,comdat
	.protected	_ZN5aiter19grouped_topk_kernelIN3c104HalfEDv4_fLi2ELb1ELb0ELb0EEEvPT_PKS4_PfPimiiiif ; -- Begin function _ZN5aiter19grouped_topk_kernelIN3c104HalfEDv4_fLi2ELb1ELb0ELb0EEEvPT_PKS4_PfPimiiiif
	.globl	_ZN5aiter19grouped_topk_kernelIN3c104HalfEDv4_fLi2ELb1ELb0ELb0EEEvPT_PKS4_PfPimiiiif
	.p2align	8
	.type	_ZN5aiter19grouped_topk_kernelIN3c104HalfEDv4_fLi2ELb1ELb0ELb0EEEvPT_PKS4_PfPimiiiif,@function
_ZN5aiter19grouped_topk_kernelIN3c104HalfEDv4_fLi2ELb1ELb0ELb0EEEvPT_PKS4_PfPimiiiif: ; @_ZN5aiter19grouped_topk_kernelIN3c104HalfEDv4_fLi2ELb1ELb0ELb0EEEvPT_PKS4_PfPimiiiif
; %bb.0:
	s_load_dwordx4 s[12:15], s[4:5], 0x28
	s_load_dwordx4 s[16:19], s[4:5], 0x10
	v_lshl_add_u32 v1, v0, 4, 0
	s_waitcnt lgkmcnt(0)
	s_ashr_i32 s0, s12, 31
	s_lshr_b32 s0, s0, 30
	s_add_i32 s0, s12, s0
	s_ashr_i32 s7, s0, 2
	v_cmp_gt_i32_e64 s[0:1], s7, v0
	s_and_saveexec_b64 s[20:21], s[0:1]
	s_cbranch_execz .LBB59_3
; %bb.1:
	s_load_dword s10, s[4:5], 0x4c
	s_load_dwordx2 s[2:3], s[4:5], 0x0
	s_mul_i32 s8, s6, s12
	s_ashr_i32 s9, s8, 31
	s_lshl_b64 s[8:9], s[8:9], 1
	s_waitcnt lgkmcnt(0)
	s_and_b32 s15, s10, 0xffff
	s_add_u32 s2, s2, s8
	v_lshlrev_b32_e32 v2, 3, v0
	s_addc_u32 s3, s3, s9
	s_mov_b32 s10, 0
	v_mov_b32_e32 v3, s3
	v_add_co_u32_e32 v2, vcc, s2, v2
	v_addc_co_u32_e32 v3, vcc, 0, v3, vcc
	s_lshl_b32 s24, s15, 3
	v_lshl_add_u32 v6, v0, 4, 0
	s_lshl_b32 s25, s15, 4
	s_mov_b64 s[22:23], 0
	s_mov_b32 s26, 0x3fb8aa3b
	s_mov_b32 s27, 0x32a5705f
	;; [unrolled: 1-line block ×4, first 2 shown]
	v_mov_b32_e32 v7, 0x7f800000
	v_mov_b32_e32 v8, s10
	;; [unrolled: 1-line block ×3, first 2 shown]
.LBB59_2:                               ; =>This Inner Loop Header: Depth=1
	global_load_dwordx2 v[4:5], v[2:3], off
	v_add_co_u32_e32 v2, vcc, s24, v2
	v_add_u32_e32 v9, s15, v9
	v_addc_co_u32_e32 v3, vcc, v3, v8, vcc
	v_cmp_le_i32_e32 vcc, s7, v9
	s_or_b64 s[22:23], vcc, s[22:23]
	s_waitcnt vmcnt(0)
	v_cvt_f32_f16_e64 v10, -v5
	v_cvt_f32_f16_sdwa v11, -v5 dst_sel:DWORD dst_unused:UNUSED_PAD src0_sel:WORD_1
	v_cvt_f32_f16_e64 v12, -v4
	v_cvt_f32_f16_sdwa v13, -v4 dst_sel:DWORD dst_unused:UNUSED_PAD src0_sel:WORD_1
	v_mul_f32_e32 v14, 0x3fb8aa3b, v10
	v_mul_f32_e32 v15, 0x3fb8aa3b, v11
	;; [unrolled: 1-line block ×4, first 2 shown]
	v_rndne_f32_e32 v18, v14
	v_fma_mix_f32 v19, -v5, s26, -v14 op_sel_hi:[1,0,0]
	v_rndne_f32_e32 v20, v15
	v_fma_mix_f32 v21, -v5, s26, -v15 op_sel:[1,0,0] op_sel_hi:[1,0,0]
	v_rndne_f32_e32 v22, v16
	v_fma_mix_f32 v23, -v4, s26, -v16 op_sel_hi:[1,0,0]
	v_rndne_f32_e32 v24, v17
	v_fma_mix_f32 v25, -v4, s26, -v17 op_sel:[1,0,0] op_sel_hi:[1,0,0]
	v_sub_f32_e32 v14, v14, v18
	v_fma_mix_f32 v19, -v5, s27, v19 op_sel_hi:[1,0,0]
	v_sub_f32_e32 v15, v15, v20
	v_fma_mix_f32 v5, -v5, s27, v21 op_sel:[1,0,0] op_sel_hi:[1,0,0]
	v_sub_f32_e32 v16, v16, v22
	v_fma_mix_f32 v21, -v4, s27, v23 op_sel_hi:[1,0,0]
	v_sub_f32_e32 v17, v17, v24
	v_fma_mix_f32 v4, -v4, s27, v25 op_sel:[1,0,0] op_sel_hi:[1,0,0]
	v_add_f32_e32 v14, v14, v19
	v_add_f32_e32 v5, v15, v5
	v_cvt_i32_f32_e32 v18, v18
	v_cvt_i32_f32_e32 v20, v20
	v_add_f32_e32 v15, v16, v21
	v_add_f32_e32 v4, v17, v4
	v_exp_f32_e32 v14, v14
	v_exp_f32_e32 v5, v5
	v_cvt_i32_f32_e32 v22, v22
	v_cvt_i32_f32_e32 v23, v24
	v_exp_f32_e32 v15, v15
	v_exp_f32_e32 v4, v4
	v_ldexp_f32 v14, v14, v18
	v_ldexp_f32 v5, v5, v20
	v_cmp_ngt_f32_e32 vcc, s28, v11
	v_cmp_ngt_f32_e64 s[10:11], s28, v10
	v_ldexp_f32 v15, v15, v22
	v_cmp_ngt_f32_e64 s[2:3], s28, v12
	v_ldexp_f32 v4, v4, v23
	v_cmp_ngt_f32_e64 s[8:9], s28, v13
	v_cndmask_b32_e64 v14, 0, v14, s[10:11]
	v_cndmask_b32_e32 v5, 0, v5, vcc
	v_cmp_nlt_f32_e32 vcc, s29, v11
	v_cmp_nlt_f32_e64 s[10:11], s29, v10
	v_cndmask_b32_e64 v11, 0, v15, s[2:3]
	v_cmp_nlt_f32_e64 s[2:3], s29, v12
	v_cndmask_b32_e64 v12, 0, v4, s[8:9]
	v_cndmask_b32_e64 v4, v7, v14, s[10:11]
	v_cndmask_b32_e32 v5, v7, v5, vcc
	v_cmp_nlt_f32_e64 s[8:9], s29, v13
	v_pk_add_f32 v[4:5], v[4:5], 1.0 op_sel_hi:[1,0]
	v_cndmask_b32_e64 v10, v7, v11, s[2:3]
	v_cndmask_b32_e64 v11, v7, v12, s[8:9]
	v_div_scale_f32 v12, s[2:3], v5, v5, 1.0
	v_pk_add_f32 v[10:11], v[10:11], 1.0 op_sel_hi:[1,0]
	v_div_scale_f32 v14, s[2:3], v4, v4, 1.0
	v_rcp_f32_e32 v20, v12
	v_div_scale_f32 v16, s[8:9], v11, v11, 1.0
	v_rcp_f32_e32 v21, v14
	;; [unrolled: 2-line block ×3, first 2 shown]
	v_rcp_f32_e32 v23, v18
	v_fma_f32 v24, -v12, v20, 1.0
	v_div_scale_f32 v13, vcc, 1.0, v5, 1.0
	v_fma_f32 v25, -v14, v21, 1.0
	v_fmac_f32_e32 v20, v24, v20
	v_div_scale_f32 v15, s[2:3], 1.0, v4, 1.0
	v_fma_f32 v26, -v16, v22, 1.0
	v_fmac_f32_e32 v21, v25, v21
	v_mul_f32_e32 v24, v13, v20
	v_div_scale_f32 v17, s[8:9], 1.0, v11, 1.0
	v_fma_f32 v27, -v18, v23, 1.0
	v_fmac_f32_e32 v22, v26, v22
	v_mul_f32_e32 v25, v15, v21
	v_fma_f32 v28, -v12, v24, v13
	v_div_scale_f32 v19, s[10:11], 1.0, v10, 1.0
	v_fmac_f32_e32 v23, v27, v23
	v_mul_f32_e32 v26, v17, v22
	v_fma_f32 v29, -v14, v25, v15
	v_fmac_f32_e32 v24, v28, v20
	v_mul_f32_e32 v27, v19, v23
	v_fma_f32 v30, -v16, v26, v17
	v_fmac_f32_e32 v25, v29, v21
	v_fma_f32 v12, -v12, v24, v13
	v_fma_f32 v31, -v18, v27, v19
	v_fmac_f32_e32 v26, v30, v22
	v_fma_f32 v14, -v14, v25, v15
	v_div_fmas_f32 v12, v12, v20, v24
	s_mov_b64 vcc, s[2:3]
	v_fmac_f32_e32 v27, v31, v23
	v_fma_f32 v15, -v16, v26, v17
	v_div_fixup_f32 v13, v12, v5, 1.0
	v_div_fmas_f32 v5, v14, v21, v25
	s_mov_b64 vcc, s[8:9]
	v_fma_f32 v16, -v18, v27, v19
	v_div_fixup_f32 v12, v5, v4, 1.0
	v_div_fmas_f32 v4, v15, v22, v26
	s_mov_b64 vcc, s[10:11]
	v_div_fixup_f32 v11, v4, v11, 1.0
	v_div_fmas_f32 v4, v16, v23, v27
	v_div_fixup_f32 v10, v4, v10, 1.0
	ds_write_b128 v6, v[10:13]
	v_add_u32_e32 v6, s25, v6
	s_andn2_b64 exec, exec, s[22:23]
	s_cbranch_execnz .LBB59_2
.LBB59_3:
	s_or_b64 exec, exec, s[20:21]
	s_lshr_b32 s2, s12, 31
	s_add_i32 s2, s12, s2
	s_ashr_i32 s22, s2, 1
	s_lshl_b32 s2, s12, 2
	s_add_i32 s15, s2, 0
	v_cmp_gt_u32_e32 vcc, 2, v0
	s_waitcnt lgkmcnt(0)
	s_barrier
	s_and_saveexec_b64 s[8:9], vcc
	s_cbranch_execz .LBB59_10
; %bb.4:
	s_load_dword s2, s[4:5], 0x4c
	v_mul_lo_u32 v2, v0, s22
	v_lshl_add_u32 v2, v2, 2, 0
	s_waitcnt lgkmcnt(0)
	s_and_b32 s23, s2, 0xffff
	s_cmp_gt_i32 s12, 1
	s_cselect_b64 s[2:3], -1, 0
	s_mul_i32 s10, s22, s23
	v_cndmask_b32_e64 v3, 0, 1, s[2:3]
	s_lshl_b32 s12, s10, 2
	s_mov_b64 s[10:11], 0
	v_cmp_ne_u32_e64 s[2:3], 1, v3
	v_mov_b32_e32 v3, v0
	s_branch .LBB59_6
.LBB59_5:                               ;   in Loop: Header=BB59_6 Depth=1
	v_lshl_add_u32 v5, v3, 2, s15
	v_add_u32_e32 v3, s23, v3
	v_cmp_lt_u32_e32 vcc, 1, v3
	s_or_b64 s[10:11], vcc, s[10:11]
	v_add_u32_e32 v2, s12, v2
	ds_write_b32 v5, v4
	s_andn2_b64 exec, exec, s[10:11]
	s_cbranch_execz .LBB59_10
.LBB59_6:                               ; =>This Loop Header: Depth=1
                                        ;     Child Loop BB59_8 Depth 2
	s_and_b64 vcc, exec, s[2:3]
	v_mov_b32_e32 v4, 0xff800000
	s_cbranch_vccnz .LBB59_5
; %bb.7:                                ;   in Loop: Header=BB59_6 Depth=1
	v_mul_lo_u32 v5, v3, s22
	v_add_u32_e32 v6, s22, v5
	s_mov_b64 s[20:21], 0
	v_mov_b32_e32 v4, 0xff800000
	v_mov_b32_e32 v7, v2
.LBB59_8:                               ;   Parent Loop BB59_6 Depth=1
                                        ; =>  This Inner Loop Header: Depth=2
	ds_read_b32 v8, v7
	v_add_u32_e32 v5, 1, v5
	v_cmp_ge_i32_e32 vcc, v5, v6
	s_or_b64 s[20:21], vcc, s[20:21]
	v_add_u32_e32 v7, 4, v7
	s_waitcnt lgkmcnt(0)
	v_cmp_gt_f32_e32 vcc, v8, v4
	v_cndmask_b32_e32 v4, v4, v8, vcc
	s_andn2_b64 exec, exec, s[20:21]
	s_cbranch_execnz .LBB59_8
; %bb.9:                                ;   in Loop: Header=BB59_6 Depth=1
	s_or_b64 exec, exec, s[20:21]
	s_branch .LBB59_5
.LBB59_10:
	s_or_b64 exec, exec, s[8:9]
	s_cmp_lt_i32 s14, 1
	s_waitcnt lgkmcnt(0)
	s_barrier
	s_cbranch_scc1 .LBB59_13
; %bb.11:
	v_mov_b32_e32 v2, s15
	s_mov_b32 s2, 0xff800000
	v_mov_b32_e32 v3, 0xff800000
.LBB59_12:                              ; =>This Inner Loop Header: Depth=1
	ds_read2_b32 v[4:5], v2 offset1:1
	s_add_i32 s14, s14, -1
	s_cmp_lg_u32 s14, 0
	s_waitcnt lgkmcnt(0)
	v_cmp_nlg_f32_e32 vcc, s2, v4
	v_cndmask_b32_e64 v6, 0, 1, vcc
	v_cmp_lg_f32_e32 vcc, s2, v4
	v_cndmask_b32_e32 v4, v3, v4, vcc
	v_lshlrev_b32_e32 v6, 1, v6
	v_cmp_ngt_f32_e32 vcc, v5, v4
	v_cndmask_b32_e32 v4, 1, v6, vcc
	v_lshlrev_b32_e32 v4, 2, v4
	v_add_u32_e32 v4, s15, v4
	ds_write_b32 v4, v3
	s_cbranch_scc1 .LBB59_12
.LBB59_13:
	v_lshlrev_b32_e32 v6, 2, v0
	s_and_saveexec_b64 s[2:3], s[0:1]
	s_cbranch_execz .LBB59_18
; %bb.14:
	s_abs_i32 s12, s22
	v_cvt_f32_u32_e32 v2, s12
	s_load_dword s10, s[4:5], 0x4c
	s_sub_i32 s11, 0, s12
	s_ashr_i32 s14, s22, 31
	v_rcp_iflag_f32_e32 v2, v2
	v_lshlrev_b32_e32 v7, 2, v0
	s_waitcnt lgkmcnt(0)
	s_and_b32 s20, s10, 0xffff
	v_lshl_add_u32 v8, v0, 4, 0
	v_mul_f32_e32 v2, 0x4f7ffffe, v2
	v_cvt_u32_f32_e32 v2, v2
	s_mov_b64 s[8:9], 0
	s_lshl_b32 s21, s20, 2
	s_lshl_b32 s22, s20, 4
	v_mul_lo_u32 v3, s11, v2
	v_mul_hi_u32 v3, v2, v3
	v_add_u32_e32 v9, v2, v3
	s_mov_b32 s23, 0xff800000
	v_mov_b32_e32 v2, 0xff800000
	v_mov_b32_e32 v10, v0
	s_branch .LBB59_16
.LBB59_15:                              ;   in Loop: Header=BB59_16 Depth=1
	s_or_b64 exec, exec, s[10:11]
	v_add_u32_e32 v10, s20, v10
	v_cmp_le_i32_e32 vcc, s7, v10
	v_add_u32_e32 v7, s21, v7
	s_or_b64 s[8:9], vcc, s[8:9]
	v_add_u32_e32 v8, s22, v8
	s_andn2_b64 exec, exec, s[8:9]
	s_cbranch_execz .LBB59_18
.LBB59_16:                              ; =>This Inner Loop Header: Depth=1
	v_mul_hi_u32 v3, v7, v9
	v_mul_lo_u32 v4, v3, s12
	v_sub_u32_e32 v4, v7, v4
	v_add_u32_e32 v5, 1, v3
	v_cmp_le_u32_e32 vcc, s12, v4
	v_cndmask_b32_e32 v3, v3, v5, vcc
	v_subrev_u32_e32 v5, s12, v4
	v_cndmask_b32_e32 v4, v4, v5, vcc
	v_add_u32_e32 v5, 1, v3
	v_cmp_le_u32_e32 vcc, s12, v4
	v_cndmask_b32_e32 v3, v3, v5, vcc
	v_xor_b32_e32 v3, s14, v3
	v_subrev_u32_e32 v3, s14, v3
	v_lshl_add_u32 v3, v3, 2, s15
	ds_read_b32 v3, v3
	s_waitcnt lgkmcnt(0)
	v_cmp_neq_f32_e32 vcc, s23, v3
	s_and_saveexec_b64 s[10:11], vcc
	s_cbranch_execz .LBB59_15
; %bb.17:                               ;   in Loop: Header=BB59_16 Depth=1
	v_mov_b32_e32 v3, v2
	v_mov_b32_e32 v4, v2
	;; [unrolled: 1-line block ×3, first 2 shown]
	ds_write_b128 v8, v[2:5]
	s_branch .LBB59_15
.LBB59_18:
	s_or_b64 exec, exec, s[2:3]
	s_cmp_lt_i32 s13, 1
	s_waitcnt lgkmcnt(0)
	s_barrier
	s_cbranch_scc1 .LBB59_25
; %bb.19:
	s_add_u32 s2, s4, 64
	s_addc_u32 s3, s5, 0
	s_mov_b32 s12, 0
	v_mov_b32_e32 v3, 0
	v_mov_b32_e32 v5, 0xff800000
                                        ; implicit-def: $vgpr4
                                        ; implicit-def: $vgpr2
	s_branch .LBB59_21
.LBB59_20:                              ;   in Loop: Header=BB59_21 Depth=1
	s_or_b64 exec, exec, s[8:9]
	v_mov_b32_dpp v10, v8 quad_perm:[1,0,3,2] row_mask:0xf bank_mask:0xf
	v_cmp_lt_f32_e32 vcc, v8, v10
	v_cndmask_b32_e32 v8, v8, v10, vcc
	v_mov_b32_dpp v9, v7 quad_perm:[1,0,3,2] row_mask:0xf bank_mask:0xf
	v_cndmask_b32_e32 v7, v7, v9, vcc
	v_mov_b32_dpp v10, v8 quad_perm:[2,3,0,1] row_mask:0xf bank_mask:0xf
	v_cmp_gt_f32_e32 vcc, v10, v8
	v_cndmask_b32_e32 v8, v8, v10, vcc
	v_mov_b32_dpp v9, v7 quad_perm:[2,3,0,1] row_mask:0xf bank_mask:0xf
	v_cndmask_b32_e32 v7, v7, v9, vcc
	v_mov_b32_dpp v10, v8 row_half_mirror row_mask:0xf bank_mask:0xf
	v_cmp_gt_f32_e32 vcc, v10, v8
	v_cndmask_b32_e32 v8, v8, v10, vcc
	v_mov_b32_dpp v9, v7 row_half_mirror row_mask:0xf bank_mask:0xf
	v_cndmask_b32_e32 v7, v7, v9, vcc
	v_mov_b32_dpp v10, v8 row_mirror row_mask:0xf bank_mask:0xf
	v_cmp_gt_f32_e32 vcc, v10, v8
	v_cndmask_b32_e32 v8, v8, v10, vcc
	v_mov_b32_dpp v9, v7 row_mirror row_mask:0xf bank_mask:0xf
	v_cndmask_b32_e32 v7, v7, v9, vcc
	v_mov_b32_dpp v10, v8 row_bcast:15 row_mask:0xf bank_mask:0xf
	v_cmp_gt_f32_e32 vcc, v10, v8
	v_mov_b32_dpp v9, v7 row_bcast:15 row_mask:0xf bank_mask:0xf
	v_cndmask_b32_e32 v8, v8, v10, vcc
	v_cndmask_b32_e32 v7, v7, v9, vcc
	s_nop 0
	v_mov_b32_dpp v10, v8 row_bcast:31 row_mask:0xf bank_mask:0xf
	v_mov_b32_dpp v9, v7 row_bcast:31 row_mask:0xf bank_mask:0xf
	v_cmp_gt_f32_e32 vcc, v10, v8
	v_cndmask_b32_e32 v7, v7, v9, vcc
	v_readlane_b32 s9, v7, 63
	s_lshl_b32 s10, s9, 2
	s_add_i32 s10, s10, 0
	v_cndmask_b32_e32 v8, v8, v10, vcc
	v_mov_b32_e32 v7, s10
	v_readlane_b32 s8, v8, 63
	ds_write_b32 v7, v5
	v_mov_b32_e32 v7, s9
	v_cmp_eq_u32_e32 vcc, s12, v0
	v_cndmask_b32_e32 v2, v2, v7, vcc
	v_mov_b32_e32 v7, s8
	s_add_i32 s12, s12, 1
	v_cndmask_b32_e32 v4, v4, v7, vcc
	s_cmp_eq_u32 s12, s13
	v_add_f32_e32 v3, s8, v3
	s_cbranch_scc1 .LBB59_26
.LBB59_21:                              ; =>This Loop Header: Depth=1
                                        ;     Child Loop BB59_23 Depth 2
	v_mov_b32_e32 v7, s12
	v_mov_b32_e32 v8, 0xff800000
	s_and_saveexec_b64 s[8:9], s[0:1]
	s_cbranch_execz .LBB59_20
; %bb.22:                               ;   in Loop: Header=BB59_21 Depth=1
	s_load_dword s14, s[2:3], 0xc
	s_mov_b64 s[10:11], 0
	v_mov_b32_e32 v7, s12
	v_mov_b32_e32 v8, 0xff800000
	;; [unrolled: 1-line block ×3, first 2 shown]
	s_waitcnt lgkmcnt(0)
	s_and_b32 s14, s14, 0xffff
	s_lshl_b32 s15, s14, 2
	s_lshl_b32 s20, s14, 4
	v_mov_b32_e32 v10, v6
	v_mov_b32_e32 v11, v0
.LBB59_23:                              ;   Parent Loop BB59_21 Depth=1
                                        ; =>  This Inner Loop Header: Depth=2
	ds_read_b128 v[12:15], v9
	v_add_u32_e32 v11, s14, v11
	v_cmp_le_i32_e32 vcc, s7, v11
	s_or_b64 s[10:11], vcc, s[10:11]
	v_add_u32_e32 v16, 1, v10
	s_waitcnt lgkmcnt(0)
	v_cmp_gt_f32_e32 vcc, v12, v8
	v_cndmask_b32_e32 v8, v8, v12, vcc
	v_cndmask_b32_e32 v7, v7, v10, vcc
	v_cmp_gt_f32_e32 vcc, v13, v8
	v_cndmask_b32_e32 v8, v8, v13, vcc
	v_cndmask_b32_e32 v7, v7, v16, vcc
	v_cmp_gt_f32_e32 vcc, v14, v8
	v_add_u32_e32 v17, 2, v10
	v_cndmask_b32_e32 v8, v8, v14, vcc
	v_add_u32_e32 v18, 3, v10
	v_cndmask_b32_e32 v7, v7, v17, vcc
	v_cmp_gt_f32_e32 vcc, v15, v8
	v_add_u32_e32 v9, s20, v9
	v_add_u32_e32 v10, s15, v10
	v_cndmask_b32_e32 v8, v8, v15, vcc
	v_cndmask_b32_e32 v7, v7, v18, vcc
	s_andn2_b64 exec, exec, s[10:11]
	s_cbranch_execnz .LBB59_23
; %bb.24:                               ;   in Loop: Header=BB59_21 Depth=1
	s_or_b64 exec, exec, s[10:11]
	s_branch .LBB59_20
.LBB59_25:
	v_mov_b32_e32 v3, 0
                                        ; implicit-def: $vgpr4
                                        ; implicit-def: $vgpr2
.LBB59_26:
	v_cmp_gt_i32_e32 vcc, s13, v0
	s_and_saveexec_b64 s[0:1], vcc
	s_cbranch_execz .LBB59_29
; %bb.27:
	s_load_dword s7, s[4:5], 0x38
	s_load_dwordx2 s[0:1], s[4:5], 0x20
	s_load_dword s8, s[4:5], 0x4c
	s_waitcnt lgkmcnt(0)
	v_div_scale_f32 v1, s[2:3], v3, v3, s7
	v_rcp_f32_e32 v5, v1
	v_div_scale_f32 v6, vcc, s7, v3, s7
	s_ashr_i32 s2, s6, 31
	v_fma_f32 v7, -v1, v5, 1.0
	v_fmac_f32_e32 v5, v7, v5
	v_mul_f32_e32 v7, v6, v5
	v_fma_f32 v8, -v1, v7, v6
	v_fmac_f32_e32 v7, v8, v5
	v_fma_f32 v1, -v1, v7, v6
	s_mul_i32 s1, s6, s1
	s_mul_hi_u32 s3, s6, s0
	v_div_fmas_f32 v1, v1, v5, v7
	s_add_i32 s1, s3, s1
	s_mul_i32 s2, s2, s0
	v_div_fixup_f32 v1, v1, v3, s7
	s_add_i32 s4, s1, s2
	v_mul_f32_e32 v1, v1, v4
	s_mul_i32 s2, s6, s0
	s_and_b32 s3, s8, 0xffff
	s_mov_b64 s[0:1], 0
	v_mov_b32_e32 v3, s4
	v_mov_b32_e32 v4, s17
	;; [unrolled: 1-line block ×3, first 2 shown]
.LBB59_28:                              ; =>This Inner Loop Header: Depth=1
	v_ashrrev_i32_e32 v7, 31, v0
	v_add_co_u32_e32 v6, vcc, s2, v0
	v_addc_co_u32_e32 v7, vcc, v3, v7, vcc
	v_add_u32_e32 v0, s3, v0
	v_cmp_le_i32_e32 vcc, s13, v0
	v_lshlrev_b64 v[6:7], 2, v[6:7]
	s_or_b64 s[0:1], vcc, s[0:1]
	v_add_co_u32_e32 v8, vcc, s16, v6
	v_addc_co_u32_e32 v9, vcc, v4, v7, vcc
	v_add_co_u32_e32 v6, vcc, s18, v6
	v_addc_co_u32_e32 v7, vcc, v5, v7, vcc
	global_store_dword v[8:9], v1, off
	global_store_dword v[6:7], v2, off
	s_andn2_b64 exec, exec, s[0:1]
	s_cbranch_execnz .LBB59_28
.LBB59_29:
	s_endpgm
	.section	.rodata,"a",@progbits
	.p2align	6, 0x0
	.amdhsa_kernel _ZN5aiter19grouped_topk_kernelIN3c104HalfEDv4_fLi2ELb1ELb0ELb0EEEvPT_PKS4_PfPimiiiif
		.amdhsa_group_segment_fixed_size 0
		.amdhsa_private_segment_fixed_size 0
		.amdhsa_kernarg_size 320
		.amdhsa_user_sgpr_count 6
		.amdhsa_user_sgpr_private_segment_buffer 1
		.amdhsa_user_sgpr_dispatch_ptr 0
		.amdhsa_user_sgpr_queue_ptr 0
		.amdhsa_user_sgpr_kernarg_segment_ptr 1
		.amdhsa_user_sgpr_dispatch_id 0
		.amdhsa_user_sgpr_flat_scratch_init 0
		.amdhsa_user_sgpr_kernarg_preload_length 0
		.amdhsa_user_sgpr_kernarg_preload_offset 0
		.amdhsa_user_sgpr_private_segment_size 0
		.amdhsa_uses_dynamic_stack 0
		.amdhsa_system_sgpr_private_segment_wavefront_offset 0
		.amdhsa_system_sgpr_workgroup_id_x 1
		.amdhsa_system_sgpr_workgroup_id_y 0
		.amdhsa_system_sgpr_workgroup_id_z 0
		.amdhsa_system_sgpr_workgroup_info 0
		.amdhsa_system_vgpr_workitem_id 0
		.amdhsa_next_free_vgpr 32
		.amdhsa_next_free_sgpr 30
		.amdhsa_accum_offset 32
		.amdhsa_reserve_vcc 1
		.amdhsa_reserve_flat_scratch 0
		.amdhsa_float_round_mode_32 0
		.amdhsa_float_round_mode_16_64 0
		.amdhsa_float_denorm_mode_32 3
		.amdhsa_float_denorm_mode_16_64 3
		.amdhsa_dx10_clamp 1
		.amdhsa_ieee_mode 1
		.amdhsa_fp16_overflow 0
		.amdhsa_tg_split 0
		.amdhsa_exception_fp_ieee_invalid_op 0
		.amdhsa_exception_fp_denorm_src 0
		.amdhsa_exception_fp_ieee_div_zero 0
		.amdhsa_exception_fp_ieee_overflow 0
		.amdhsa_exception_fp_ieee_underflow 0
		.amdhsa_exception_fp_ieee_inexact 0
		.amdhsa_exception_int_div_zero 0
	.end_amdhsa_kernel
	.section	.text._ZN5aiter19grouped_topk_kernelIN3c104HalfEDv4_fLi2ELb1ELb0ELb0EEEvPT_PKS4_PfPimiiiif,"axG",@progbits,_ZN5aiter19grouped_topk_kernelIN3c104HalfEDv4_fLi2ELb1ELb0ELb0EEEvPT_PKS4_PfPimiiiif,comdat
.Lfunc_end59:
	.size	_ZN5aiter19grouped_topk_kernelIN3c104HalfEDv4_fLi2ELb1ELb0ELb0EEEvPT_PKS4_PfPimiiiif, .Lfunc_end59-_ZN5aiter19grouped_topk_kernelIN3c104HalfEDv4_fLi2ELb1ELb0ELb0EEEvPT_PKS4_PfPimiiiif
                                        ; -- End function
	.section	.AMDGPU.csdata,"",@progbits
; Kernel info:
; codeLenInByte = 2296
; NumSgprs: 34
; NumVgprs: 32
; NumAgprs: 0
; TotalNumVgprs: 32
; ScratchSize: 0
; MemoryBound: 0
; FloatMode: 240
; IeeeMode: 1
; LDSByteSize: 0 bytes/workgroup (compile time only)
; SGPRBlocks: 4
; VGPRBlocks: 3
; NumSGPRsForWavesPerEU: 34
; NumVGPRsForWavesPerEU: 32
; AccumOffset: 32
; Occupancy: 8
; WaveLimiterHint : 0
; COMPUTE_PGM_RSRC2:SCRATCH_EN: 0
; COMPUTE_PGM_RSRC2:USER_SGPR: 6
; COMPUTE_PGM_RSRC2:TRAP_HANDLER: 0
; COMPUTE_PGM_RSRC2:TGID_X_EN: 1
; COMPUTE_PGM_RSRC2:TGID_Y_EN: 0
; COMPUTE_PGM_RSRC2:TGID_Z_EN: 0
; COMPUTE_PGM_RSRC2:TIDIG_COMP_CNT: 0
; COMPUTE_PGM_RSRC3_GFX90A:ACCUM_OFFSET: 7
; COMPUTE_PGM_RSRC3_GFX90A:TG_SPLIT: 0
	.section	.text._ZN5aiter19grouped_topk_kernelIN3c108BFloat16EDv4_fLi2ELb1ELb0ELb0EEEvPT_PKS4_PfPimiiiif,"axG",@progbits,_ZN5aiter19grouped_topk_kernelIN3c108BFloat16EDv4_fLi2ELb1ELb0ELb0EEEvPT_PKS4_PfPimiiiif,comdat
	.protected	_ZN5aiter19grouped_topk_kernelIN3c108BFloat16EDv4_fLi2ELb1ELb0ELb0EEEvPT_PKS4_PfPimiiiif ; -- Begin function _ZN5aiter19grouped_topk_kernelIN3c108BFloat16EDv4_fLi2ELb1ELb0ELb0EEEvPT_PKS4_PfPimiiiif
	.globl	_ZN5aiter19grouped_topk_kernelIN3c108BFloat16EDv4_fLi2ELb1ELb0ELb0EEEvPT_PKS4_PfPimiiiif
	.p2align	8
	.type	_ZN5aiter19grouped_topk_kernelIN3c108BFloat16EDv4_fLi2ELb1ELb0ELb0EEEvPT_PKS4_PfPimiiiif,@function
_ZN5aiter19grouped_topk_kernelIN3c108BFloat16EDv4_fLi2ELb1ELb0ELb0EEEvPT_PKS4_PfPimiiiif: ; @_ZN5aiter19grouped_topk_kernelIN3c108BFloat16EDv4_fLi2ELb1ELb0ELb0EEEvPT_PKS4_PfPimiiiif
; %bb.0:
	s_load_dwordx4 s[12:15], s[4:5], 0x28
	s_load_dwordx4 s[16:19], s[4:5], 0x10
	v_lshl_add_u32 v1, v0, 4, 0
	s_waitcnt lgkmcnt(0)
	s_ashr_i32 s0, s12, 31
	s_lshr_b32 s0, s0, 30
	s_add_i32 s0, s12, s0
	s_ashr_i32 s7, s0, 2
	v_cmp_gt_i32_e64 s[0:1], s7, v0
	s_and_saveexec_b64 s[20:21], s[0:1]
	s_cbranch_execz .LBB60_3
; %bb.1:
	s_load_dword s10, s[4:5], 0x4c
	s_load_dwordx2 s[2:3], s[4:5], 0x0
	s_mul_i32 s8, s6, s12
	s_ashr_i32 s9, s8, 31
	s_lshl_b64 s[8:9], s[8:9], 1
	s_waitcnt lgkmcnt(0)
	s_and_b32 s15, s10, 0xffff
	s_add_u32 s2, s2, s8
	v_lshlrev_b32_e32 v2, 3, v0
	s_addc_u32 s3, s3, s9
	s_mov_b32 s10, 0
	v_mov_b32_e32 v3, s3
	v_add_co_u32_e32 v2, vcc, s2, v2
	v_addc_co_u32_e32 v3, vcc, 0, v3, vcc
	s_lshl_b32 s24, s15, 3
	v_lshl_add_u32 v6, v0, 4, 0
	s_lshl_b32 s25, s15, 4
	s_mov_b64 s[22:23], 0
	s_mov_b32 s26, 0xbfb8aa3b
	s_mov_b32 s27, 0x42ce8ed0
	;; [unrolled: 1-line block ×3, first 2 shown]
	v_mov_b32_e32 v7, 0x7f800000
	v_mov_b32_e32 v8, s10
	;; [unrolled: 1-line block ×3, first 2 shown]
.LBB60_2:                               ; =>This Inner Loop Header: Depth=1
	global_load_dwordx2 v[4:5], v[2:3], off
	v_add_co_u32_e32 v2, vcc, s24, v2
	v_add_u32_e32 v9, s15, v9
	v_addc_co_u32_e32 v3, vcc, v3, v8, vcc
	v_cmp_le_i32_e32 vcc, s7, v9
	s_or_b64 s[22:23], vcc, s[22:23]
	s_waitcnt vmcnt(0)
	v_cvt_f32_u32_sdwa v10, v5 dst_sel:DWORD dst_unused:UNUSED_PAD src0_sel:WORD_1
	v_cvt_f32_u32_sdwa v5, v5 dst_sel:DWORD dst_unused:UNUSED_PAD src0_sel:WORD_0
	v_cvt_f32_u32_sdwa v11, v4 dst_sel:DWORD dst_unused:UNUSED_PAD src0_sel:WORD_1
	v_cvt_f32_u32_sdwa v4, v4 dst_sel:DWORD dst_unused:UNUSED_PAD src0_sel:WORD_0
	v_mul_f32_e32 v12, 0xbfb8aa3b, v10
	v_mul_f32_e32 v13, 0xbfb8aa3b, v5
	v_fma_f32 v16, v10, s26, -v12
	v_mul_f32_e32 v15, 0xbfb8aa3b, v4
	v_rndne_f32_e32 v17, v12
	v_fma_f32 v18, v5, s26, -v13
	v_rndne_f32_e32 v19, v13
	v_mul_f32_e32 v14, 0xbfb8aa3b, v11
	v_fma_f32 v22, v4, s26, -v15
	v_rndne_f32_e32 v23, v15
	v_fmac_f32_e32 v16, 0xb2a5705f, v10
	v_sub_f32_e32 v12, v12, v17
	v_fmac_f32_e32 v18, 0xb2a5705f, v5
	v_sub_f32_e32 v13, v13, v19
	v_fma_f32 v20, v11, s26, -v14
	v_rndne_f32_e32 v21, v14
	v_fmac_f32_e32 v22, 0xb2a5705f, v4
	v_sub_f32_e32 v15, v15, v23
	v_add_f32_e32 v12, v12, v16
	v_add_f32_e32 v13, v13, v18
	v_cvt_i32_f32_e32 v17, v17
	v_cvt_i32_f32_e32 v19, v19
	v_fmac_f32_e32 v20, 0xb2a5705f, v11
	v_sub_f32_e32 v14, v14, v21
	v_add_f32_e32 v15, v15, v22
	v_exp_f32_e32 v12, v12
	v_exp_f32_e32 v13, v13
	v_cvt_i32_f32_e32 v23, v23
	v_add_f32_e32 v14, v14, v20
	v_exp_f32_e32 v15, v15
	v_cvt_i32_f32_e32 v21, v21
	v_exp_f32_e32 v14, v14
	v_ldexp_f32 v12, v12, v17
	v_ldexp_f32 v13, v13, v19
	v_cmp_nlt_f32_e32 vcc, s27, v5
	v_cmp_nlt_f32_e64 s[10:11], s27, v10
	v_ldexp_f32 v15, v15, v23
	v_cmp_nlt_f32_e64 s[8:9], s27, v4
	v_cndmask_b32_e64 v12, 0, v12, s[10:11]
	v_cndmask_b32_e32 v13, 0, v13, vcc
	v_cmp_ngt_f32_e32 vcc, s28, v5
	v_cmp_ngt_f32_e64 s[10:11], s28, v10
	v_ldexp_f32 v14, v14, v21
	v_cmp_nlt_f32_e64 s[2:3], s27, v11
	v_cndmask_b32_e64 v15, 0, v15, s[8:9]
	v_cmp_ngt_f32_e64 s[8:9], s28, v4
	v_cndmask_b32_e64 v5, v7, v12, s[10:11]
	v_cndmask_b32_e32 v4, v7, v13, vcc
	v_cndmask_b32_e64 v14, 0, v14, s[2:3]
	v_cmp_ngt_f32_e64 s[2:3], s28, v11
	v_pk_add_f32 v[4:5], v[4:5], 1.0 op_sel_hi:[1,0]
	v_cndmask_b32_e64 v11, v7, v14, s[2:3]
	v_cndmask_b32_e64 v10, v7, v15, s[8:9]
	v_div_scale_f32 v12, s[2:3], v5, v5, 1.0
	v_pk_add_f32 v[10:11], v[10:11], 1.0 op_sel_hi:[1,0]
	v_div_scale_f32 v14, s[2:3], v4, v4, 1.0
	v_rcp_f32_e32 v20, v12
	v_div_scale_f32 v16, s[8:9], v11, v11, 1.0
	v_rcp_f32_e32 v21, v14
	;; [unrolled: 2-line block ×3, first 2 shown]
	v_rcp_f32_e32 v23, v18
	v_fma_f32 v24, -v12, v20, 1.0
	v_div_scale_f32 v13, vcc, 1.0, v5, 1.0
	v_fma_f32 v25, -v14, v21, 1.0
	v_fmac_f32_e32 v20, v24, v20
	v_div_scale_f32 v15, s[2:3], 1.0, v4, 1.0
	v_fma_f32 v26, -v16, v22, 1.0
	v_fmac_f32_e32 v21, v25, v21
	v_mul_f32_e32 v24, v13, v20
	v_div_scale_f32 v17, s[8:9], 1.0, v11, 1.0
	v_fma_f32 v27, -v18, v23, 1.0
	v_fmac_f32_e32 v22, v26, v22
	v_mul_f32_e32 v25, v15, v21
	v_fma_f32 v28, -v12, v24, v13
	v_div_scale_f32 v19, s[10:11], 1.0, v10, 1.0
	v_fmac_f32_e32 v23, v27, v23
	v_mul_f32_e32 v26, v17, v22
	v_fma_f32 v29, -v14, v25, v15
	v_fmac_f32_e32 v24, v28, v20
	v_mul_f32_e32 v27, v19, v23
	v_fma_f32 v30, -v16, v26, v17
	v_fmac_f32_e32 v25, v29, v21
	v_fma_f32 v12, -v12, v24, v13
	v_fma_f32 v31, -v18, v27, v19
	v_fmac_f32_e32 v26, v30, v22
	v_fma_f32 v14, -v14, v25, v15
	v_div_fmas_f32 v12, v12, v20, v24
	s_mov_b64 vcc, s[2:3]
	v_fmac_f32_e32 v27, v31, v23
	v_fma_f32 v15, -v16, v26, v17
	v_div_fixup_f32 v13, v12, v5, 1.0
	v_div_fmas_f32 v5, v14, v21, v25
	s_mov_b64 vcc, s[8:9]
	v_fma_f32 v16, -v18, v27, v19
	v_div_fixup_f32 v12, v5, v4, 1.0
	v_div_fmas_f32 v4, v15, v22, v26
	s_mov_b64 vcc, s[10:11]
	v_div_fixup_f32 v11, v4, v11, 1.0
	v_div_fmas_f32 v4, v16, v23, v27
	v_div_fixup_f32 v10, v4, v10, 1.0
	ds_write_b128 v6, v[10:13]
	v_add_u32_e32 v6, s25, v6
	s_andn2_b64 exec, exec, s[22:23]
	s_cbranch_execnz .LBB60_2
.LBB60_3:
	s_or_b64 exec, exec, s[20:21]
	s_lshr_b32 s2, s12, 31
	s_add_i32 s2, s12, s2
	s_ashr_i32 s22, s2, 1
	s_lshl_b32 s2, s12, 2
	s_add_i32 s15, s2, 0
	v_cmp_gt_u32_e32 vcc, 2, v0
	s_waitcnt lgkmcnt(0)
	s_barrier
	s_and_saveexec_b64 s[8:9], vcc
	s_cbranch_execz .LBB60_10
; %bb.4:
	s_load_dword s2, s[4:5], 0x4c
	v_mul_lo_u32 v2, v0, s22
	v_lshl_add_u32 v2, v2, 2, 0
	s_waitcnt lgkmcnt(0)
	s_and_b32 s23, s2, 0xffff
	s_cmp_gt_i32 s12, 1
	s_cselect_b64 s[2:3], -1, 0
	s_mul_i32 s10, s22, s23
	v_cndmask_b32_e64 v3, 0, 1, s[2:3]
	s_lshl_b32 s12, s10, 2
	s_mov_b64 s[10:11], 0
	v_cmp_ne_u32_e64 s[2:3], 1, v3
	v_mov_b32_e32 v3, v0
	s_branch .LBB60_6
.LBB60_5:                               ;   in Loop: Header=BB60_6 Depth=1
	v_lshl_add_u32 v5, v3, 2, s15
	v_add_u32_e32 v3, s23, v3
	v_cmp_lt_u32_e32 vcc, 1, v3
	s_or_b64 s[10:11], vcc, s[10:11]
	v_add_u32_e32 v2, s12, v2
	ds_write_b32 v5, v4
	s_andn2_b64 exec, exec, s[10:11]
	s_cbranch_execz .LBB60_10
.LBB60_6:                               ; =>This Loop Header: Depth=1
                                        ;     Child Loop BB60_8 Depth 2
	s_and_b64 vcc, exec, s[2:3]
	v_mov_b32_e32 v4, 0xff800000
	s_cbranch_vccnz .LBB60_5
; %bb.7:                                ;   in Loop: Header=BB60_6 Depth=1
	v_mul_lo_u32 v5, v3, s22
	v_add_u32_e32 v6, s22, v5
	s_mov_b64 s[20:21], 0
	v_mov_b32_e32 v4, 0xff800000
	v_mov_b32_e32 v7, v2
.LBB60_8:                               ;   Parent Loop BB60_6 Depth=1
                                        ; =>  This Inner Loop Header: Depth=2
	ds_read_b32 v8, v7
	v_add_u32_e32 v5, 1, v5
	v_cmp_ge_i32_e32 vcc, v5, v6
	s_or_b64 s[20:21], vcc, s[20:21]
	v_add_u32_e32 v7, 4, v7
	s_waitcnt lgkmcnt(0)
	v_cmp_gt_f32_e32 vcc, v8, v4
	v_cndmask_b32_e32 v4, v4, v8, vcc
	s_andn2_b64 exec, exec, s[20:21]
	s_cbranch_execnz .LBB60_8
; %bb.9:                                ;   in Loop: Header=BB60_6 Depth=1
	s_or_b64 exec, exec, s[20:21]
	s_branch .LBB60_5
.LBB60_10:
	s_or_b64 exec, exec, s[8:9]
	s_cmp_lt_i32 s14, 1
	s_waitcnt lgkmcnt(0)
	s_barrier
	s_cbranch_scc1 .LBB60_13
; %bb.11:
	v_mov_b32_e32 v2, s15
	s_mov_b32 s2, 0xff800000
	v_mov_b32_e32 v3, 0xff800000
.LBB60_12:                              ; =>This Inner Loop Header: Depth=1
	ds_read2_b32 v[4:5], v2 offset1:1
	s_add_i32 s14, s14, -1
	s_cmp_lg_u32 s14, 0
	s_waitcnt lgkmcnt(0)
	v_cmp_nlg_f32_e32 vcc, s2, v4
	v_cndmask_b32_e64 v6, 0, 1, vcc
	v_cmp_lg_f32_e32 vcc, s2, v4
	v_cndmask_b32_e32 v4, v3, v4, vcc
	v_lshlrev_b32_e32 v6, 1, v6
	v_cmp_ngt_f32_e32 vcc, v5, v4
	v_cndmask_b32_e32 v4, 1, v6, vcc
	v_lshlrev_b32_e32 v4, 2, v4
	v_add_u32_e32 v4, s15, v4
	ds_write_b32 v4, v3
	s_cbranch_scc1 .LBB60_12
.LBB60_13:
	v_lshlrev_b32_e32 v6, 2, v0
	s_and_saveexec_b64 s[2:3], s[0:1]
	s_cbranch_execz .LBB60_18
; %bb.14:
	s_abs_i32 s12, s22
	v_cvt_f32_u32_e32 v2, s12
	s_load_dword s10, s[4:5], 0x4c
	s_sub_i32 s11, 0, s12
	s_ashr_i32 s14, s22, 31
	v_rcp_iflag_f32_e32 v2, v2
	v_lshlrev_b32_e32 v7, 2, v0
	s_waitcnt lgkmcnt(0)
	s_and_b32 s20, s10, 0xffff
	v_lshl_add_u32 v8, v0, 4, 0
	v_mul_f32_e32 v2, 0x4f7ffffe, v2
	v_cvt_u32_f32_e32 v2, v2
	s_mov_b64 s[8:9], 0
	s_lshl_b32 s21, s20, 2
	s_lshl_b32 s22, s20, 4
	v_mul_lo_u32 v3, s11, v2
	v_mul_hi_u32 v3, v2, v3
	v_add_u32_e32 v9, v2, v3
	s_mov_b32 s23, 0xff800000
	v_mov_b32_e32 v2, 0xff800000
	v_mov_b32_e32 v10, v0
	s_branch .LBB60_16
.LBB60_15:                              ;   in Loop: Header=BB60_16 Depth=1
	s_or_b64 exec, exec, s[10:11]
	v_add_u32_e32 v10, s20, v10
	v_cmp_le_i32_e32 vcc, s7, v10
	v_add_u32_e32 v7, s21, v7
	s_or_b64 s[8:9], vcc, s[8:9]
	v_add_u32_e32 v8, s22, v8
	s_andn2_b64 exec, exec, s[8:9]
	s_cbranch_execz .LBB60_18
.LBB60_16:                              ; =>This Inner Loop Header: Depth=1
	v_mul_hi_u32 v3, v7, v9
	v_mul_lo_u32 v4, v3, s12
	v_sub_u32_e32 v4, v7, v4
	v_add_u32_e32 v5, 1, v3
	v_cmp_le_u32_e32 vcc, s12, v4
	v_cndmask_b32_e32 v3, v3, v5, vcc
	v_subrev_u32_e32 v5, s12, v4
	v_cndmask_b32_e32 v4, v4, v5, vcc
	v_add_u32_e32 v5, 1, v3
	v_cmp_le_u32_e32 vcc, s12, v4
	v_cndmask_b32_e32 v3, v3, v5, vcc
	v_xor_b32_e32 v3, s14, v3
	v_subrev_u32_e32 v3, s14, v3
	v_lshl_add_u32 v3, v3, 2, s15
	ds_read_b32 v3, v3
	s_waitcnt lgkmcnt(0)
	v_cmp_neq_f32_e32 vcc, s23, v3
	s_and_saveexec_b64 s[10:11], vcc
	s_cbranch_execz .LBB60_15
; %bb.17:                               ;   in Loop: Header=BB60_16 Depth=1
	v_mov_b32_e32 v3, v2
	v_mov_b32_e32 v4, v2
	;; [unrolled: 1-line block ×3, first 2 shown]
	ds_write_b128 v8, v[2:5]
	s_branch .LBB60_15
.LBB60_18:
	s_or_b64 exec, exec, s[2:3]
	s_cmp_lt_i32 s13, 1
	s_waitcnt lgkmcnt(0)
	s_barrier
	s_cbranch_scc1 .LBB60_25
; %bb.19:
	s_add_u32 s2, s4, 64
	s_addc_u32 s3, s5, 0
	s_mov_b32 s12, 0
	v_mov_b32_e32 v3, 0
	v_mov_b32_e32 v5, 0xff800000
                                        ; implicit-def: $vgpr4
                                        ; implicit-def: $vgpr2
	s_branch .LBB60_21
.LBB60_20:                              ;   in Loop: Header=BB60_21 Depth=1
	s_or_b64 exec, exec, s[8:9]
	v_mov_b32_dpp v10, v8 quad_perm:[1,0,3,2] row_mask:0xf bank_mask:0xf
	v_cmp_lt_f32_e32 vcc, v8, v10
	v_cndmask_b32_e32 v8, v8, v10, vcc
	v_mov_b32_dpp v9, v7 quad_perm:[1,0,3,2] row_mask:0xf bank_mask:0xf
	v_cndmask_b32_e32 v7, v7, v9, vcc
	v_mov_b32_dpp v10, v8 quad_perm:[2,3,0,1] row_mask:0xf bank_mask:0xf
	v_cmp_gt_f32_e32 vcc, v10, v8
	v_cndmask_b32_e32 v8, v8, v10, vcc
	v_mov_b32_dpp v9, v7 quad_perm:[2,3,0,1] row_mask:0xf bank_mask:0xf
	v_cndmask_b32_e32 v7, v7, v9, vcc
	v_mov_b32_dpp v10, v8 row_half_mirror row_mask:0xf bank_mask:0xf
	v_cmp_gt_f32_e32 vcc, v10, v8
	v_cndmask_b32_e32 v8, v8, v10, vcc
	v_mov_b32_dpp v9, v7 row_half_mirror row_mask:0xf bank_mask:0xf
	v_cndmask_b32_e32 v7, v7, v9, vcc
	v_mov_b32_dpp v10, v8 row_mirror row_mask:0xf bank_mask:0xf
	v_cmp_gt_f32_e32 vcc, v10, v8
	v_cndmask_b32_e32 v8, v8, v10, vcc
	v_mov_b32_dpp v9, v7 row_mirror row_mask:0xf bank_mask:0xf
	v_cndmask_b32_e32 v7, v7, v9, vcc
	v_mov_b32_dpp v10, v8 row_bcast:15 row_mask:0xf bank_mask:0xf
	v_cmp_gt_f32_e32 vcc, v10, v8
	v_mov_b32_dpp v9, v7 row_bcast:15 row_mask:0xf bank_mask:0xf
	v_cndmask_b32_e32 v8, v8, v10, vcc
	v_cndmask_b32_e32 v7, v7, v9, vcc
	s_nop 0
	v_mov_b32_dpp v10, v8 row_bcast:31 row_mask:0xf bank_mask:0xf
	v_mov_b32_dpp v9, v7 row_bcast:31 row_mask:0xf bank_mask:0xf
	v_cmp_gt_f32_e32 vcc, v10, v8
	v_cndmask_b32_e32 v7, v7, v9, vcc
	v_readlane_b32 s9, v7, 63
	s_lshl_b32 s10, s9, 2
	s_add_i32 s10, s10, 0
	v_cndmask_b32_e32 v8, v8, v10, vcc
	v_mov_b32_e32 v7, s10
	v_readlane_b32 s8, v8, 63
	ds_write_b32 v7, v5
	v_mov_b32_e32 v7, s9
	v_cmp_eq_u32_e32 vcc, s12, v0
	v_cndmask_b32_e32 v2, v2, v7, vcc
	v_mov_b32_e32 v7, s8
	s_add_i32 s12, s12, 1
	v_cndmask_b32_e32 v4, v4, v7, vcc
	s_cmp_eq_u32 s12, s13
	v_add_f32_e32 v3, s8, v3
	s_cbranch_scc1 .LBB60_26
.LBB60_21:                              ; =>This Loop Header: Depth=1
                                        ;     Child Loop BB60_23 Depth 2
	v_mov_b32_e32 v7, s12
	v_mov_b32_e32 v8, 0xff800000
	s_and_saveexec_b64 s[8:9], s[0:1]
	s_cbranch_execz .LBB60_20
; %bb.22:                               ;   in Loop: Header=BB60_21 Depth=1
	s_load_dword s14, s[2:3], 0xc
	s_mov_b64 s[10:11], 0
	v_mov_b32_e32 v7, s12
	v_mov_b32_e32 v8, 0xff800000
	;; [unrolled: 1-line block ×3, first 2 shown]
	s_waitcnt lgkmcnt(0)
	s_and_b32 s14, s14, 0xffff
	s_lshl_b32 s15, s14, 2
	s_lshl_b32 s20, s14, 4
	v_mov_b32_e32 v10, v6
	v_mov_b32_e32 v11, v0
.LBB60_23:                              ;   Parent Loop BB60_21 Depth=1
                                        ; =>  This Inner Loop Header: Depth=2
	ds_read_b128 v[12:15], v9
	v_add_u32_e32 v11, s14, v11
	v_cmp_le_i32_e32 vcc, s7, v11
	s_or_b64 s[10:11], vcc, s[10:11]
	v_add_u32_e32 v16, 1, v10
	s_waitcnt lgkmcnt(0)
	v_cmp_gt_f32_e32 vcc, v12, v8
	v_cndmask_b32_e32 v8, v8, v12, vcc
	v_cndmask_b32_e32 v7, v7, v10, vcc
	v_cmp_gt_f32_e32 vcc, v13, v8
	v_cndmask_b32_e32 v8, v8, v13, vcc
	v_cndmask_b32_e32 v7, v7, v16, vcc
	v_cmp_gt_f32_e32 vcc, v14, v8
	v_add_u32_e32 v17, 2, v10
	v_cndmask_b32_e32 v8, v8, v14, vcc
	v_add_u32_e32 v18, 3, v10
	v_cndmask_b32_e32 v7, v7, v17, vcc
	v_cmp_gt_f32_e32 vcc, v15, v8
	v_add_u32_e32 v9, s20, v9
	v_add_u32_e32 v10, s15, v10
	v_cndmask_b32_e32 v8, v8, v15, vcc
	v_cndmask_b32_e32 v7, v7, v18, vcc
	s_andn2_b64 exec, exec, s[10:11]
	s_cbranch_execnz .LBB60_23
; %bb.24:                               ;   in Loop: Header=BB60_21 Depth=1
	s_or_b64 exec, exec, s[10:11]
	s_branch .LBB60_20
.LBB60_25:
	v_mov_b32_e32 v3, 0
                                        ; implicit-def: $vgpr4
                                        ; implicit-def: $vgpr2
.LBB60_26:
	v_cmp_gt_i32_e32 vcc, s13, v0
	s_and_saveexec_b64 s[0:1], vcc
	s_cbranch_execz .LBB60_29
; %bb.27:
	s_load_dword s7, s[4:5], 0x38
	s_load_dwordx2 s[0:1], s[4:5], 0x20
	s_load_dword s8, s[4:5], 0x4c
	s_waitcnt lgkmcnt(0)
	v_div_scale_f32 v1, s[2:3], v3, v3, s7
	v_rcp_f32_e32 v5, v1
	v_div_scale_f32 v6, vcc, s7, v3, s7
	s_ashr_i32 s2, s6, 31
	v_fma_f32 v7, -v1, v5, 1.0
	v_fmac_f32_e32 v5, v7, v5
	v_mul_f32_e32 v7, v6, v5
	v_fma_f32 v8, -v1, v7, v6
	v_fmac_f32_e32 v7, v8, v5
	v_fma_f32 v1, -v1, v7, v6
	s_mul_i32 s1, s6, s1
	s_mul_hi_u32 s3, s6, s0
	v_div_fmas_f32 v1, v1, v5, v7
	s_add_i32 s1, s3, s1
	s_mul_i32 s2, s2, s0
	v_div_fixup_f32 v1, v1, v3, s7
	s_add_i32 s4, s1, s2
	v_mul_f32_e32 v1, v1, v4
	s_mul_i32 s2, s6, s0
	s_and_b32 s3, s8, 0xffff
	s_mov_b64 s[0:1], 0
	v_mov_b32_e32 v3, s4
	v_mov_b32_e32 v4, s17
	;; [unrolled: 1-line block ×3, first 2 shown]
.LBB60_28:                              ; =>This Inner Loop Header: Depth=1
	v_ashrrev_i32_e32 v7, 31, v0
	v_add_co_u32_e32 v6, vcc, s2, v0
	v_addc_co_u32_e32 v7, vcc, v3, v7, vcc
	v_add_u32_e32 v0, s3, v0
	v_cmp_le_i32_e32 vcc, s13, v0
	v_lshlrev_b64 v[6:7], 2, v[6:7]
	s_or_b64 s[0:1], vcc, s[0:1]
	v_add_co_u32_e32 v8, vcc, s16, v6
	v_addc_co_u32_e32 v9, vcc, v4, v7, vcc
	v_add_co_u32_e32 v6, vcc, s18, v6
	v_addc_co_u32_e32 v7, vcc, v5, v7, vcc
	global_store_dword v[8:9], v1, off
	global_store_dword v[6:7], v2, off
	s_andn2_b64 exec, exec, s[0:1]
	s_cbranch_execnz .LBB60_28
.LBB60_29:
	s_endpgm
	.section	.rodata,"a",@progbits
	.p2align	6, 0x0
	.amdhsa_kernel _ZN5aiter19grouped_topk_kernelIN3c108BFloat16EDv4_fLi2ELb1ELb0ELb0EEEvPT_PKS4_PfPimiiiif
		.amdhsa_group_segment_fixed_size 0
		.amdhsa_private_segment_fixed_size 0
		.amdhsa_kernarg_size 320
		.amdhsa_user_sgpr_count 6
		.amdhsa_user_sgpr_private_segment_buffer 1
		.amdhsa_user_sgpr_dispatch_ptr 0
		.amdhsa_user_sgpr_queue_ptr 0
		.amdhsa_user_sgpr_kernarg_segment_ptr 1
		.amdhsa_user_sgpr_dispatch_id 0
		.amdhsa_user_sgpr_flat_scratch_init 0
		.amdhsa_user_sgpr_kernarg_preload_length 0
		.amdhsa_user_sgpr_kernarg_preload_offset 0
		.amdhsa_user_sgpr_private_segment_size 0
		.amdhsa_uses_dynamic_stack 0
		.amdhsa_system_sgpr_private_segment_wavefront_offset 0
		.amdhsa_system_sgpr_workgroup_id_x 1
		.amdhsa_system_sgpr_workgroup_id_y 0
		.amdhsa_system_sgpr_workgroup_id_z 0
		.amdhsa_system_sgpr_workgroup_info 0
		.amdhsa_system_vgpr_workitem_id 0
		.amdhsa_next_free_vgpr 32
		.amdhsa_next_free_sgpr 29
		.amdhsa_accum_offset 32
		.amdhsa_reserve_vcc 1
		.amdhsa_reserve_flat_scratch 0
		.amdhsa_float_round_mode_32 0
		.amdhsa_float_round_mode_16_64 0
		.amdhsa_float_denorm_mode_32 3
		.amdhsa_float_denorm_mode_16_64 3
		.amdhsa_dx10_clamp 1
		.amdhsa_ieee_mode 1
		.amdhsa_fp16_overflow 0
		.amdhsa_tg_split 0
		.amdhsa_exception_fp_ieee_invalid_op 0
		.amdhsa_exception_fp_denorm_src 0
		.amdhsa_exception_fp_ieee_div_zero 0
		.amdhsa_exception_fp_ieee_overflow 0
		.amdhsa_exception_fp_ieee_underflow 0
		.amdhsa_exception_fp_ieee_inexact 0
		.amdhsa_exception_int_div_zero 0
	.end_amdhsa_kernel
	.section	.text._ZN5aiter19grouped_topk_kernelIN3c108BFloat16EDv4_fLi2ELb1ELb0ELb0EEEvPT_PKS4_PfPimiiiif,"axG",@progbits,_ZN5aiter19grouped_topk_kernelIN3c108BFloat16EDv4_fLi2ELb1ELb0ELb0EEEvPT_PKS4_PfPimiiiif,comdat
.Lfunc_end60:
	.size	_ZN5aiter19grouped_topk_kernelIN3c108BFloat16EDv4_fLi2ELb1ELb0ELb0EEEvPT_PKS4_PfPimiiiif, .Lfunc_end60-_ZN5aiter19grouped_topk_kernelIN3c108BFloat16EDv4_fLi2ELb1ELb0ELb0EEEvPT_PKS4_PfPimiiiif
                                        ; -- End function
	.section	.AMDGPU.csdata,"",@progbits
; Kernel info:
; codeLenInByte = 2288
; NumSgprs: 33
; NumVgprs: 32
; NumAgprs: 0
; TotalNumVgprs: 32
; ScratchSize: 0
; MemoryBound: 0
; FloatMode: 240
; IeeeMode: 1
; LDSByteSize: 0 bytes/workgroup (compile time only)
; SGPRBlocks: 4
; VGPRBlocks: 3
; NumSGPRsForWavesPerEU: 33
; NumVGPRsForWavesPerEU: 32
; AccumOffset: 32
; Occupancy: 8
; WaveLimiterHint : 0
; COMPUTE_PGM_RSRC2:SCRATCH_EN: 0
; COMPUTE_PGM_RSRC2:USER_SGPR: 6
; COMPUTE_PGM_RSRC2:TRAP_HANDLER: 0
; COMPUTE_PGM_RSRC2:TGID_X_EN: 1
; COMPUTE_PGM_RSRC2:TGID_Y_EN: 0
; COMPUTE_PGM_RSRC2:TGID_Z_EN: 0
; COMPUTE_PGM_RSRC2:TIDIG_COMP_CNT: 0
; COMPUTE_PGM_RSRC3_GFX90A:ACCUM_OFFSET: 7
; COMPUTE_PGM_RSRC3_GFX90A:TG_SPLIT: 0
	.section	.text._ZN5aiter28grouped_topk_opt_sort_kernelIfDv4_fLi2ELb0ELb1ELb0EEEvPT_PKS2_PfPimiiiif,"axG",@progbits,_ZN5aiter28grouped_topk_opt_sort_kernelIfDv4_fLi2ELb0ELb1ELb0EEEvPT_PKS2_PfPimiiiif,comdat
	.protected	_ZN5aiter28grouped_topk_opt_sort_kernelIfDv4_fLi2ELb0ELb1ELb0EEEvPT_PKS2_PfPimiiiif ; -- Begin function _ZN5aiter28grouped_topk_opt_sort_kernelIfDv4_fLi2ELb0ELb1ELb0EEEvPT_PKS2_PfPimiiiif
	.globl	_ZN5aiter28grouped_topk_opt_sort_kernelIfDv4_fLi2ELb0ELb1ELb0EEEvPT_PKS2_PfPimiiiif
	.p2align	8
	.type	_ZN5aiter28grouped_topk_opt_sort_kernelIfDv4_fLi2ELb0ELb1ELb0EEEvPT_PKS2_PfPimiiiif,@function
_ZN5aiter28grouped_topk_opt_sort_kernelIfDv4_fLi2ELb0ELb1ELb0EEEvPT_PKS2_PfPimiiiif: ; @_ZN5aiter28grouped_topk_opt_sort_kernelIfDv4_fLi2ELb0ELb1ELb0EEEvPT_PKS2_PfPimiiiif
; %bb.0:
	s_load_dword s7, s[4:5], 0x28
	s_load_dwordx4 s[0:3], s[4:5], 0x0
	s_load_dword s8, s[4:5], 0x30
	v_lshlrev_b32_e32 v1, 4, v0
	v_mbcnt_lo_u32_b32 v10, -1, 0
	s_waitcnt lgkmcnt(0)
	s_mul_i32 s4, s6, s7
	s_ashr_i32 s5, s4, 31
	s_lshl_b64 s[4:5], s[4:5], 2
	s_add_u32 s0, s0, s4
	s_addc_u32 s1, s1, s5
	global_load_dwordx4 v[6:9], v1, s[0:1]
	global_load_dwordx4 v[2:5], v1, s[2:3]
	v_mbcnt_hi_u32_b32 v10, -1, v10
	v_lshlrev_b32_e32 v11, 5, v0
	v_and_b32_e32 v18, 64, v10
	s_mov_b32 s0, 0x652b82fe
	v_and_or_b32 v10, v11, 32, v18
	s_mov_b32 s1, 0xbff71547
	v_lshlrev_b32_e32 v19, 2, v10
	s_mov_b32 s4, 0xc2fc0000
	v_mov_b32_e32 v14, 0x42800000
	v_mov_b32_e32 v15, 0x1f800000
	;; [unrolled: 1-line block ×3, first 2 shown]
	s_mov_b32 s6, 0xff800000
	v_mov_b32_e32 v17, 0x7f800000
	v_add_u32_e32 v1, 0, v1
	s_waitcnt vmcnt(1)
	v_cvt_f64_f32_e32 v[10:11], v6
	v_cvt_f64_f32_e32 v[6:7], v7
	v_mul_f64 v[10:11], v[10:11], s[0:1]
	v_cvt_f64_f32_e32 v[12:13], v8
	v_cvt_f64_f32_e32 v[8:9], v9
	v_mul_f64 v[6:7], v[6:7], s[0:1]
	v_cvt_f32_f64_e32 v10, v[10:11]
	v_mul_f64 v[12:13], v[12:13], s[0:1]
	v_mul_f64 v[8:9], v[8:9], s[0:1]
	v_cvt_f32_f64_e32 v6, v[6:7]
	v_cmp_gt_f32_e32 vcc, s4, v10
	v_cvt_f32_f64_e32 v7, v[12:13]
	v_cvt_f32_f64_e32 v8, v[8:9]
	v_cndmask_b32_e32 v9, 0, v14, vcc
	v_cmp_gt_f32_e64 s[0:1], s4, v6
	v_cndmask_b32_e64 v11, 0, v14, s[0:1]
	v_cmp_gt_f32_e64 s[2:3], s4, v7
	v_add_f32_e32 v9, v10, v9
	v_cndmask_b32_e64 v12, 0, v14, s[2:3]
	v_cmp_gt_f32_e64 s[4:5], s4, v8
	v_add_f32_e32 v6, v6, v11
	v_exp_f32_e32 v9, v9
	v_cndmask_b32_e64 v13, 0, v14, s[4:5]
	v_add_f32_e32 v7, v7, v12
	v_exp_f32_e32 v6, v6
	v_add_f32_e32 v8, v8, v13
	v_exp_f32_e32 v7, v7
	v_cndmask_b32_e32 v10, 1.0, v15, vcc
	v_exp_f32_e32 v8, v8
	v_cndmask_b32_e64 v11, 1.0, v15, s[0:1]
	v_fma_f32 v9, v9, v10, 1.0
	v_cndmask_b32_e64 v12, 1.0, v15, s[2:3]
	v_fma_f32 v6, v6, v11, 1.0
	v_rcp_f32_e32 v9, v9
	v_cndmask_b32_e64 v13, 1.0, v15, s[4:5]
	v_fma_f32 v7, v7, v12, 1.0
	v_rcp_f32_e32 v6, v6
	v_fma_f32 v8, v8, v13, 1.0
	v_rcp_f32_e32 v7, v7
	v_rcp_f32_e32 v8, v8
	s_waitcnt vmcnt(0)
	v_add_f32_e32 v2, v2, v9
	v_add_f32_e32 v3, v3, v6
	v_cmp_o_f32_e32 vcc, v2, v2
	v_add_f32_e32 v4, v4, v7
	v_cndmask_b32_e32 v2, v16, v2, vcc
	v_cmp_o_f32_e32 vcc, v3, v3
	v_add_f32_e32 v5, v5, v8
	v_cndmask_b32_e32 v3, v16, v3, vcc
	v_cmp_o_f32_e32 vcc, v4, v4
	v_cndmask_b32_e32 v4, v16, v4, vcc
	v_cmp_o_f32_e32 vcc, v5, v5
	v_max_f32_e32 v7, v2, v2
	v_max_f32_e32 v8, v3, v3
	v_cndmask_b32_e32 v5, v16, v5, vcc
	v_med3_f32 v6, v3, v2, s6
	v_max_f32_e32 v9, v4, v4
	v_max_f32_e32 v7, v8, v7
	;; [unrolled: 1-line block ×3, first 2 shown]
	v_med3_f32 v6, v4, v7, v6
	v_max_f32_e32 v7, v9, v7
	v_med3_f32 v6, v5, v7, v6
	v_max_f32_e32 v7, v10, v7
	v_add_f32_e32 v6, v6, v7
	ds_bpermute_b32 v6, v19, v6
	v_and_b32_e32 v7, 1, v0
	v_cmp_eq_u32_e32 vcc, 0, v7
	v_cndmask_b32_e32 v7, v16, v17, vcc
	v_lshlrev_b32_e32 v8, 2, v18
	s_waitcnt lgkmcnt(0)
	v_mov_b32_dpp v9, v6 quad_perm:[1,0,3,2] row_mask:0xf bank_mask:0xf bound_ctrl:1
	v_med3_f32 v7, v6, v9, v7
	ds_bpermute_b32 v7, v8, v7 offset:12
	ds_write_b128 v1, v[2:5]
	s_waitcnt lgkmcnt(1)
	v_cmp_gt_f32_e32 vcc, v6, v7
	v_cndmask_b32_e64 v1, 0, 1, vcc
	v_cmp_eq_f32_e64 s[0:1], v6, v7
	v_cndmask_b32_e64 v2, 0, 1, s[0:1]
	v_mov_b32_dpp v1, v1 row_shr:1 row_mask:0xf bank_mask:0xf bound_ctrl:1
	v_addc_co_u32_e32 v1, vcc, 0, v1, vcc
	v_readlane_b32 s4, v1, 1
	v_mov_b32_dpp v2, v2 row_shr:1 row_mask:0xf bank_mask:0xf bound_ctrl:1
	v_mov_b32_e32 v3, s4
	v_addc_co_u32_e64 v2, vcc, v2, v3, s[0:1]
	v_cndmask_b32_e64 v1, v1, v2, s[0:1]
	v_cmp_ge_f32_e64 s[2:3], v6, v7
	v_cmp_ge_i32_e32 vcc, s8, v1
	s_and_b64 s[0:1], s[2:3], vcc
	v_cmp_gt_u32_e32 vcc, 2, v0
	s_and_b64 s[2:3], vcc, s[0:1]
	s_and_saveexec_b64 s[0:1], s[2:3]
	s_cbranch_execz .LBB61_2
; %bb.1:
	s_lshl_b32 s2, s7, 2
	s_add_i32 s2, s2, 0
	v_lshl_add_u32 v1, v1, 2, s2
	ds_write_b32 v1, v0 offset:4
.LBB61_2:
	s_or_b64 exec, exec, s[0:1]
	s_waitcnt lgkmcnt(0)
	s_barrier
	s_endpgm
	.section	.rodata,"a",@progbits
	.p2align	6, 0x0
	.amdhsa_kernel _ZN5aiter28grouped_topk_opt_sort_kernelIfDv4_fLi2ELb0ELb1ELb0EEEvPT_PKS2_PfPimiiiif
		.amdhsa_group_segment_fixed_size 0
		.amdhsa_private_segment_fixed_size 0
		.amdhsa_kernarg_size 60
		.amdhsa_user_sgpr_count 6
		.amdhsa_user_sgpr_private_segment_buffer 1
		.amdhsa_user_sgpr_dispatch_ptr 0
		.amdhsa_user_sgpr_queue_ptr 0
		.amdhsa_user_sgpr_kernarg_segment_ptr 1
		.amdhsa_user_sgpr_dispatch_id 0
		.amdhsa_user_sgpr_flat_scratch_init 0
		.amdhsa_user_sgpr_kernarg_preload_length 0
		.amdhsa_user_sgpr_kernarg_preload_offset 0
		.amdhsa_user_sgpr_private_segment_size 0
		.amdhsa_uses_dynamic_stack 0
		.amdhsa_system_sgpr_private_segment_wavefront_offset 0
		.amdhsa_system_sgpr_workgroup_id_x 1
		.amdhsa_system_sgpr_workgroup_id_y 0
		.amdhsa_system_sgpr_workgroup_id_z 0
		.amdhsa_system_sgpr_workgroup_info 0
		.amdhsa_system_vgpr_workitem_id 0
		.amdhsa_next_free_vgpr 20
		.amdhsa_next_free_sgpr 9
		.amdhsa_accum_offset 20
		.amdhsa_reserve_vcc 1
		.amdhsa_reserve_flat_scratch 0
		.amdhsa_float_round_mode_32 0
		.amdhsa_float_round_mode_16_64 0
		.amdhsa_float_denorm_mode_32 3
		.amdhsa_float_denorm_mode_16_64 3
		.amdhsa_dx10_clamp 1
		.amdhsa_ieee_mode 1
		.amdhsa_fp16_overflow 0
		.amdhsa_tg_split 0
		.amdhsa_exception_fp_ieee_invalid_op 0
		.amdhsa_exception_fp_denorm_src 0
		.amdhsa_exception_fp_ieee_div_zero 0
		.amdhsa_exception_fp_ieee_overflow 0
		.amdhsa_exception_fp_ieee_underflow 0
		.amdhsa_exception_fp_ieee_inexact 0
		.amdhsa_exception_int_div_zero 0
	.end_amdhsa_kernel
	.section	.text._ZN5aiter28grouped_topk_opt_sort_kernelIfDv4_fLi2ELb0ELb1ELb0EEEvPT_PKS2_PfPimiiiif,"axG",@progbits,_ZN5aiter28grouped_topk_opt_sort_kernelIfDv4_fLi2ELb0ELb1ELb0EEEvPT_PKS2_PfPimiiiif,comdat
.Lfunc_end61:
	.size	_ZN5aiter28grouped_topk_opt_sort_kernelIfDv4_fLi2ELb0ELb1ELb0EEEvPT_PKS2_PfPimiiiif, .Lfunc_end61-_ZN5aiter28grouped_topk_opt_sort_kernelIfDv4_fLi2ELb0ELb1ELb0EEEvPT_PKS2_PfPimiiiif
                                        ; -- End function
	.section	.AMDGPU.csdata,"",@progbits
; Kernel info:
; codeLenInByte = 724
; NumSgprs: 13
; NumVgprs: 20
; NumAgprs: 0
; TotalNumVgprs: 20
; ScratchSize: 0
; MemoryBound: 0
; FloatMode: 240
; IeeeMode: 1
; LDSByteSize: 0 bytes/workgroup (compile time only)
; SGPRBlocks: 1
; VGPRBlocks: 2
; NumSGPRsForWavesPerEU: 13
; NumVGPRsForWavesPerEU: 20
; AccumOffset: 20
; Occupancy: 8
; WaveLimiterHint : 0
; COMPUTE_PGM_RSRC2:SCRATCH_EN: 0
; COMPUTE_PGM_RSRC2:USER_SGPR: 6
; COMPUTE_PGM_RSRC2:TRAP_HANDLER: 0
; COMPUTE_PGM_RSRC2:TGID_X_EN: 1
; COMPUTE_PGM_RSRC2:TGID_Y_EN: 0
; COMPUTE_PGM_RSRC2:TGID_Z_EN: 0
; COMPUTE_PGM_RSRC2:TIDIG_COMP_CNT: 0
; COMPUTE_PGM_RSRC3_GFX90A:ACCUM_OFFSET: 4
; COMPUTE_PGM_RSRC3_GFX90A:TG_SPLIT: 0
	.section	.text._ZN5aiter28grouped_topk_opt_sort_kernelIN3c104HalfEDv4_fLi2ELb0ELb1ELb0EEEvPT_PKS4_PfPimiiiif,"axG",@progbits,_ZN5aiter28grouped_topk_opt_sort_kernelIN3c104HalfEDv4_fLi2ELb0ELb1ELb0EEEvPT_PKS4_PfPimiiiif,comdat
	.protected	_ZN5aiter28grouped_topk_opt_sort_kernelIN3c104HalfEDv4_fLi2ELb0ELb1ELb0EEEvPT_PKS4_PfPimiiiif ; -- Begin function _ZN5aiter28grouped_topk_opt_sort_kernelIN3c104HalfEDv4_fLi2ELb0ELb1ELb0EEEvPT_PKS4_PfPimiiiif
	.globl	_ZN5aiter28grouped_topk_opt_sort_kernelIN3c104HalfEDv4_fLi2ELb0ELb1ELb0EEEvPT_PKS4_PfPimiiiif
	.p2align	8
	.type	_ZN5aiter28grouped_topk_opt_sort_kernelIN3c104HalfEDv4_fLi2ELb0ELb1ELb0EEEvPT_PKS4_PfPimiiiif,@function
_ZN5aiter28grouped_topk_opt_sort_kernelIN3c104HalfEDv4_fLi2ELb0ELb1ELb0EEEvPT_PKS4_PfPimiiiif: ; @_ZN5aiter28grouped_topk_opt_sort_kernelIN3c104HalfEDv4_fLi2ELb0ELb1ELb0EEEvPT_PKS4_PfPimiiiif
; %bb.0:
	s_load_dword s7, s[4:5], 0x28
	s_load_dwordx4 s[0:3], s[4:5], 0x0
	s_load_dword s8, s[4:5], 0x30
	v_lshlrev_b32_e32 v1, 3, v0
	v_mbcnt_lo_u32_b32 v6, -1, 0
	s_waitcnt lgkmcnt(0)
	s_mul_i32 s4, s6, s7
	s_ashr_i32 s5, s4, 31
	s_lshl_b64 s[4:5], s[4:5], 1
	s_add_u32 s0, s0, s4
	s_addc_u32 s1, s1, s5
	global_load_dwordx2 v[2:3], v1, s[0:1]
	global_load_dwordx2 v[4:5], v1, s[2:3]
	v_mbcnt_hi_u32_b32 v6, -1, v6
	v_lshlrev_b32_e32 v7, 5, v0
	v_and_b32_e32 v13, 64, v6
	v_and_or_b32 v6, v7, 32, v13
	v_lshlrev_b32_e32 v14, 2, v6
	s_mov_b32 s0, 0x652b82fe
	s_mov_b32 s1, 0xbff71547
	;; [unrolled: 1-line block ×3, first 2 shown]
	v_mov_b32_e32 v1, 0x42800000
	v_mov_b32_e32 v10, 0x1f800000
	;; [unrolled: 1-line block ×3, first 2 shown]
	s_mov_b32 s6, 0xff800000
	v_mov_b32_e32 v12, 0x7f800000
	s_waitcnt vmcnt(1)
	v_cvt_f32_f16_e32 v6, v2
	v_cvt_f32_f16_sdwa v7, v2 dst_sel:DWORD dst_unused:UNUSED_PAD src0_sel:WORD_1
	v_cvt_f32_f16_e32 v8, v3
	v_cvt_f32_f16_sdwa v9, v3 dst_sel:DWORD dst_unused:UNUSED_PAD src0_sel:WORD_1
	v_cvt_f64_f32_e32 v[2:3], v6
	s_waitcnt vmcnt(0)
	v_cvt_f32_f16_e32 v15, v4
	v_cvt_f32_f16_sdwa v16, v4 dst_sel:DWORD dst_unused:UNUSED_PAD src0_sel:WORD_1
	v_cvt_f32_f16_e32 v17, v5
	v_cvt_f32_f16_sdwa v18, v5 dst_sel:DWORD dst_unused:UNUSED_PAD src0_sel:WORD_1
	v_cvt_f64_f32_e32 v[4:5], v7
	v_mul_f64 v[2:3], v[2:3], s[0:1]
	v_cvt_f64_f32_e32 v[6:7], v8
	v_mul_f64 v[4:5], v[4:5], s[0:1]
	v_cvt_f32_f64_e32 v2, v[2:3]
	v_cvt_f64_f32_e32 v[8:9], v9
	v_mul_f64 v[6:7], v[6:7], s[0:1]
	v_cvt_f32_f64_e32 v3, v[4:5]
	v_cmp_gt_f32_e32 vcc, s4, v2
	v_mul_f64 v[8:9], v[8:9], s[0:1]
	v_cvt_f32_f64_e32 v4, v[6:7]
	v_cndmask_b32_e32 v6, 0, v1, vcc
	v_cmp_gt_f32_e64 s[0:1], s4, v3
	v_cvt_f32_f64_e32 v5, v[8:9]
	v_cndmask_b32_e64 v7, 0, v1, s[0:1]
	v_cmp_gt_f32_e64 s[2:3], s4, v4
	v_add_f32_e32 v2, v2, v6
	v_cndmask_b32_e64 v8, 0, v1, s[2:3]
	v_cmp_gt_f32_e64 s[4:5], s4, v5
	v_add_f32_e32 v3, v3, v7
	v_exp_f32_e32 v2, v2
	v_cndmask_b32_e64 v1, 0, v1, s[4:5]
	v_add_f32_e32 v4, v4, v8
	v_exp_f32_e32 v3, v3
	v_add_f32_e32 v1, v5, v1
	v_exp_f32_e32 v4, v4
	v_cndmask_b32_e32 v6, 1.0, v10, vcc
	v_exp_f32_e32 v1, v1
	v_cndmask_b32_e64 v7, 1.0, v10, s[0:1]
	v_fma_f32 v2, v2, v6, 1.0
	v_cndmask_b32_e64 v8, 1.0, v10, s[2:3]
	v_fma_f32 v3, v3, v7, 1.0
	v_rcp_f32_e32 v2, v2
	v_cndmask_b32_e64 v5, 1.0, v10, s[4:5]
	v_fma_f32 v4, v4, v8, 1.0
	v_rcp_f32_e32 v3, v3
	v_fma_f32 v1, v1, v5, 1.0
	v_rcp_f32_e32 v4, v4
	v_rcp_f32_e32 v1, v1
	v_add_f32_e32 v2, v2, v15
	v_add_f32_e32 v3, v3, v16
	v_cmp_o_f32_e32 vcc, v2, v2
	v_add_f32_e32 v4, v4, v17
	v_cndmask_b32_e32 v2, v11, v2, vcc
	v_cmp_o_f32_e32 vcc, v3, v3
	v_add_f32_e32 v1, v1, v18
	v_cndmask_b32_e32 v3, v11, v3, vcc
	v_cmp_o_f32_e32 vcc, v4, v4
	v_cndmask_b32_e32 v4, v11, v4, vcc
	v_cmp_o_f32_e32 vcc, v1, v1
	v_max_f32_e32 v6, v2, v2
	v_max_f32_e32 v7, v3, v3
	v_cndmask_b32_e32 v5, v11, v1, vcc
	v_med3_f32 v1, v3, v2, s6
	v_max_f32_e32 v8, v4, v4
	v_max_f32_e32 v6, v7, v6
	v_max_f32_e32 v9, v5, v5
	v_med3_f32 v1, v4, v6, v1
	v_max_f32_e32 v6, v8, v6
	v_med3_f32 v1, v5, v6, v1
	v_max_f32_e32 v6, v9, v6
	v_add_f32_e32 v1, v1, v6
	ds_bpermute_b32 v1, v14, v1
	v_and_b32_e32 v6, 1, v0
	v_cmp_eq_u32_e32 vcc, 0, v6
	v_cndmask_b32_e32 v6, v11, v12, vcc
	v_lshlrev_b32_e32 v7, 2, v13
	s_waitcnt lgkmcnt(0)
	v_mov_b32_dpp v8, v1 quad_perm:[1,0,3,2] row_mask:0xf bank_mask:0xf bound_ctrl:1
	v_med3_f32 v6, v1, v8, v6
	ds_bpermute_b32 v6, v7, v6 offset:12
	v_lshl_add_u32 v7, v0, 4, 0
	ds_write_b128 v7, v[2:5]
	s_waitcnt lgkmcnt(1)
	v_cmp_gt_f32_e32 vcc, v1, v6
	v_cndmask_b32_e64 v2, 0, 1, vcc
	v_cmp_eq_f32_e64 s[0:1], v1, v6
	v_cmp_ge_f32_e64 s[2:3], v1, v6
	v_mov_b32_dpp v1, v2 row_shr:1 row_mask:0xf bank_mask:0xf bound_ctrl:1
	v_addc_co_u32_e32 v1, vcc, 0, v1, vcc
	v_cndmask_b32_e64 v3, 0, 1, s[0:1]
	v_readlane_b32 s4, v1, 1
	s_nop 0
	v_mov_b32_dpp v2, v3 row_shr:1 row_mask:0xf bank_mask:0xf bound_ctrl:1
	v_mov_b32_e32 v3, s4
	v_addc_co_u32_e64 v2, vcc, v2, v3, s[0:1]
	v_cndmask_b32_e64 v1, v1, v2, s[0:1]
	v_cmp_ge_i32_e32 vcc, s8, v1
	s_and_b64 s[0:1], s[2:3], vcc
	v_cmp_gt_u32_e32 vcc, 2, v0
	s_and_b64 s[2:3], vcc, s[0:1]
	s_and_saveexec_b64 s[0:1], s[2:3]
	s_cbranch_execz .LBB62_2
; %bb.1:
	s_lshl_b32 s2, s7, 2
	s_add_i32 s2, s2, 0
	v_lshl_add_u32 v1, v1, 2, s2
	ds_write_b32 v1, v0 offset:4
.LBB62_2:
	s_or_b64 exec, exec, s[0:1]
	s_waitcnt lgkmcnt(0)
	s_barrier
	s_endpgm
	.section	.rodata,"a",@progbits
	.p2align	6, 0x0
	.amdhsa_kernel _ZN5aiter28grouped_topk_opt_sort_kernelIN3c104HalfEDv4_fLi2ELb0ELb1ELb0EEEvPT_PKS4_PfPimiiiif
		.amdhsa_group_segment_fixed_size 0
		.amdhsa_private_segment_fixed_size 0
		.amdhsa_kernarg_size 60
		.amdhsa_user_sgpr_count 6
		.amdhsa_user_sgpr_private_segment_buffer 1
		.amdhsa_user_sgpr_dispatch_ptr 0
		.amdhsa_user_sgpr_queue_ptr 0
		.amdhsa_user_sgpr_kernarg_segment_ptr 1
		.amdhsa_user_sgpr_dispatch_id 0
		.amdhsa_user_sgpr_flat_scratch_init 0
		.amdhsa_user_sgpr_kernarg_preload_length 0
		.amdhsa_user_sgpr_kernarg_preload_offset 0
		.amdhsa_user_sgpr_private_segment_size 0
		.amdhsa_uses_dynamic_stack 0
		.amdhsa_system_sgpr_private_segment_wavefront_offset 0
		.amdhsa_system_sgpr_workgroup_id_x 1
		.amdhsa_system_sgpr_workgroup_id_y 0
		.amdhsa_system_sgpr_workgroup_id_z 0
		.amdhsa_system_sgpr_workgroup_info 0
		.amdhsa_system_vgpr_workitem_id 0
		.amdhsa_next_free_vgpr 19
		.amdhsa_next_free_sgpr 9
		.amdhsa_accum_offset 20
		.amdhsa_reserve_vcc 1
		.amdhsa_reserve_flat_scratch 0
		.amdhsa_float_round_mode_32 0
		.amdhsa_float_round_mode_16_64 0
		.amdhsa_float_denorm_mode_32 3
		.amdhsa_float_denorm_mode_16_64 3
		.amdhsa_dx10_clamp 1
		.amdhsa_ieee_mode 1
		.amdhsa_fp16_overflow 0
		.amdhsa_tg_split 0
		.amdhsa_exception_fp_ieee_invalid_op 0
		.amdhsa_exception_fp_denorm_src 0
		.amdhsa_exception_fp_ieee_div_zero 0
		.amdhsa_exception_fp_ieee_overflow 0
		.amdhsa_exception_fp_ieee_underflow 0
		.amdhsa_exception_fp_ieee_inexact 0
		.amdhsa_exception_int_div_zero 0
	.end_amdhsa_kernel
	.section	.text._ZN5aiter28grouped_topk_opt_sort_kernelIN3c104HalfEDv4_fLi2ELb0ELb1ELb0EEEvPT_PKS4_PfPimiiiif,"axG",@progbits,_ZN5aiter28grouped_topk_opt_sort_kernelIN3c104HalfEDv4_fLi2ELb0ELb1ELb0EEEvPT_PKS4_PfPimiiiif,comdat
.Lfunc_end62:
	.size	_ZN5aiter28grouped_topk_opt_sort_kernelIN3c104HalfEDv4_fLi2ELb0ELb1ELb0EEEvPT_PKS4_PfPimiiiif, .Lfunc_end62-_ZN5aiter28grouped_topk_opt_sort_kernelIN3c104HalfEDv4_fLi2ELb0ELb1ELb0EEEvPT_PKS4_PfPimiiiif
                                        ; -- End function
	.section	.AMDGPU.csdata,"",@progbits
; Kernel info:
; codeLenInByte = 780
; NumSgprs: 13
; NumVgprs: 19
; NumAgprs: 0
; TotalNumVgprs: 19
; ScratchSize: 0
; MemoryBound: 0
; FloatMode: 240
; IeeeMode: 1
; LDSByteSize: 0 bytes/workgroup (compile time only)
; SGPRBlocks: 1
; VGPRBlocks: 2
; NumSGPRsForWavesPerEU: 13
; NumVGPRsForWavesPerEU: 19
; AccumOffset: 20
; Occupancy: 8
; WaveLimiterHint : 0
; COMPUTE_PGM_RSRC2:SCRATCH_EN: 0
; COMPUTE_PGM_RSRC2:USER_SGPR: 6
; COMPUTE_PGM_RSRC2:TRAP_HANDLER: 0
; COMPUTE_PGM_RSRC2:TGID_X_EN: 1
; COMPUTE_PGM_RSRC2:TGID_Y_EN: 0
; COMPUTE_PGM_RSRC2:TGID_Z_EN: 0
; COMPUTE_PGM_RSRC2:TIDIG_COMP_CNT: 0
; COMPUTE_PGM_RSRC3_GFX90A:ACCUM_OFFSET: 4
; COMPUTE_PGM_RSRC3_GFX90A:TG_SPLIT: 0
	.section	.text._ZN5aiter28grouped_topk_opt_sort_kernelIN3c108BFloat16EDv4_fLi2ELb0ELb1ELb0EEEvPT_PKS4_PfPimiiiif,"axG",@progbits,_ZN5aiter28grouped_topk_opt_sort_kernelIN3c108BFloat16EDv4_fLi2ELb0ELb1ELb0EEEvPT_PKS4_PfPimiiiif,comdat
	.protected	_ZN5aiter28grouped_topk_opt_sort_kernelIN3c108BFloat16EDv4_fLi2ELb0ELb1ELb0EEEvPT_PKS4_PfPimiiiif ; -- Begin function _ZN5aiter28grouped_topk_opt_sort_kernelIN3c108BFloat16EDv4_fLi2ELb0ELb1ELb0EEEvPT_PKS4_PfPimiiiif
	.globl	_ZN5aiter28grouped_topk_opt_sort_kernelIN3c108BFloat16EDv4_fLi2ELb0ELb1ELb0EEEvPT_PKS4_PfPimiiiif
	.p2align	8
	.type	_ZN5aiter28grouped_topk_opt_sort_kernelIN3c108BFloat16EDv4_fLi2ELb0ELb1ELb0EEEvPT_PKS4_PfPimiiiif,@function
_ZN5aiter28grouped_topk_opt_sort_kernelIN3c108BFloat16EDv4_fLi2ELb0ELb1ELb0EEEvPT_PKS4_PfPimiiiif: ; @_ZN5aiter28grouped_topk_opt_sort_kernelIN3c108BFloat16EDv4_fLi2ELb0ELb1ELb0EEEvPT_PKS4_PfPimiiiif
; %bb.0:
	s_load_dword s7, s[4:5], 0x28
	s_load_dwordx4 s[0:3], s[4:5], 0x0
	s_load_dword s8, s[4:5], 0x30
	v_lshlrev_b32_e32 v1, 3, v0
	v_mbcnt_lo_u32_b32 v6, -1, 0
	s_waitcnt lgkmcnt(0)
	s_mul_i32 s4, s6, s7
	s_ashr_i32 s5, s4, 31
	s_lshl_b64 s[4:5], s[4:5], 1
	s_add_u32 s0, s0, s4
	s_addc_u32 s1, s1, s5
	global_load_dwordx2 v[2:3], v1, s[0:1]
	global_load_dwordx2 v[4:5], v1, s[2:3]
	v_mbcnt_hi_u32_b32 v6, -1, v6
	v_lshlrev_b32_e32 v7, 5, v0
	v_and_b32_e32 v13, 64, v6
	v_and_or_b32 v6, v7, 32, v13
	s_mov_b32 s0, 0x652b82fe
	v_lshlrev_b32_e32 v14, 2, v6
	s_mov_b32 s1, 0xbff71547
	s_mov_b32 s4, 0xc2fc0000
	v_mov_b32_e32 v1, 0x42800000
	v_mov_b32_e32 v10, 0x1f800000
	;; [unrolled: 1-line block ×3, first 2 shown]
	s_mov_b32 s6, 0xff800000
	v_mov_b32_e32 v12, 0x7f800000
	s_waitcnt vmcnt(1)
	v_and_b32_e32 v6, 0xffff, v2
	v_lshrrev_b32_e32 v7, 16, v2
	v_and_b32_e32 v8, 0xffff, v3
	v_lshrrev_b32_e32 v9, 16, v3
	v_cvt_f64_u32_e32 v[2:3], v6
	s_waitcnt vmcnt(0)
	v_cvt_f32_u32_sdwa v15, v4 dst_sel:DWORD dst_unused:UNUSED_PAD src0_sel:WORD_0
	v_cvt_f32_u32_sdwa v16, v4 dst_sel:DWORD dst_unused:UNUSED_PAD src0_sel:WORD_1
	v_cvt_f32_u32_sdwa v17, v5 dst_sel:DWORD dst_unused:UNUSED_PAD src0_sel:WORD_0
	v_cvt_f32_u32_sdwa v18, v5 dst_sel:DWORD dst_unused:UNUSED_PAD src0_sel:WORD_1
	v_cvt_f64_u32_e32 v[4:5], v7
	v_mul_f64 v[2:3], v[2:3], s[0:1]
	v_cvt_f64_u32_e32 v[6:7], v8
	v_mul_f64 v[4:5], v[4:5], s[0:1]
	v_cvt_f32_f64_e32 v2, v[2:3]
	v_cvt_f64_u32_e32 v[8:9], v9
	v_mul_f64 v[6:7], v[6:7], s[0:1]
	v_cvt_f32_f64_e32 v3, v[4:5]
	v_cmp_gt_f32_e32 vcc, s4, v2
	v_mul_f64 v[8:9], v[8:9], s[0:1]
	v_cvt_f32_f64_e32 v4, v[6:7]
	v_cndmask_b32_e32 v6, 0, v1, vcc
	v_cmp_gt_f32_e64 s[0:1], s4, v3
	v_cvt_f32_f64_e32 v5, v[8:9]
	v_cndmask_b32_e64 v7, 0, v1, s[0:1]
	v_cmp_gt_f32_e64 s[2:3], s4, v4
	v_add_f32_e32 v2, v2, v6
	v_cndmask_b32_e64 v8, 0, v1, s[2:3]
	v_cmp_gt_f32_e64 s[4:5], s4, v5
	v_add_f32_e32 v3, v3, v7
	v_exp_f32_e32 v2, v2
	v_cndmask_b32_e64 v1, 0, v1, s[4:5]
	v_add_f32_e32 v4, v4, v8
	v_exp_f32_e32 v3, v3
	v_add_f32_e32 v1, v5, v1
	v_exp_f32_e32 v4, v4
	v_cndmask_b32_e32 v6, 1.0, v10, vcc
	v_exp_f32_e32 v1, v1
	v_cndmask_b32_e64 v7, 1.0, v10, s[0:1]
	v_fma_f32 v2, v2, v6, 1.0
	v_cndmask_b32_e64 v8, 1.0, v10, s[2:3]
	v_fma_f32 v3, v3, v7, 1.0
	v_rcp_f32_e32 v2, v2
	v_cndmask_b32_e64 v5, 1.0, v10, s[4:5]
	v_fma_f32 v4, v4, v8, 1.0
	v_rcp_f32_e32 v3, v3
	v_fma_f32 v1, v1, v5, 1.0
	v_rcp_f32_e32 v4, v4
	v_rcp_f32_e32 v1, v1
	v_add_f32_e32 v2, v2, v15
	v_add_f32_e32 v3, v3, v16
	v_cmp_o_f32_e32 vcc, v2, v2
	v_add_f32_e32 v4, v4, v17
	v_cndmask_b32_e32 v2, v11, v2, vcc
	v_cmp_o_f32_e32 vcc, v3, v3
	v_add_f32_e32 v1, v1, v18
	v_cndmask_b32_e32 v3, v11, v3, vcc
	v_cmp_o_f32_e32 vcc, v4, v4
	v_cndmask_b32_e32 v4, v11, v4, vcc
	v_cmp_o_f32_e32 vcc, v1, v1
	v_max_f32_e32 v6, v2, v2
	v_max_f32_e32 v7, v3, v3
	v_cndmask_b32_e32 v5, v11, v1, vcc
	v_med3_f32 v1, v3, v2, s6
	v_max_f32_e32 v8, v4, v4
	v_max_f32_e32 v6, v7, v6
	;; [unrolled: 1-line block ×3, first 2 shown]
	v_med3_f32 v1, v4, v6, v1
	v_max_f32_e32 v6, v8, v6
	v_med3_f32 v1, v5, v6, v1
	v_max_f32_e32 v6, v9, v6
	v_add_f32_e32 v1, v1, v6
	ds_bpermute_b32 v1, v14, v1
	v_and_b32_e32 v6, 1, v0
	v_cmp_eq_u32_e32 vcc, 0, v6
	v_cndmask_b32_e32 v6, v11, v12, vcc
	v_lshlrev_b32_e32 v7, 2, v13
	s_waitcnt lgkmcnt(0)
	v_mov_b32_dpp v8, v1 quad_perm:[1,0,3,2] row_mask:0xf bank_mask:0xf bound_ctrl:1
	v_med3_f32 v6, v1, v8, v6
	ds_bpermute_b32 v6, v7, v6 offset:12
	v_lshl_add_u32 v7, v0, 4, 0
	ds_write_b128 v7, v[2:5]
	s_waitcnt lgkmcnt(1)
	v_cmp_gt_f32_e32 vcc, v1, v6
	v_cndmask_b32_e64 v2, 0, 1, vcc
	v_cmp_eq_f32_e64 s[0:1], v1, v6
	v_cmp_ge_f32_e64 s[2:3], v1, v6
	v_mov_b32_dpp v1, v2 row_shr:1 row_mask:0xf bank_mask:0xf bound_ctrl:1
	v_addc_co_u32_e32 v1, vcc, 0, v1, vcc
	v_cndmask_b32_e64 v3, 0, 1, s[0:1]
	v_readlane_b32 s4, v1, 1
	s_nop 0
	v_mov_b32_dpp v2, v3 row_shr:1 row_mask:0xf bank_mask:0xf bound_ctrl:1
	v_mov_b32_e32 v3, s4
	v_addc_co_u32_e64 v2, vcc, v2, v3, s[0:1]
	v_cndmask_b32_e64 v1, v1, v2, s[0:1]
	v_cmp_ge_i32_e32 vcc, s8, v1
	s_and_b64 s[0:1], s[2:3], vcc
	v_cmp_gt_u32_e32 vcc, 2, v0
	s_and_b64 s[2:3], vcc, s[0:1]
	s_and_saveexec_b64 s[0:1], s[2:3]
	s_cbranch_execz .LBB63_2
; %bb.1:
	s_lshl_b32 s2, s7, 2
	s_add_i32 s2, s2, 0
	v_lshl_add_u32 v1, v1, 2, s2
	ds_write_b32 v1, v0 offset:4
.LBB63_2:
	s_or_b64 exec, exec, s[0:1]
	s_waitcnt lgkmcnt(0)
	s_barrier
	s_endpgm
	.section	.rodata,"a",@progbits
	.p2align	6, 0x0
	.amdhsa_kernel _ZN5aiter28grouped_topk_opt_sort_kernelIN3c108BFloat16EDv4_fLi2ELb0ELb1ELb0EEEvPT_PKS4_PfPimiiiif
		.amdhsa_group_segment_fixed_size 0
		.amdhsa_private_segment_fixed_size 0
		.amdhsa_kernarg_size 60
		.amdhsa_user_sgpr_count 6
		.amdhsa_user_sgpr_private_segment_buffer 1
		.amdhsa_user_sgpr_dispatch_ptr 0
		.amdhsa_user_sgpr_queue_ptr 0
		.amdhsa_user_sgpr_kernarg_segment_ptr 1
		.amdhsa_user_sgpr_dispatch_id 0
		.amdhsa_user_sgpr_flat_scratch_init 0
		.amdhsa_user_sgpr_kernarg_preload_length 0
		.amdhsa_user_sgpr_kernarg_preload_offset 0
		.amdhsa_user_sgpr_private_segment_size 0
		.amdhsa_uses_dynamic_stack 0
		.amdhsa_system_sgpr_private_segment_wavefront_offset 0
		.amdhsa_system_sgpr_workgroup_id_x 1
		.amdhsa_system_sgpr_workgroup_id_y 0
		.amdhsa_system_sgpr_workgroup_id_z 0
		.amdhsa_system_sgpr_workgroup_info 0
		.amdhsa_system_vgpr_workitem_id 0
		.amdhsa_next_free_vgpr 19
		.amdhsa_next_free_sgpr 9
		.amdhsa_accum_offset 20
		.amdhsa_reserve_vcc 1
		.amdhsa_reserve_flat_scratch 0
		.amdhsa_float_round_mode_32 0
		.amdhsa_float_round_mode_16_64 0
		.amdhsa_float_denorm_mode_32 3
		.amdhsa_float_denorm_mode_16_64 3
		.amdhsa_dx10_clamp 1
		.amdhsa_ieee_mode 1
		.amdhsa_fp16_overflow 0
		.amdhsa_tg_split 0
		.amdhsa_exception_fp_ieee_invalid_op 0
		.amdhsa_exception_fp_denorm_src 0
		.amdhsa_exception_fp_ieee_div_zero 0
		.amdhsa_exception_fp_ieee_overflow 0
		.amdhsa_exception_fp_ieee_underflow 0
		.amdhsa_exception_fp_ieee_inexact 0
		.amdhsa_exception_int_div_zero 0
	.end_amdhsa_kernel
	.section	.text._ZN5aiter28grouped_topk_opt_sort_kernelIN3c108BFloat16EDv4_fLi2ELb0ELb1ELb0EEEvPT_PKS4_PfPimiiiif,"axG",@progbits,_ZN5aiter28grouped_topk_opt_sort_kernelIN3c108BFloat16EDv4_fLi2ELb0ELb1ELb0EEEvPT_PKS4_PfPimiiiif,comdat
.Lfunc_end63:
	.size	_ZN5aiter28grouped_topk_opt_sort_kernelIN3c108BFloat16EDv4_fLi2ELb0ELb1ELb0EEEvPT_PKS4_PfPimiiiif, .Lfunc_end63-_ZN5aiter28grouped_topk_opt_sort_kernelIN3c108BFloat16EDv4_fLi2ELb0ELb1ELb0EEEvPT_PKS4_PfPimiiiif
                                        ; -- End function
	.section	.AMDGPU.csdata,"",@progbits
; Kernel info:
; codeLenInByte = 788
; NumSgprs: 13
; NumVgprs: 19
; NumAgprs: 0
; TotalNumVgprs: 19
; ScratchSize: 0
; MemoryBound: 0
; FloatMode: 240
; IeeeMode: 1
; LDSByteSize: 0 bytes/workgroup (compile time only)
; SGPRBlocks: 1
; VGPRBlocks: 2
; NumSGPRsForWavesPerEU: 13
; NumVGPRsForWavesPerEU: 19
; AccumOffset: 20
; Occupancy: 8
; WaveLimiterHint : 0
; COMPUTE_PGM_RSRC2:SCRATCH_EN: 0
; COMPUTE_PGM_RSRC2:USER_SGPR: 6
; COMPUTE_PGM_RSRC2:TRAP_HANDLER: 0
; COMPUTE_PGM_RSRC2:TGID_X_EN: 1
; COMPUTE_PGM_RSRC2:TGID_Y_EN: 0
; COMPUTE_PGM_RSRC2:TGID_Z_EN: 0
; COMPUTE_PGM_RSRC2:TIDIG_COMP_CNT: 0
; COMPUTE_PGM_RSRC3_GFX90A:ACCUM_OFFSET: 4
; COMPUTE_PGM_RSRC3_GFX90A:TG_SPLIT: 0
	.section	.text._ZN5aiter19grouped_topk_kernelIfDv4_fLi2ELb0ELb1ELb0EEEvPT_PKS2_PfPimiiiif,"axG",@progbits,_ZN5aiter19grouped_topk_kernelIfDv4_fLi2ELb0ELb1ELb0EEEvPT_PKS2_PfPimiiiif,comdat
	.protected	_ZN5aiter19grouped_topk_kernelIfDv4_fLi2ELb0ELb1ELb0EEEvPT_PKS2_PfPimiiiif ; -- Begin function _ZN5aiter19grouped_topk_kernelIfDv4_fLi2ELb0ELb1ELb0EEEvPT_PKS2_PfPimiiiif
	.globl	_ZN5aiter19grouped_topk_kernelIfDv4_fLi2ELb0ELb1ELb0EEEvPT_PKS2_PfPimiiiif
	.p2align	8
	.type	_ZN5aiter19grouped_topk_kernelIfDv4_fLi2ELb0ELb1ELb0EEEvPT_PKS2_PfPimiiiif,@function
_ZN5aiter19grouped_topk_kernelIfDv4_fLi2ELb0ELb1ELb0EEEvPT_PKS2_PfPimiiiif: ; @_ZN5aiter19grouped_topk_kernelIfDv4_fLi2ELb0ELb1ELb0EEEvPT_PKS2_PfPimiiiif
; %bb.0:
	s_load_dwordx4 s[12:15], s[4:5], 0x28
	s_load_dwordx4 s[16:19], s[4:5], 0x8
	s_load_dwordx2 s[20:21], s[4:5], 0x18
	s_waitcnt lgkmcnt(0)
	s_ashr_i32 s15, s12, 31
	s_lshr_b32 s0, s15, 30
	s_add_i32 s0, s12, s0
	s_ashr_i32 s7, s0, 2
	v_cmp_gt_i32_e64 s[0:1], s7, v0
	s_and_saveexec_b64 s[22:23], s[0:1]
	s_cbranch_execz .LBB64_3
; %bb.1:
	s_load_dwordx2 s[2:3], s[4:5], 0x0
	s_load_dword s10, s[4:5], 0x4c
	s_mul_i32 s8, s6, s12
	s_ashr_i32 s9, s8, 31
	s_lshl_b64 s[8:9], s[8:9], 2
	s_waitcnt lgkmcnt(0)
	s_add_u32 s26, s2, s8
	s_addc_u32 s2, s3, s9
	s_and_b32 s27, s10, 0xffff
	s_mov_b32 s3, 0
	v_lshlrev_b32_e32 v2, 4, v0
	v_mov_b32_e32 v1, 0
	s_lshl_b32 s28, s27, 4
	v_add_u32_e32 v3, 0, v2
	s_mov_b64 s[24:25], 0
	v_mov_b32_e32 v8, s2
	v_mov_b32_e32 v9, s17
	s_mov_b32 s29, 0xbfb8aa3b
	s_mov_b32 s30, 0x42ce8ed0
	;; [unrolled: 1-line block ×3, first 2 shown]
	v_mov_b32_e32 v10, 0x7f800000
	v_mov_b32_e32 v11, s3
	;; [unrolled: 1-line block ×3, first 2 shown]
.LBB64_2:                               ; =>This Inner Loop Header: Depth=1
	v_add_co_u32_e32 v4, vcc, s26, v2
	v_addc_co_u32_e32 v5, vcc, v8, v1, vcc
	v_add_co_u32_e32 v6, vcc, s16, v2
	v_addc_co_u32_e32 v7, vcc, v9, v1, vcc
	global_load_dwordx4 v[14:17], v[4:5], off
	global_load_dwordx4 v[18:21], v[6:7], off
	v_add_co_u32_e32 v2, vcc, s28, v2
	v_add_u32_e32 v12, s27, v12
	v_addc_co_u32_e32 v1, vcc, v1, v11, vcc
	v_cmp_le_i32_e32 vcc, s7, v12
	s_or_b64 s[24:25], vcc, s[24:25]
	s_waitcnt vmcnt(1)
	v_mul_f32_e32 v4, 0xbfb8aa3b, v15
	v_mul_f32_e32 v5, 0xbfb8aa3b, v14
	v_fma_f32 v13, v15, s29, -v4
	v_rndne_f32_e32 v22, v4
	v_fma_f32 v23, v14, s29, -v5
	v_rndne_f32_e32 v24, v5
	v_mul_f32_e32 v6, 0xbfb8aa3b, v17
	v_mul_f32_e32 v7, 0xbfb8aa3b, v16
	v_fmac_f32_e32 v13, 0xb2a5705f, v15
	v_sub_f32_e32 v4, v4, v22
	v_fmac_f32_e32 v23, 0xb2a5705f, v14
	v_sub_f32_e32 v5, v5, v24
	v_fma_f32 v25, v17, s29, -v6
	v_rndne_f32_e32 v26, v6
	v_fma_f32 v27, v16, s29, -v7
	v_rndne_f32_e32 v28, v7
	v_add_f32_e32 v4, v4, v13
	v_add_f32_e32 v5, v5, v23
	v_cvt_i32_f32_e32 v22, v22
	v_cvt_i32_f32_e32 v24, v24
	v_fmac_f32_e32 v25, 0xb2a5705f, v17
	v_sub_f32_e32 v6, v6, v26
	v_fmac_f32_e32 v27, 0xb2a5705f, v16
	v_sub_f32_e32 v7, v7, v28
	v_exp_f32_e32 v4, v4
	v_exp_f32_e32 v5, v5
	v_add_f32_e32 v6, v6, v25
	v_add_f32_e32 v7, v7, v27
	v_cvt_i32_f32_e32 v26, v26
	v_cvt_i32_f32_e32 v28, v28
	v_exp_f32_e32 v6, v6
	v_exp_f32_e32 v7, v7
	v_ldexp_f32 v4, v4, v22
	v_ldexp_f32 v5, v5, v24
	v_cmp_nlt_f32_e32 vcc, s30, v14
	v_cmp_nlt_f32_e64 s[10:11], s30, v15
	v_cndmask_b32_e64 v4, 0, v4, s[10:11]
	v_cndmask_b32_e32 v13, 0, v5, vcc
	v_cmp_ngt_f32_e32 vcc, s31, v14
	v_cmp_ngt_f32_e64 s[10:11], s31, v15
	v_ldexp_f32 v6, v6, v26
	v_cmp_nlt_f32_e64 s[2:3], s30, v17
	v_ldexp_f32 v7, v7, v28
	v_cmp_nlt_f32_e64 s[8:9], s30, v16
	v_cndmask_b32_e64 v5, v10, v4, s[10:11]
	v_cndmask_b32_e32 v4, v10, v13, vcc
	v_cndmask_b32_e64 v6, 0, v6, s[2:3]
	v_cmp_ngt_f32_e64 s[2:3], s31, v17
	v_cndmask_b32_e64 v14, 0, v7, s[8:9]
	v_cmp_ngt_f32_e64 s[8:9], s31, v16
	v_pk_add_f32 v[4:5], v[4:5], 1.0 op_sel_hi:[1,0]
	v_cndmask_b32_e64 v7, v10, v6, s[2:3]
	v_cndmask_b32_e64 v6, v10, v14, s[8:9]
	v_div_scale_f32 v13, s[2:3], v5, v5, 1.0
	v_pk_add_f32 v[6:7], v[6:7], 1.0 op_sel_hi:[1,0]
	v_div_scale_f32 v15, s[2:3], v4, v4, 1.0
	v_rcp_f32_e32 v25, v13
	v_div_scale_f32 v17, s[8:9], v7, v7, 1.0
	v_rcp_f32_e32 v26, v15
	;; [unrolled: 2-line block ×3, first 2 shown]
	v_rcp_f32_e32 v28, v23
	v_fma_f32 v29, -v13, v25, 1.0
	v_div_scale_f32 v14, vcc, 1.0, v5, 1.0
	v_fma_f32 v30, -v15, v26, 1.0
	v_fmac_f32_e32 v25, v29, v25
	v_div_scale_f32 v16, s[2:3], 1.0, v4, 1.0
	v_fma_f32 v31, -v17, v27, 1.0
	v_fmac_f32_e32 v26, v30, v26
	v_mul_f32_e32 v29, v14, v25
	v_div_scale_f32 v22, s[8:9], 1.0, v7, 1.0
	v_fma_f32 v32, -v23, v28, 1.0
	v_fmac_f32_e32 v27, v31, v27
	v_mul_f32_e32 v30, v16, v26
	v_fma_f32 v33, -v13, v29, v14
	v_div_scale_f32 v24, s[10:11], 1.0, v6, 1.0
	v_fmac_f32_e32 v28, v32, v28
	v_mul_f32_e32 v31, v22, v27
	v_fma_f32 v34, -v15, v30, v16
	v_fmac_f32_e32 v29, v33, v25
	v_mul_f32_e32 v32, v24, v28
	v_fma_f32 v35, -v17, v31, v22
	v_fmac_f32_e32 v30, v34, v26
	v_fma_f32 v13, -v13, v29, v14
	v_fma_f32 v36, -v23, v32, v24
	v_fmac_f32_e32 v31, v35, v27
	v_fma_f32 v14, -v15, v30, v16
	v_div_fmas_f32 v13, v13, v25, v29
	s_mov_b64 vcc, s[2:3]
	v_fmac_f32_e32 v32, v36, v28
	v_fma_f32 v15, -v17, v31, v22
	v_div_fixup_f32 v5, v13, v5, 1.0
	v_div_fmas_f32 v13, v14, v26, v30
	s_mov_b64 vcc, s[8:9]
	v_fma_f32 v16, -v23, v32, v24
	v_div_fixup_f32 v4, v13, v4, 1.0
	v_div_fmas_f32 v13, v15, v27, v31
	s_mov_b64 vcc, s[10:11]
	v_div_fixup_f32 v7, v13, v7, 1.0
	v_div_fmas_f32 v13, v16, v28, v32
	v_div_fixup_f32 v6, v13, v6, 1.0
	s_waitcnt vmcnt(0)
	v_pk_add_f32 v[4:5], v[18:19], v[4:5]
	v_pk_add_f32 v[6:7], v[20:21], v[6:7]
	ds_write_b128 v3, v[4:7]
	v_add_u32_e32 v3, s28, v3
	s_andn2_b64 exec, exec, s[24:25]
	s_cbranch_execnz .LBB64_2
.LBB64_3:
	s_or_b64 exec, exec, s[22:23]
	s_lshr_b32 s2, s12, 31
	s_add_i32 s2, s12, s2
	s_ashr_i32 s29, s2, 1
	s_lshl_b32 s2, s12, 2
	s_add_i32 s28, s2, 0
	v_cmp_gt_u32_e32 vcc, 64, v0
	s_waitcnt lgkmcnt(0)
	s_barrier
	s_and_saveexec_b64 s[10:11], vcc
	s_cbranch_execz .LBB64_12
; %bb.4:
	s_load_dword s8, s[4:5], 0x4c
	v_lshrrev_b32_e32 v2, 5, v0
	s_lshr_b32 s2, s15, 29
	v_and_b32_e32 v1, 31, v0
	s_add_i32 s2, s12, s2
	s_waitcnt lgkmcnt(0)
	s_bfe_u32 s15, s8, 0xb0005
	v_mul_lo_u32 v3, s29, v2
	s_ashr_i32 s12, s2, 3
	v_lshlrev_b32_e32 v3, 2, v3
	v_lshlrev_b32_e32 v4, 4, v1
	s_mul_i32 s8, s29, s15
	v_cmp_gt_i32_e32 vcc, s12, v1
	v_cmp_eq_u32_e64 s[2:3], 0, v1
	v_add3_u32 v3, v3, v4, 0
	s_lshl_b32 s30, s8, 2
	s_mov_b64 s[22:23], 0
	s_branch .LBB64_6
.LBB64_5:                               ;   in Loop: Header=BB64_6 Depth=1
	s_or_b64 exec, exec, s[8:9]
	v_add_u32_e32 v2, s15, v2
	v_cmp_lt_u32_e64 s[8:9], 1, v2
	s_or_b64 s[22:23], s[8:9], s[22:23]
	v_add_u32_e32 v3, s30, v3
	s_andn2_b64 exec, exec, s[22:23]
	s_cbranch_execz .LBB64_12
.LBB64_6:                               ; =>This Loop Header: Depth=1
                                        ;     Child Loop BB64_8 Depth 2
	v_mov_b32_e32 v4, 0xff800000
	v_mov_b32_e32 v7, 0xff800000
	s_and_saveexec_b64 s[24:25], vcc
	s_cbranch_execz .LBB64_10
; %bb.7:                                ;   in Loop: Header=BB64_6 Depth=1
	s_mov_b64 s[26:27], 0
	v_mov_b32_e32 v4, 0xff800000
	v_mov_b32_e32 v5, v3
	;; [unrolled: 1-line block ×4, first 2 shown]
.LBB64_8:                               ;   Parent Loop BB64_6 Depth=1
                                        ; =>  This Inner Loop Header: Depth=2
	ds_read_b128 v[8:11], v5
	v_add_u32_e32 v6, 32, v6
	v_max_f32_e32 v7, v7, v7
	v_cmp_le_i32_e64 s[8:9], s12, v6
	s_or_b64 s[26:27], s[8:9], s[26:27]
	s_waitcnt lgkmcnt(0)
	v_max_f32_e32 v13, v8, v8
	v_max_f32_e32 v7, v13, v7
	v_cmp_gt_f32_e64 s[8:9], v8, v4
	v_max_f32_e32 v12, v4, v4
	v_cndmask_b32_e64 v4, v7, v4, s[8:9]
	v_max_f32_e32 v14, v9, v9
	v_max_f32_e32 v12, v13, v12
	;; [unrolled: 1-line block ×4, first 2 shown]
	v_cmp_gt_f32_e64 s[8:9], v9, v12
	v_max_f32_e32 v15, v10, v10
	v_max_f32_e32 v7, v14, v12
	v_cndmask_b32_e64 v9, v13, v12, s[8:9]
	v_max_f32_e32 v9, v15, v9
	v_cmp_gt_f32_e64 s[8:9], v10, v7
	v_max_f32_e32 v16, v11, v11
	v_max_f32_e32 v8, v15, v7
	v_cndmask_b32_e64 v7, v9, v7, s[8:9]
	v_max_f32_e32 v7, v16, v7
	v_cmp_gt_f32_e64 s[8:9], v11, v8
	v_add_u32_e32 v5, 0x200, v5
	v_max_f32_e32 v4, v16, v8
	v_cndmask_b32_e64 v7, v7, v8, s[8:9]
	s_andn2_b64 exec, exec, s[26:27]
	s_cbranch_execnz .LBB64_8
; %bb.9:                                ;   in Loop: Header=BB64_6 Depth=1
	s_or_b64 exec, exec, s[26:27]
.LBB64_10:                              ;   in Loop: Header=BB64_6 Depth=1
	s_or_b64 exec, exec, s[24:25]
	s_and_saveexec_b64 s[8:9], s[2:3]
	s_cbranch_execz .LBB64_5
; %bb.11:                               ;   in Loop: Header=BB64_6 Depth=1
	v_lshl_add_u32 v5, v2, 2, s28
	v_add_f32_e32 v4, v7, v4
	ds_write_b32 v5, v4
	s_branch .LBB64_5
.LBB64_12:
	s_or_b64 exec, exec, s[10:11]
	s_cmp_lt_i32 s14, 1
	s_waitcnt lgkmcnt(0)
	s_barrier
	s_cbranch_scc1 .LBB64_15
; %bb.13:
	v_mov_b32_e32 v1, s28
	s_mov_b32 s2, 0xff800000
	v_mov_b32_e32 v2, 0xff800000
.LBB64_14:                              ; =>This Inner Loop Header: Depth=1
	ds_read2_b32 v[4:5], v1 offset1:1
	s_add_i32 s14, s14, -1
	s_cmp_lg_u32 s14, 0
	s_waitcnt lgkmcnt(0)
	v_cmp_nlg_f32_e32 vcc, s2, v4
	v_cndmask_b32_e64 v3, 0, 1, vcc
	v_cmp_lg_f32_e32 vcc, s2, v4
	v_cndmask_b32_e32 v4, v2, v4, vcc
	v_lshlrev_b32_e32 v3, 1, v3
	v_cmp_ngt_f32_e32 vcc, v5, v4
	v_cndmask_b32_e32 v3, 1, v3, vcc
	v_lshlrev_b32_e32 v3, 2, v3
	v_add_u32_e32 v3, s28, v3
	ds_write_b32 v3, v2
	s_cbranch_scc1 .LBB64_14
.LBB64_15:
	v_lshlrev_b32_e32 v1, 2, v0
	v_lshl_add_u32 v6, v0, 4, 0
	s_and_saveexec_b64 s[2:3], s[0:1]
	s_cbranch_execz .LBB64_20
; %bb.16:
	s_abs_i32 s12, s29
	v_cvt_f32_u32_e32 v2, s12
	s_load_dword s10, s[4:5], 0x4c
	s_sub_i32 s11, 0, s12
	s_ashr_i32 s14, s29, 31
	v_rcp_iflag_f32_e32 v2, v2
	v_lshlrev_b32_e32 v7, 2, v0
	s_waitcnt lgkmcnt(0)
	s_and_b32 s15, s10, 0xffff
	v_lshl_add_u32 v8, v0, 4, 0
	v_mul_f32_e32 v2, 0x4f7ffffe, v2
	v_cvt_u32_f32_e32 v2, v2
	s_mov_b64 s[8:9], 0
	s_lshl_b32 s22, s15, 2
	s_lshl_b32 s23, s15, 4
	v_mul_lo_u32 v3, s11, v2
	v_mul_hi_u32 v3, v2, v3
	v_add_u32_e32 v9, v2, v3
	s_mov_b32 s24, 0xff800000
	v_mov_b32_e32 v2, 0xff800000
	v_mov_b32_e32 v10, v0
	s_branch .LBB64_18
.LBB64_17:                              ;   in Loop: Header=BB64_18 Depth=1
	s_or_b64 exec, exec, s[10:11]
	v_add_u32_e32 v10, s15, v10
	v_cmp_le_i32_e32 vcc, s7, v10
	v_add_u32_e32 v7, s22, v7
	s_or_b64 s[8:9], vcc, s[8:9]
	v_add_u32_e32 v8, s23, v8
	s_andn2_b64 exec, exec, s[8:9]
	s_cbranch_execz .LBB64_20
.LBB64_18:                              ; =>This Inner Loop Header: Depth=1
	v_mul_hi_u32 v3, v7, v9
	v_mul_lo_u32 v4, v3, s12
	v_sub_u32_e32 v4, v7, v4
	v_add_u32_e32 v5, 1, v3
	v_cmp_le_u32_e32 vcc, s12, v4
	v_cndmask_b32_e32 v3, v3, v5, vcc
	v_subrev_u32_e32 v5, s12, v4
	v_cndmask_b32_e32 v4, v4, v5, vcc
	v_add_u32_e32 v5, 1, v3
	v_cmp_le_u32_e32 vcc, s12, v4
	v_cndmask_b32_e32 v3, v3, v5, vcc
	v_xor_b32_e32 v3, s14, v3
	v_subrev_u32_e32 v3, s14, v3
	v_lshl_add_u32 v3, v3, 2, s28
	ds_read_b32 v3, v3
	s_waitcnt lgkmcnt(0)
	v_cmp_neq_f32_e32 vcc, s24, v3
	s_and_saveexec_b64 s[10:11], vcc
	s_cbranch_execz .LBB64_17
; %bb.19:                               ;   in Loop: Header=BB64_18 Depth=1
	v_mov_b32_e32 v3, v2
	v_mov_b32_e32 v4, v2
	;; [unrolled: 1-line block ×3, first 2 shown]
	ds_write_b128 v8, v[2:5]
	s_branch .LBB64_17
.LBB64_20:
	s_or_b64 exec, exec, s[2:3]
	s_cmp_lt_i32 s13, 1
	s_waitcnt lgkmcnt(0)
	s_barrier
	s_cbranch_scc1 .LBB64_27
; %bb.21:
	s_add_u32 s2, s4, 64
	s_addc_u32 s3, s5, 0
	s_mov_b32 s12, 0
	v_mov_b32_e32 v4, 0xff800000
                                        ; implicit-def: $vgpr3
                                        ; implicit-def: $vgpr2
	s_branch .LBB64_23
.LBB64_22:                              ;   in Loop: Header=BB64_23 Depth=1
	s_or_b64 exec, exec, s[8:9]
	v_mov_b32_dpp v9, v7 quad_perm:[1,0,3,2] row_mask:0xf bank_mask:0xf
	v_cmp_lt_f32_e32 vcc, v7, v9
	v_cndmask_b32_e32 v7, v7, v9, vcc
	v_mov_b32_dpp v8, v5 quad_perm:[1,0,3,2] row_mask:0xf bank_mask:0xf
	v_cndmask_b32_e32 v5, v5, v8, vcc
	v_mov_b32_dpp v9, v7 quad_perm:[2,3,0,1] row_mask:0xf bank_mask:0xf
	v_cmp_gt_f32_e32 vcc, v9, v7
	v_cndmask_b32_e32 v7, v7, v9, vcc
	v_mov_b32_dpp v8, v5 quad_perm:[2,3,0,1] row_mask:0xf bank_mask:0xf
	v_cndmask_b32_e32 v5, v5, v8, vcc
	v_mov_b32_dpp v9, v7 row_half_mirror row_mask:0xf bank_mask:0xf
	v_cmp_gt_f32_e32 vcc, v9, v7
	v_cndmask_b32_e32 v7, v7, v9, vcc
	v_mov_b32_dpp v8, v5 row_half_mirror row_mask:0xf bank_mask:0xf
	v_cndmask_b32_e32 v5, v5, v8, vcc
	v_mov_b32_dpp v9, v7 row_mirror row_mask:0xf bank_mask:0xf
	v_cmp_gt_f32_e32 vcc, v9, v7
	v_cndmask_b32_e32 v7, v7, v9, vcc
	v_mov_b32_dpp v8, v5 row_mirror row_mask:0xf bank_mask:0xf
	v_cndmask_b32_e32 v5, v5, v8, vcc
	v_mov_b32_dpp v9, v7 row_bcast:15 row_mask:0xf bank_mask:0xf
	v_cmp_gt_f32_e32 vcc, v9, v7
	v_mov_b32_dpp v8, v5 row_bcast:15 row_mask:0xf bank_mask:0xf
	v_cndmask_b32_e32 v7, v7, v9, vcc
	v_cndmask_b32_e32 v5, v5, v8, vcc
	s_nop 0
	v_mov_b32_dpp v9, v7 row_bcast:31 row_mask:0xf bank_mask:0xf
	v_mov_b32_dpp v8, v5 row_bcast:31 row_mask:0xf bank_mask:0xf
	v_cmp_gt_f32_e32 vcc, v9, v7
	v_cndmask_b32_e32 v5, v5, v8, vcc
	v_readlane_b32 s8, v5, 63
	s_ashr_i32 s9, s8, 31
	s_lshl_b64 s[10:11], s[8:9], 2
	s_add_u32 s10, s16, s10
	s_addc_u32 s11, s17, s11
	s_load_dword s9, s[10:11], 0x0
	v_cndmask_b32_e32 v5, v7, v9, vcc
	v_readlane_b32 s10, v5, 63
	v_cmp_eq_u32_e32 vcc, s12, v0
	s_add_i32 s12, s12, 1
	s_waitcnt lgkmcnt(0)
	v_mov_b32_e32 v5, s9
	s_lshl_b32 s9, s8, 2
	s_add_i32 s9, s9, 0
	v_mov_b32_e32 v7, s9
	v_sub_f32_e32 v5, s10, v5
	ds_write_b32 v7, v4
	v_mov_b32_e32 v7, s8
	v_cndmask_b32_e32 v2, v2, v7, vcc
	s_cmp_eq_u32 s12, s13
	v_cndmask_b32_e32 v3, v3, v5, vcc
	s_cbranch_scc1 .LBB64_28
.LBB64_23:                              ; =>This Loop Header: Depth=1
                                        ;     Child Loop BB64_25 Depth 2
	v_mov_b32_e32 v5, s12
	v_mov_b32_e32 v7, 0xff800000
	s_and_saveexec_b64 s[8:9], s[0:1]
	s_cbranch_execz .LBB64_22
; %bb.24:                               ;   in Loop: Header=BB64_23 Depth=1
	s_load_dword s14, s[2:3], 0xc
	s_mov_b64 s[10:11], 0
	v_mov_b32_e32 v5, s12
	v_mov_b32_e32 v7, 0xff800000
	v_mov_b32_e32 v8, v6
	s_waitcnt lgkmcnt(0)
	s_and_b32 s14, s14, 0xffff
	s_lshl_b32 s15, s14, 2
	s_lshl_b32 s22, s14, 4
	v_mov_b32_e32 v9, v1
	v_mov_b32_e32 v10, v0
.LBB64_25:                              ;   Parent Loop BB64_23 Depth=1
                                        ; =>  This Inner Loop Header: Depth=2
	ds_read_b128 v[12:15], v8
	v_add_u32_e32 v10, s14, v10
	v_cmp_le_i32_e32 vcc, s7, v10
	s_or_b64 s[10:11], vcc, s[10:11]
	v_add_u32_e32 v11, 1, v9
	s_waitcnt lgkmcnt(0)
	v_cmp_gt_f32_e32 vcc, v12, v7
	v_cndmask_b32_e32 v7, v7, v12, vcc
	v_cndmask_b32_e32 v5, v5, v9, vcc
	v_cmp_gt_f32_e32 vcc, v13, v7
	v_cndmask_b32_e32 v7, v7, v13, vcc
	v_cndmask_b32_e32 v5, v5, v11, vcc
	v_cmp_gt_f32_e32 vcc, v14, v7
	v_add_u32_e32 v16, 2, v9
	v_cndmask_b32_e32 v7, v7, v14, vcc
	v_add_u32_e32 v17, 3, v9
	v_cndmask_b32_e32 v5, v5, v16, vcc
	v_cmp_gt_f32_e32 vcc, v15, v7
	v_add_u32_e32 v8, s22, v8
	v_add_u32_e32 v9, s15, v9
	v_cndmask_b32_e32 v7, v7, v15, vcc
	v_cndmask_b32_e32 v5, v5, v17, vcc
	s_andn2_b64 exec, exec, s[10:11]
	s_cbranch_execnz .LBB64_25
; %bb.26:                               ;   in Loop: Header=BB64_23 Depth=1
	s_or_b64 exec, exec, s[10:11]
	s_branch .LBB64_22
.LBB64_27:
                                        ; implicit-def: $vgpr3
                                        ; implicit-def: $vgpr2
.LBB64_28:
	v_cmp_gt_i32_e32 vcc, s13, v0
	s_and_saveexec_b64 s[0:1], vcc
	s_cbranch_execz .LBB64_31
; %bb.29:
	s_load_dword s2, s[4:5], 0x38
	s_load_dwordx2 s[0:1], s[4:5], 0x20
	s_ashr_i32 s3, s6, 31
	s_load_dword s4, s[4:5], 0x4c
	v_mov_b32_e32 v4, s19
	s_waitcnt lgkmcnt(0)
	v_mul_f32_e32 v1, s2, v3
	s_mul_i32 s1, s6, s1
	s_mul_hi_u32 s2, s6, s0
	s_add_i32 s1, s2, s1
	s_mul_i32 s3, s3, s0
	s_add_i32 s5, s1, s3
	s_mul_i32 s2, s6, s0
	s_and_b32 s3, s4, 0xffff
	s_mov_b64 s[0:1], 0
	v_mov_b32_e32 v3, s5
	v_mov_b32_e32 v5, s21
.LBB64_30:                              ; =>This Inner Loop Header: Depth=1
	v_ashrrev_i32_e32 v7, 31, v0
	v_add_co_u32_e32 v6, vcc, s2, v0
	v_addc_co_u32_e32 v7, vcc, v3, v7, vcc
	v_add_u32_e32 v0, s3, v0
	v_cmp_le_i32_e32 vcc, s13, v0
	v_lshlrev_b64 v[6:7], 2, v[6:7]
	s_or_b64 s[0:1], vcc, s[0:1]
	v_add_co_u32_e32 v8, vcc, s18, v6
	v_addc_co_u32_e32 v9, vcc, v4, v7, vcc
	v_add_co_u32_e32 v6, vcc, s20, v6
	v_addc_co_u32_e32 v7, vcc, v5, v7, vcc
	global_store_dword v[8:9], v1, off
	global_store_dword v[6:7], v2, off
	s_andn2_b64 exec, exec, s[0:1]
	s_cbranch_execnz .LBB64_30
.LBB64_31:
	s_endpgm
	.section	.rodata,"a",@progbits
	.p2align	6, 0x0
	.amdhsa_kernel _ZN5aiter19grouped_topk_kernelIfDv4_fLi2ELb0ELb1ELb0EEEvPT_PKS2_PfPimiiiif
		.amdhsa_group_segment_fixed_size 0
		.amdhsa_private_segment_fixed_size 0
		.amdhsa_kernarg_size 320
		.amdhsa_user_sgpr_count 6
		.amdhsa_user_sgpr_private_segment_buffer 1
		.amdhsa_user_sgpr_dispatch_ptr 0
		.amdhsa_user_sgpr_queue_ptr 0
		.amdhsa_user_sgpr_kernarg_segment_ptr 1
		.amdhsa_user_sgpr_dispatch_id 0
		.amdhsa_user_sgpr_flat_scratch_init 0
		.amdhsa_user_sgpr_kernarg_preload_length 0
		.amdhsa_user_sgpr_kernarg_preload_offset 0
		.amdhsa_user_sgpr_private_segment_size 0
		.amdhsa_uses_dynamic_stack 0
		.amdhsa_system_sgpr_private_segment_wavefront_offset 0
		.amdhsa_system_sgpr_workgroup_id_x 1
		.amdhsa_system_sgpr_workgroup_id_y 0
		.amdhsa_system_sgpr_workgroup_id_z 0
		.amdhsa_system_sgpr_workgroup_info 0
		.amdhsa_system_vgpr_workitem_id 0
		.amdhsa_next_free_vgpr 37
		.amdhsa_next_free_sgpr 32
		.amdhsa_accum_offset 40
		.amdhsa_reserve_vcc 1
		.amdhsa_reserve_flat_scratch 0
		.amdhsa_float_round_mode_32 0
		.amdhsa_float_round_mode_16_64 0
		.amdhsa_float_denorm_mode_32 3
		.amdhsa_float_denorm_mode_16_64 3
		.amdhsa_dx10_clamp 1
		.amdhsa_ieee_mode 1
		.amdhsa_fp16_overflow 0
		.amdhsa_tg_split 0
		.amdhsa_exception_fp_ieee_invalid_op 0
		.amdhsa_exception_fp_denorm_src 0
		.amdhsa_exception_fp_ieee_div_zero 0
		.amdhsa_exception_fp_ieee_overflow 0
		.amdhsa_exception_fp_ieee_underflow 0
		.amdhsa_exception_fp_ieee_inexact 0
		.amdhsa_exception_int_div_zero 0
	.end_amdhsa_kernel
	.section	.text._ZN5aiter19grouped_topk_kernelIfDv4_fLi2ELb0ELb1ELb0EEEvPT_PKS2_PfPimiiiif,"axG",@progbits,_ZN5aiter19grouped_topk_kernelIfDv4_fLi2ELb0ELb1ELb0EEEvPT_PKS2_PfPimiiiif,comdat
.Lfunc_end64:
	.size	_ZN5aiter19grouped_topk_kernelIfDv4_fLi2ELb0ELb1ELb0EEEvPT_PKS2_PfPimiiiif, .Lfunc_end64-_ZN5aiter19grouped_topk_kernelIfDv4_fLi2ELb0ELb1ELb0EEEvPT_PKS2_PfPimiiiif
                                        ; -- End function
	.section	.AMDGPU.csdata,"",@progbits
; Kernel info:
; codeLenInByte = 2416
; NumSgprs: 36
; NumVgprs: 37
; NumAgprs: 0
; TotalNumVgprs: 37
; ScratchSize: 0
; MemoryBound: 0
; FloatMode: 240
; IeeeMode: 1
; LDSByteSize: 0 bytes/workgroup (compile time only)
; SGPRBlocks: 4
; VGPRBlocks: 4
; NumSGPRsForWavesPerEU: 36
; NumVGPRsForWavesPerEU: 37
; AccumOffset: 40
; Occupancy: 8
; WaveLimiterHint : 0
; COMPUTE_PGM_RSRC2:SCRATCH_EN: 0
; COMPUTE_PGM_RSRC2:USER_SGPR: 6
; COMPUTE_PGM_RSRC2:TRAP_HANDLER: 0
; COMPUTE_PGM_RSRC2:TGID_X_EN: 1
; COMPUTE_PGM_RSRC2:TGID_Y_EN: 0
; COMPUTE_PGM_RSRC2:TGID_Z_EN: 0
; COMPUTE_PGM_RSRC2:TIDIG_COMP_CNT: 0
; COMPUTE_PGM_RSRC3_GFX90A:ACCUM_OFFSET: 9
; COMPUTE_PGM_RSRC3_GFX90A:TG_SPLIT: 0
	.section	.text._ZN5aiter19grouped_topk_kernelIN3c104HalfEDv4_fLi2ELb0ELb1ELb0EEEvPT_PKS4_PfPimiiiif,"axG",@progbits,_ZN5aiter19grouped_topk_kernelIN3c104HalfEDv4_fLi2ELb0ELb1ELb0EEEvPT_PKS4_PfPimiiiif,comdat
	.protected	_ZN5aiter19grouped_topk_kernelIN3c104HalfEDv4_fLi2ELb0ELb1ELb0EEEvPT_PKS4_PfPimiiiif ; -- Begin function _ZN5aiter19grouped_topk_kernelIN3c104HalfEDv4_fLi2ELb0ELb1ELb0EEEvPT_PKS4_PfPimiiiif
	.globl	_ZN5aiter19grouped_topk_kernelIN3c104HalfEDv4_fLi2ELb0ELb1ELb0EEEvPT_PKS4_PfPimiiiif
	.p2align	8
	.type	_ZN5aiter19grouped_topk_kernelIN3c104HalfEDv4_fLi2ELb0ELb1ELb0EEEvPT_PKS4_PfPimiiiif,@function
_ZN5aiter19grouped_topk_kernelIN3c104HalfEDv4_fLi2ELb0ELb1ELb0EEEvPT_PKS4_PfPimiiiif: ; @_ZN5aiter19grouped_topk_kernelIN3c104HalfEDv4_fLi2ELb0ELb1ELb0EEEvPT_PKS4_PfPimiiiif
; %bb.0:
	s_load_dwordx4 s[12:15], s[4:5], 0x28
	s_load_dwordx4 s[16:19], s[4:5], 0x8
	s_load_dwordx2 s[20:21], s[4:5], 0x18
	v_lshl_add_u32 v8, v0, 4, 0
	s_waitcnt lgkmcnt(0)
	s_ashr_i32 s15, s12, 31
	s_lshr_b32 s0, s15, 30
	s_add_i32 s0, s12, s0
	s_ashr_i32 s7, s0, 2
	v_cmp_gt_i32_e64 s[0:1], s7, v0
	s_and_saveexec_b64 s[22:23], s[0:1]
	s_cbranch_execz .LBB65_3
; %bb.1:
	s_load_dwordx2 s[2:3], s[4:5], 0x0
	s_load_dword s10, s[4:5], 0x4c
	s_mul_i32 s8, s6, s12
	s_ashr_i32 s9, s8, 31
	s_lshl_b64 s[8:9], s[8:9], 1
	s_waitcnt lgkmcnt(0)
	s_add_u32 s26, s2, s8
	s_addc_u32 s2, s3, s9
	s_and_b32 s27, s10, 0xffff
	s_mov_b32 s3, 0
	v_lshlrev_b32_e32 v2, 3, v0
	v_mov_b32_e32 v1, 0
	s_lshl_b32 s28, s27, 3
	v_lshl_add_u32 v3, v0, 4, 0
	s_lshl_b32 s29, s27, 4
	s_mov_b64 s[24:25], 0
	v_mov_b32_e32 v9, s2
	v_mov_b32_e32 v10, s17
	s_mov_b32 s30, 0x3fb8aa3b
	s_mov_b32 s31, 0x32a5705f
	s_mov_b32 s33, 0xc2ce8ed0
	s_mov_b32 s34, 0x42b17218
	v_mov_b32_e32 v11, 0x7f800000
	v_mov_b32_e32 v12, s3
	v_mov_b32_e32 v13, v0
.LBB65_2:                               ; =>This Inner Loop Header: Depth=1
	v_add_co_u32_e32 v4, vcc, s26, v2
	v_addc_co_u32_e32 v5, vcc, v9, v1, vcc
	v_add_co_u32_e32 v6, vcc, s16, v2
	v_addc_co_u32_e32 v7, vcc, v10, v1, vcc
	global_load_dwordx2 v[14:15], v[6:7], off
	global_load_dwordx2 v[16:17], v[4:5], off
	v_add_co_u32_e32 v2, vcc, s28, v2
	v_add_u32_e32 v13, s27, v13
	v_addc_co_u32_e32 v1, vcc, v1, v12, vcc
	v_cmp_le_i32_e32 vcc, s7, v13
	s_or_b64 s[24:25], vcc, s[24:25]
	s_waitcnt vmcnt(1)
	v_cvt_f32_f16_e32 v4, v14
	v_cvt_f32_f16_sdwa v5, v14 dst_sel:DWORD dst_unused:UNUSED_PAD src0_sel:WORD_1
	v_cvt_f32_f16_e32 v6, v15
	v_cvt_f32_f16_sdwa v7, v15 dst_sel:DWORD dst_unused:UNUSED_PAD src0_sel:WORD_1
	s_waitcnt vmcnt(0)
	v_cvt_f32_f16_e64 v14, -v16
	v_cvt_f32_f16_sdwa v15, -v16 dst_sel:DWORD dst_unused:UNUSED_PAD src0_sel:WORD_1
	v_cvt_f32_f16_e64 v18, -v17
	v_cvt_f32_f16_sdwa v19, -v17 dst_sel:DWORD dst_unused:UNUSED_PAD src0_sel:WORD_1
	v_mul_f32_e32 v20, 0x3fb8aa3b, v14
	v_mul_f32_e32 v21, 0x3fb8aa3b, v15
	v_fma_mix_f32 v24, -v16, s30, -v20 op_sel_hi:[1,0,0]
	v_rndne_f32_e32 v25, v20
	v_fma_mix_f32 v26, -v16, s30, -v21 op_sel:[1,0,0] op_sel_hi:[1,0,0]
	v_rndne_f32_e32 v27, v21
	v_mul_f32_e32 v22, 0x3fb8aa3b, v18
	v_mul_f32_e32 v23, 0x3fb8aa3b, v19
	v_fma_mix_f32 v24, -v16, s31, v24 op_sel_hi:[1,0,0]
	v_sub_f32_e32 v20, v20, v25
	v_fma_mix_f32 v16, -v16, s31, v26 op_sel:[1,0,0] op_sel_hi:[1,0,0]
	v_sub_f32_e32 v21, v21, v27
	v_fma_mix_f32 v28, -v17, s30, -v22 op_sel_hi:[1,0,0]
	v_rndne_f32_e32 v29, v22
	v_fma_mix_f32 v30, -v17, s30, -v23 op_sel:[1,0,0] op_sel_hi:[1,0,0]
	v_rndne_f32_e32 v31, v23
	v_add_f32_e32 v20, v20, v24
	v_add_f32_e32 v16, v21, v16
	v_cvt_i32_f32_e32 v25, v25
	v_cvt_i32_f32_e32 v26, v27
	v_fma_mix_f32 v27, -v17, s31, v28 op_sel_hi:[1,0,0]
	v_sub_f32_e32 v22, v22, v29
	v_fma_mix_f32 v17, -v17, s31, v30 op_sel:[1,0,0] op_sel_hi:[1,0,0]
	v_sub_f32_e32 v23, v23, v31
	v_exp_f32_e32 v20, v20
	v_exp_f32_e32 v16, v16
	v_add_f32_e32 v21, v22, v27
	v_add_f32_e32 v17, v23, v17
	v_cvt_i32_f32_e32 v28, v29
	v_cvt_i32_f32_e32 v29, v31
	v_exp_f32_e32 v21, v21
	v_exp_f32_e32 v17, v17
	v_ldexp_f32 v20, v20, v25
	v_ldexp_f32 v16, v16, v26
	v_cmp_ngt_f32_e32 vcc, s33, v15
	v_cmp_ngt_f32_e64 s[10:11], s33, v14
	v_cndmask_b32_e64 v20, 0, v20, s[10:11]
	v_cndmask_b32_e32 v16, 0, v16, vcc
	v_cmp_nlt_f32_e32 vcc, s34, v15
	v_cmp_nlt_f32_e64 s[10:11], s34, v14
	v_ldexp_f32 v21, v21, v28
	v_cmp_ngt_f32_e64 s[2:3], s33, v18
	v_ldexp_f32 v17, v17, v29
	v_cmp_ngt_f32_e64 s[8:9], s33, v19
	v_cndmask_b32_e64 v14, v11, v20, s[10:11]
	v_cndmask_b32_e32 v15, v11, v16, vcc
	v_cndmask_b32_e64 v21, 0, v21, s[2:3]
	v_cmp_nlt_f32_e64 s[2:3], s34, v18
	v_cndmask_b32_e64 v17, 0, v17, s[8:9]
	v_cmp_nlt_f32_e64 s[8:9], s34, v19
	v_pk_add_f32 v[14:15], v[14:15], 1.0 op_sel_hi:[1,0]
	v_cndmask_b32_e64 v16, v11, v21, s[2:3]
	v_cndmask_b32_e64 v17, v11, v17, s[8:9]
	v_div_scale_f32 v18, s[2:3], v15, v15, 1.0
	v_pk_add_f32 v[16:17], v[16:17], 1.0 op_sel_hi:[1,0]
	v_div_scale_f32 v20, s[2:3], v14, v14, 1.0
	v_rcp_f32_e32 v26, v18
	v_div_scale_f32 v22, s[8:9], v17, v17, 1.0
	v_rcp_f32_e32 v27, v20
	;; [unrolled: 2-line block ×3, first 2 shown]
	v_rcp_f32_e32 v29, v24
	v_fma_f32 v30, -v18, v26, 1.0
	v_div_scale_f32 v19, vcc, 1.0, v15, 1.0
	v_fma_f32 v31, -v20, v27, 1.0
	v_fmac_f32_e32 v26, v30, v26
	v_div_scale_f32 v21, s[2:3], 1.0, v14, 1.0
	v_fma_f32 v32, -v22, v28, 1.0
	v_fmac_f32_e32 v27, v31, v27
	v_mul_f32_e32 v30, v19, v26
	v_div_scale_f32 v23, s[8:9], 1.0, v17, 1.0
	v_fma_f32 v33, -v24, v29, 1.0
	v_fmac_f32_e32 v28, v32, v28
	v_mul_f32_e32 v31, v21, v27
	v_fma_f32 v34, -v18, v30, v19
	v_div_scale_f32 v25, s[10:11], 1.0, v16, 1.0
	v_fmac_f32_e32 v29, v33, v29
	v_mul_f32_e32 v32, v23, v28
	v_fma_f32 v35, -v20, v31, v21
	v_fmac_f32_e32 v30, v34, v26
	v_mul_f32_e32 v33, v25, v29
	v_fma_f32 v36, -v22, v32, v23
	v_fmac_f32_e32 v31, v35, v27
	v_fma_f32 v18, -v18, v30, v19
	v_fma_f32 v37, -v24, v33, v25
	v_fmac_f32_e32 v32, v36, v28
	v_fma_f32 v19, -v20, v31, v21
	v_div_fmas_f32 v18, v18, v26, v30
	s_mov_b64 vcc, s[2:3]
	v_fmac_f32_e32 v33, v37, v29
	v_fma_f32 v20, -v22, v32, v23
	v_div_fixup_f32 v15, v18, v15, 1.0
	v_div_fmas_f32 v18, v19, v27, v31
	s_mov_b64 vcc, s[8:9]
	v_fma_f32 v21, -v24, v33, v25
	v_div_fixup_f32 v14, v18, v14, 1.0
	v_div_fmas_f32 v18, v20, v28, v32
	s_mov_b64 vcc, s[10:11]
	v_div_fixup_f32 v17, v18, v17, 1.0
	v_div_fmas_f32 v18, v21, v29, v33
	v_div_fixup_f32 v16, v18, v16, 1.0
	v_pk_add_f32 v[4:5], v[14:15], v[4:5]
	v_pk_add_f32 v[6:7], v[16:17], v[6:7]
	ds_write_b128 v3, v[4:7]
	v_add_u32_e32 v3, s29, v3
	s_andn2_b64 exec, exec, s[24:25]
	s_cbranch_execnz .LBB65_2
.LBB65_3:
	s_or_b64 exec, exec, s[22:23]
	s_lshr_b32 s2, s12, 31
	s_add_i32 s2, s12, s2
	s_ashr_i32 s29, s2, 1
	s_lshl_b32 s2, s12, 2
	s_add_i32 s28, s2, 0
	v_cmp_gt_u32_e32 vcc, 64, v0
	s_waitcnt lgkmcnt(0)
	s_barrier
	s_and_saveexec_b64 s[10:11], vcc
	s_cbranch_execz .LBB65_12
; %bb.4:
	s_load_dword s8, s[4:5], 0x4c
	v_lshrrev_b32_e32 v2, 5, v0
	s_lshr_b32 s2, s15, 29
	v_and_b32_e32 v1, 31, v0
	s_add_i32 s2, s12, s2
	s_waitcnt lgkmcnt(0)
	s_bfe_u32 s15, s8, 0xb0005
	v_mul_lo_u32 v3, s29, v2
	s_ashr_i32 s12, s2, 3
	v_lshlrev_b32_e32 v3, 2, v3
	v_lshlrev_b32_e32 v4, 4, v1
	s_mul_i32 s8, s29, s15
	v_cmp_gt_i32_e32 vcc, s12, v1
	v_cmp_eq_u32_e64 s[2:3], 0, v1
	v_add3_u32 v3, v3, v4, 0
	s_lshl_b32 s30, s8, 2
	s_mov_b64 s[22:23], 0
	s_branch .LBB65_6
.LBB65_5:                               ;   in Loop: Header=BB65_6 Depth=1
	s_or_b64 exec, exec, s[8:9]
	v_add_u32_e32 v2, s15, v2
	v_cmp_lt_u32_e64 s[8:9], 1, v2
	s_or_b64 s[22:23], s[8:9], s[22:23]
	v_add_u32_e32 v3, s30, v3
	s_andn2_b64 exec, exec, s[22:23]
	s_cbranch_execz .LBB65_12
.LBB65_6:                               ; =>This Loop Header: Depth=1
                                        ;     Child Loop BB65_8 Depth 2
	v_mov_b32_e32 v4, 0xff800000
	v_mov_b32_e32 v7, 0xff800000
	s_and_saveexec_b64 s[24:25], vcc
	s_cbranch_execz .LBB65_10
; %bb.7:                                ;   in Loop: Header=BB65_6 Depth=1
	s_mov_b64 s[26:27], 0
	v_mov_b32_e32 v4, 0xff800000
	v_mov_b32_e32 v5, v3
	;; [unrolled: 1-line block ×4, first 2 shown]
.LBB65_8:                               ;   Parent Loop BB65_6 Depth=1
                                        ; =>  This Inner Loop Header: Depth=2
	ds_read_b128 v[10:13], v5
	v_add_u32_e32 v6, 32, v6
	v_max_f32_e32 v7, v7, v7
	v_cmp_le_i32_e64 s[8:9], s12, v6
	s_or_b64 s[26:27], s[8:9], s[26:27]
	s_waitcnt lgkmcnt(0)
	v_max_f32_e32 v14, v10, v10
	v_max_f32_e32 v7, v14, v7
	v_cmp_gt_f32_e64 s[8:9], v10, v4
	v_max_f32_e32 v9, v4, v4
	v_cndmask_b32_e64 v4, v7, v4, s[8:9]
	v_max_f32_e32 v15, v11, v11
	v_max_f32_e32 v9, v14, v9
	;; [unrolled: 1-line block ×4, first 2 shown]
	v_cmp_gt_f32_e64 s[8:9], v11, v9
	v_max_f32_e32 v16, v12, v12
	v_max_f32_e32 v7, v15, v9
	v_cndmask_b32_e64 v9, v14, v9, s[8:9]
	v_max_f32_e32 v9, v16, v9
	v_cmp_gt_f32_e64 s[8:9], v12, v7
	v_max_f32_e32 v17, v13, v13
	v_max_f32_e32 v10, v16, v7
	v_cndmask_b32_e64 v7, v9, v7, s[8:9]
	v_max_f32_e32 v7, v17, v7
	v_cmp_gt_f32_e64 s[8:9], v13, v10
	v_add_u32_e32 v5, 0x200, v5
	v_max_f32_e32 v4, v17, v10
	v_cndmask_b32_e64 v7, v7, v10, s[8:9]
	s_andn2_b64 exec, exec, s[26:27]
	s_cbranch_execnz .LBB65_8
; %bb.9:                                ;   in Loop: Header=BB65_6 Depth=1
	s_or_b64 exec, exec, s[26:27]
.LBB65_10:                              ;   in Loop: Header=BB65_6 Depth=1
	s_or_b64 exec, exec, s[24:25]
	s_and_saveexec_b64 s[8:9], s[2:3]
	s_cbranch_execz .LBB65_5
; %bb.11:                               ;   in Loop: Header=BB65_6 Depth=1
	v_lshl_add_u32 v5, v2, 2, s28
	v_add_f32_e32 v4, v7, v4
	ds_write_b32 v5, v4
	s_branch .LBB65_5
.LBB65_12:
	s_or_b64 exec, exec, s[10:11]
	s_cmp_lt_i32 s14, 1
	s_waitcnt lgkmcnt(0)
	s_barrier
	s_cbranch_scc1 .LBB65_15
; %bb.13:
	v_mov_b32_e32 v1, s28
	s_mov_b32 s2, 0xff800000
	v_mov_b32_e32 v2, 0xff800000
.LBB65_14:                              ; =>This Inner Loop Header: Depth=1
	ds_read2_b32 v[4:5], v1 offset1:1
	s_add_i32 s14, s14, -1
	s_cmp_lg_u32 s14, 0
	s_waitcnt lgkmcnt(0)
	v_cmp_nlg_f32_e32 vcc, s2, v4
	v_cndmask_b32_e64 v3, 0, 1, vcc
	v_cmp_lg_f32_e32 vcc, s2, v4
	v_cndmask_b32_e32 v4, v2, v4, vcc
	v_lshlrev_b32_e32 v3, 1, v3
	v_cmp_ngt_f32_e32 vcc, v5, v4
	v_cndmask_b32_e32 v3, 1, v3, vcc
	v_lshlrev_b32_e32 v3, 2, v3
	v_add_u32_e32 v3, s28, v3
	ds_write_b32 v3, v2
	s_cbranch_scc1 .LBB65_14
.LBB65_15:
	v_lshlrev_b32_e32 v1, 2, v0
	s_and_saveexec_b64 s[2:3], s[0:1]
	s_cbranch_execz .LBB65_20
; %bb.16:
	s_abs_i32 s12, s29
	v_cvt_f32_u32_e32 v2, s12
	s_load_dword s10, s[4:5], 0x4c
	s_sub_i32 s11, 0, s12
	s_ashr_i32 s14, s29, 31
	v_rcp_iflag_f32_e32 v2, v2
	v_lshlrev_b32_e32 v6, 2, v0
	s_waitcnt lgkmcnt(0)
	s_and_b32 s15, s10, 0xffff
	v_lshl_add_u32 v7, v0, 4, 0
	v_mul_f32_e32 v2, 0x4f7ffffe, v2
	v_cvt_u32_f32_e32 v2, v2
	s_mov_b64 s[8:9], 0
	s_lshl_b32 s22, s15, 2
	s_lshl_b32 s23, s15, 4
	v_mul_lo_u32 v3, s11, v2
	v_mul_hi_u32 v3, v2, v3
	v_add_u32_e32 v9, v2, v3
	s_mov_b32 s24, 0xff800000
	v_mov_b32_e32 v2, 0xff800000
	v_mov_b32_e32 v10, v0
	s_branch .LBB65_18
.LBB65_17:                              ;   in Loop: Header=BB65_18 Depth=1
	s_or_b64 exec, exec, s[10:11]
	v_add_u32_e32 v10, s15, v10
	v_cmp_le_i32_e32 vcc, s7, v10
	v_add_u32_e32 v6, s22, v6
	s_or_b64 s[8:9], vcc, s[8:9]
	v_add_u32_e32 v7, s23, v7
	s_andn2_b64 exec, exec, s[8:9]
	s_cbranch_execz .LBB65_20
.LBB65_18:                              ; =>This Inner Loop Header: Depth=1
	v_mul_hi_u32 v3, v6, v9
	v_mul_lo_u32 v4, v3, s12
	v_sub_u32_e32 v4, v6, v4
	v_add_u32_e32 v5, 1, v3
	v_cmp_le_u32_e32 vcc, s12, v4
	v_cndmask_b32_e32 v3, v3, v5, vcc
	v_subrev_u32_e32 v5, s12, v4
	v_cndmask_b32_e32 v4, v4, v5, vcc
	v_add_u32_e32 v5, 1, v3
	v_cmp_le_u32_e32 vcc, s12, v4
	v_cndmask_b32_e32 v3, v3, v5, vcc
	v_xor_b32_e32 v3, s14, v3
	v_subrev_u32_e32 v3, s14, v3
	v_lshl_add_u32 v3, v3, 2, s28
	ds_read_b32 v3, v3
	s_waitcnt lgkmcnt(0)
	v_cmp_neq_f32_e32 vcc, s24, v3
	s_and_saveexec_b64 s[10:11], vcc
	s_cbranch_execz .LBB65_17
; %bb.19:                               ;   in Loop: Header=BB65_18 Depth=1
	v_mov_b32_e32 v3, v2
	v_mov_b32_e32 v4, v2
	;; [unrolled: 1-line block ×3, first 2 shown]
	ds_write_b128 v7, v[2:5]
	s_branch .LBB65_17
.LBB65_20:
	s_or_b64 exec, exec, s[2:3]
	s_cmp_lt_i32 s13, 1
	s_waitcnt lgkmcnt(0)
	s_barrier
	s_cbranch_scc1 .LBB65_27
; %bb.21:
	s_add_u32 s2, s4, 64
	s_addc_u32 s3, s5, 0
	s_mov_b32 s12, 0
	v_mov_b32_e32 v4, 0
	v_mov_b32_e32 v5, 0xff800000
                                        ; implicit-def: $vgpr3
                                        ; implicit-def: $vgpr2
	s_branch .LBB65_23
.LBB65_22:                              ;   in Loop: Header=BB65_23 Depth=1
	s_or_b64 exec, exec, s[8:9]
	v_mov_b32_dpp v10, v7 quad_perm:[1,0,3,2] row_mask:0xf bank_mask:0xf
	v_cmp_lt_f32_e32 vcc, v7, v10
	v_cndmask_b32_e32 v7, v7, v10, vcc
	v_mov_b32_dpp v9, v6 quad_perm:[1,0,3,2] row_mask:0xf bank_mask:0xf
	v_cndmask_b32_e32 v6, v6, v9, vcc
	v_mov_b32_dpp v10, v7 quad_perm:[2,3,0,1] row_mask:0xf bank_mask:0xf
	v_cmp_gt_f32_e32 vcc, v10, v7
	v_cndmask_b32_e32 v7, v7, v10, vcc
	v_mov_b32_dpp v9, v6 quad_perm:[2,3,0,1] row_mask:0xf bank_mask:0xf
	v_cndmask_b32_e32 v6, v6, v9, vcc
	v_mov_b32_dpp v10, v7 row_half_mirror row_mask:0xf bank_mask:0xf
	v_cmp_gt_f32_e32 vcc, v10, v7
	v_cndmask_b32_e32 v7, v7, v10, vcc
	v_mov_b32_dpp v9, v6 row_half_mirror row_mask:0xf bank_mask:0xf
	v_cndmask_b32_e32 v6, v6, v9, vcc
	v_mov_b32_dpp v10, v7 row_mirror row_mask:0xf bank_mask:0xf
	v_cmp_gt_f32_e32 vcc, v10, v7
	v_cndmask_b32_e32 v7, v7, v10, vcc
	v_mov_b32_dpp v9, v6 row_mirror row_mask:0xf bank_mask:0xf
	v_cndmask_b32_e32 v6, v6, v9, vcc
	v_mov_b32_dpp v10, v7 row_bcast:15 row_mask:0xf bank_mask:0xf
	v_cmp_gt_f32_e32 vcc, v10, v7
	v_mov_b32_dpp v9, v6 row_bcast:15 row_mask:0xf bank_mask:0xf
	v_cndmask_b32_e32 v7, v7, v10, vcc
	v_cndmask_b32_e32 v6, v6, v9, vcc
	s_nop 0
	v_mov_b32_dpp v10, v7 row_bcast:31 row_mask:0xf bank_mask:0xf
	v_mov_b32_dpp v9, v6 row_bcast:31 row_mask:0xf bank_mask:0xf
	v_cmp_gt_f32_e32 vcc, v10, v7
	v_cndmask_b32_e32 v6, v6, v9, vcc
	v_readlane_b32 s8, v6, 63
	s_ashr_i32 s9, s8, 31
	s_lshl_b64 s[10:11], s[8:9], 1
	s_add_u32 s10, s16, s10
	s_addc_u32 s11, s17, s11
	global_load_ushort v6, v4, s[10:11]
	v_cndmask_b32_e32 v7, v7, v10, vcc
	v_readlane_b32 s9, v7, 63
	v_mov_b32_e32 v7, s8
	s_lshl_b32 s8, s8, 2
	v_cmp_eq_u32_e32 vcc, s12, v0
	s_add_i32 s12, s12, 1
	s_add_i32 s8, s8, 0
	v_cndmask_b32_e32 v2, v2, v7, vcc
	v_mov_b32_e32 v7, s8
	s_cmp_eq_u32 s12, s13
	ds_write_b32 v7, v5
	s_waitcnt vmcnt(0)
	v_cvt_f32_f16_e32 v6, v6
	v_sub_f32_e32 v6, s9, v6
	v_cndmask_b32_e32 v3, v3, v6, vcc
	s_cbranch_scc1 .LBB65_28
.LBB65_23:                              ; =>This Loop Header: Depth=1
                                        ;     Child Loop BB65_25 Depth 2
	v_mov_b32_e32 v6, s12
	v_mov_b32_e32 v7, 0xff800000
	s_and_saveexec_b64 s[8:9], s[0:1]
	s_cbranch_execz .LBB65_22
; %bb.24:                               ;   in Loop: Header=BB65_23 Depth=1
	s_load_dword s14, s[2:3], 0xc
	s_mov_b64 s[10:11], 0
	v_mov_b32_e32 v6, s12
	v_mov_b32_e32 v7, 0xff800000
	;; [unrolled: 1-line block ×3, first 2 shown]
	s_waitcnt lgkmcnt(0)
	s_and_b32 s14, s14, 0xffff
	s_lshl_b32 s15, s14, 2
	s_lshl_b32 s22, s14, 4
	v_mov_b32_e32 v10, v1
	v_mov_b32_e32 v11, v0
.LBB65_25:                              ;   Parent Loop BB65_23 Depth=1
                                        ; =>  This Inner Loop Header: Depth=2
	ds_read_b128 v[12:15], v9
	v_add_u32_e32 v11, s14, v11
	v_cmp_le_i32_e32 vcc, s7, v11
	s_or_b64 s[10:11], vcc, s[10:11]
	v_add_u32_e32 v16, 1, v10
	s_waitcnt lgkmcnt(0)
	v_cmp_gt_f32_e32 vcc, v12, v7
	v_cndmask_b32_e32 v7, v7, v12, vcc
	v_cndmask_b32_e32 v6, v6, v10, vcc
	v_cmp_gt_f32_e32 vcc, v13, v7
	v_cndmask_b32_e32 v7, v7, v13, vcc
	v_cndmask_b32_e32 v6, v6, v16, vcc
	v_cmp_gt_f32_e32 vcc, v14, v7
	v_add_u32_e32 v17, 2, v10
	v_cndmask_b32_e32 v7, v7, v14, vcc
	v_add_u32_e32 v18, 3, v10
	v_cndmask_b32_e32 v6, v6, v17, vcc
	v_cmp_gt_f32_e32 vcc, v15, v7
	v_add_u32_e32 v9, s22, v9
	v_add_u32_e32 v10, s15, v10
	v_cndmask_b32_e32 v7, v7, v15, vcc
	v_cndmask_b32_e32 v6, v6, v18, vcc
	s_andn2_b64 exec, exec, s[10:11]
	s_cbranch_execnz .LBB65_25
; %bb.26:                               ;   in Loop: Header=BB65_23 Depth=1
	s_or_b64 exec, exec, s[10:11]
	s_branch .LBB65_22
.LBB65_27:
                                        ; implicit-def: $vgpr3
                                        ; implicit-def: $vgpr2
.LBB65_28:
	v_cmp_gt_i32_e32 vcc, s13, v0
	s_and_saveexec_b64 s[0:1], vcc
	s_cbranch_execz .LBB65_31
; %bb.29:
	s_load_dword s2, s[4:5], 0x38
	s_load_dwordx2 s[0:1], s[4:5], 0x20
	s_ashr_i32 s3, s6, 31
	s_load_dword s4, s[4:5], 0x4c
	v_mov_b32_e32 v4, s19
	s_waitcnt lgkmcnt(0)
	v_mul_f32_e32 v1, s2, v3
	s_mul_i32 s1, s6, s1
	s_mul_hi_u32 s2, s6, s0
	s_add_i32 s1, s2, s1
	s_mul_i32 s3, s3, s0
	s_add_i32 s5, s1, s3
	s_mul_i32 s2, s6, s0
	s_and_b32 s3, s4, 0xffff
	s_mov_b64 s[0:1], 0
	v_mov_b32_e32 v3, s5
	v_mov_b32_e32 v5, s21
.LBB65_30:                              ; =>This Inner Loop Header: Depth=1
	v_ashrrev_i32_e32 v7, 31, v0
	v_add_co_u32_e32 v6, vcc, s2, v0
	v_addc_co_u32_e32 v7, vcc, v3, v7, vcc
	v_add_u32_e32 v0, s3, v0
	v_cmp_le_i32_e32 vcc, s13, v0
	v_lshlrev_b64 v[6:7], 2, v[6:7]
	s_or_b64 s[0:1], vcc, s[0:1]
	v_add_co_u32_e32 v8, vcc, s18, v6
	v_addc_co_u32_e32 v9, vcc, v4, v7, vcc
	v_add_co_u32_e32 v6, vcc, s20, v6
	v_addc_co_u32_e32 v7, vcc, v5, v7, vcc
	global_store_dword v[8:9], v1, off
	global_store_dword v[6:7], v2, off
	s_andn2_b64 exec, exec, s[0:1]
	s_cbranch_execnz .LBB65_30
.LBB65_31:
	s_endpgm
	.section	.rodata,"a",@progbits
	.p2align	6, 0x0
	.amdhsa_kernel _ZN5aiter19grouped_topk_kernelIN3c104HalfEDv4_fLi2ELb0ELb1ELb0EEEvPT_PKS4_PfPimiiiif
		.amdhsa_group_segment_fixed_size 0
		.amdhsa_private_segment_fixed_size 0
		.amdhsa_kernarg_size 320
		.amdhsa_user_sgpr_count 6
		.amdhsa_user_sgpr_private_segment_buffer 1
		.amdhsa_user_sgpr_dispatch_ptr 0
		.amdhsa_user_sgpr_queue_ptr 0
		.amdhsa_user_sgpr_kernarg_segment_ptr 1
		.amdhsa_user_sgpr_dispatch_id 0
		.amdhsa_user_sgpr_flat_scratch_init 0
		.amdhsa_user_sgpr_kernarg_preload_length 0
		.amdhsa_user_sgpr_kernarg_preload_offset 0
		.amdhsa_user_sgpr_private_segment_size 0
		.amdhsa_uses_dynamic_stack 0
		.amdhsa_system_sgpr_private_segment_wavefront_offset 0
		.amdhsa_system_sgpr_workgroup_id_x 1
		.amdhsa_system_sgpr_workgroup_id_y 0
		.amdhsa_system_sgpr_workgroup_id_z 0
		.amdhsa_system_sgpr_workgroup_info 0
		.amdhsa_system_vgpr_workitem_id 0
		.amdhsa_next_free_vgpr 38
		.amdhsa_next_free_sgpr 35
		.amdhsa_accum_offset 40
		.amdhsa_reserve_vcc 1
		.amdhsa_reserve_flat_scratch 0
		.amdhsa_float_round_mode_32 0
		.amdhsa_float_round_mode_16_64 0
		.amdhsa_float_denorm_mode_32 3
		.amdhsa_float_denorm_mode_16_64 3
		.amdhsa_dx10_clamp 1
		.amdhsa_ieee_mode 1
		.amdhsa_fp16_overflow 0
		.amdhsa_tg_split 0
		.amdhsa_exception_fp_ieee_invalid_op 0
		.amdhsa_exception_fp_denorm_src 0
		.amdhsa_exception_fp_ieee_div_zero 0
		.amdhsa_exception_fp_ieee_overflow 0
		.amdhsa_exception_fp_ieee_underflow 0
		.amdhsa_exception_fp_ieee_inexact 0
		.amdhsa_exception_int_div_zero 0
	.end_amdhsa_kernel
	.section	.text._ZN5aiter19grouped_topk_kernelIN3c104HalfEDv4_fLi2ELb0ELb1ELb0EEEvPT_PKS4_PfPimiiiif,"axG",@progbits,_ZN5aiter19grouped_topk_kernelIN3c104HalfEDv4_fLi2ELb0ELb1ELb0EEEvPT_PKS4_PfPimiiiif,comdat
.Lfunc_end65:
	.size	_ZN5aiter19grouped_topk_kernelIN3c104HalfEDv4_fLi2ELb0ELb1ELb0EEEvPT_PKS4_PfPimiiiif, .Lfunc_end65-_ZN5aiter19grouped_topk_kernelIN3c104HalfEDv4_fLi2ELb0ELb1ELb0EEEvPT_PKS4_PfPimiiiif
                                        ; -- End function
	.section	.AMDGPU.csdata,"",@progbits
; Kernel info:
; codeLenInByte = 2492
; NumSgprs: 39
; NumVgprs: 38
; NumAgprs: 0
; TotalNumVgprs: 38
; ScratchSize: 0
; MemoryBound: 0
; FloatMode: 240
; IeeeMode: 1
; LDSByteSize: 0 bytes/workgroup (compile time only)
; SGPRBlocks: 4
; VGPRBlocks: 4
; NumSGPRsForWavesPerEU: 39
; NumVGPRsForWavesPerEU: 38
; AccumOffset: 40
; Occupancy: 8
; WaveLimiterHint : 0
; COMPUTE_PGM_RSRC2:SCRATCH_EN: 0
; COMPUTE_PGM_RSRC2:USER_SGPR: 6
; COMPUTE_PGM_RSRC2:TRAP_HANDLER: 0
; COMPUTE_PGM_RSRC2:TGID_X_EN: 1
; COMPUTE_PGM_RSRC2:TGID_Y_EN: 0
; COMPUTE_PGM_RSRC2:TGID_Z_EN: 0
; COMPUTE_PGM_RSRC2:TIDIG_COMP_CNT: 0
; COMPUTE_PGM_RSRC3_GFX90A:ACCUM_OFFSET: 9
; COMPUTE_PGM_RSRC3_GFX90A:TG_SPLIT: 0
	.section	.text._ZN5aiter19grouped_topk_kernelIN3c108BFloat16EDv4_fLi2ELb0ELb1ELb0EEEvPT_PKS4_PfPimiiiif,"axG",@progbits,_ZN5aiter19grouped_topk_kernelIN3c108BFloat16EDv4_fLi2ELb0ELb1ELb0EEEvPT_PKS4_PfPimiiiif,comdat
	.protected	_ZN5aiter19grouped_topk_kernelIN3c108BFloat16EDv4_fLi2ELb0ELb1ELb0EEEvPT_PKS4_PfPimiiiif ; -- Begin function _ZN5aiter19grouped_topk_kernelIN3c108BFloat16EDv4_fLi2ELb0ELb1ELb0EEEvPT_PKS4_PfPimiiiif
	.globl	_ZN5aiter19grouped_topk_kernelIN3c108BFloat16EDv4_fLi2ELb0ELb1ELb0EEEvPT_PKS4_PfPimiiiif
	.p2align	8
	.type	_ZN5aiter19grouped_topk_kernelIN3c108BFloat16EDv4_fLi2ELb0ELb1ELb0EEEvPT_PKS4_PfPimiiiif,@function
_ZN5aiter19grouped_topk_kernelIN3c108BFloat16EDv4_fLi2ELb0ELb1ELb0EEEvPT_PKS4_PfPimiiiif: ; @_ZN5aiter19grouped_topk_kernelIN3c108BFloat16EDv4_fLi2ELb0ELb1ELb0EEEvPT_PKS4_PfPimiiiif
; %bb.0:
	s_load_dwordx4 s[12:15], s[4:5], 0x28
	s_load_dwordx4 s[16:19], s[4:5], 0x8
	s_load_dwordx2 s[20:21], s[4:5], 0x18
	v_lshl_add_u32 v8, v0, 4, 0
	s_waitcnt lgkmcnt(0)
	s_ashr_i32 s15, s12, 31
	s_lshr_b32 s0, s15, 30
	s_add_i32 s0, s12, s0
	s_ashr_i32 s7, s0, 2
	v_cmp_gt_i32_e64 s[0:1], s7, v0
	s_and_saveexec_b64 s[22:23], s[0:1]
	s_cbranch_execz .LBB66_3
; %bb.1:
	s_load_dwordx2 s[2:3], s[4:5], 0x0
	s_load_dword s10, s[4:5], 0x4c
	s_mul_i32 s8, s6, s12
	s_ashr_i32 s9, s8, 31
	s_lshl_b64 s[8:9], s[8:9], 1
	s_waitcnt lgkmcnt(0)
	s_add_u32 s26, s2, s8
	s_addc_u32 s2, s3, s9
	s_and_b32 s27, s10, 0xffff
	s_mov_b32 s3, 0
	v_lshlrev_b32_e32 v2, 3, v0
	v_mov_b32_e32 v1, 0
	s_lshl_b32 s28, s27, 3
	v_lshl_add_u32 v3, v0, 4, 0
	s_lshl_b32 s29, s27, 4
	s_mov_b64 s[24:25], 0
	v_mov_b32_e32 v9, s2
	v_mov_b32_e32 v10, s17
	s_mov_b32 s30, 0xbfb8aa3b
	s_mov_b32 s31, 0x42ce8ed0
	;; [unrolled: 1-line block ×3, first 2 shown]
	v_mov_b32_e32 v11, 0x7f800000
	v_mov_b32_e32 v12, s3
	;; [unrolled: 1-line block ×3, first 2 shown]
.LBB66_2:                               ; =>This Inner Loop Header: Depth=1
	v_add_co_u32_e32 v4, vcc, s26, v2
	v_addc_co_u32_e32 v5, vcc, v9, v1, vcc
	v_add_co_u32_e32 v6, vcc, s16, v2
	v_addc_co_u32_e32 v7, vcc, v10, v1, vcc
	global_load_dwordx2 v[14:15], v[4:5], off
	global_load_dwordx2 v[16:17], v[6:7], off
	v_add_co_u32_e32 v2, vcc, s28, v2
	v_add_u32_e32 v13, s27, v13
	v_addc_co_u32_e32 v1, vcc, v1, v12, vcc
	v_cmp_le_i32_e32 vcc, s7, v13
	s_or_b64 s[24:25], vcc, s[24:25]
	s_waitcnt vmcnt(1)
	v_cvt_f32_u32_sdwa v18, v14 dst_sel:DWORD dst_unused:UNUSED_PAD src0_sel:WORD_0
	v_cvt_f32_u32_sdwa v14, v14 dst_sel:DWORD dst_unused:UNUSED_PAD src0_sel:WORD_1
	s_waitcnt vmcnt(0)
	v_cvt_f32_u32_sdwa v5, v16 dst_sel:DWORD dst_unused:UNUSED_PAD src0_sel:WORD_1
	v_cvt_f32_u32_sdwa v4, v16 dst_sel:DWORD dst_unused:UNUSED_PAD src0_sel:WORD_0
	v_cvt_f32_u32_sdwa v16, v15 dst_sel:DWORD dst_unused:UNUSED_PAD src0_sel:WORD_0
	v_cvt_f32_u32_sdwa v15, v15 dst_sel:DWORD dst_unused:UNUSED_PAD src0_sel:WORD_1
	v_cvt_f32_u32_sdwa v7, v17 dst_sel:DWORD dst_unused:UNUSED_PAD src0_sel:WORD_1
	v_cvt_f32_u32_sdwa v6, v17 dst_sel:DWORD dst_unused:UNUSED_PAD src0_sel:WORD_0
	v_mul_f32_e32 v17, 0xbfb8aa3b, v14
	v_mul_f32_e32 v19, 0xbfb8aa3b, v18
	;; [unrolled: 1-line block ×3, first 2 shown]
	v_fma_f32 v22, v14, s30, -v17
	v_rndne_f32_e32 v23, v17
	v_fma_f32 v24, v18, s30, -v19
	v_rndne_f32_e32 v25, v19
	v_mul_f32_e32 v21, 0xbfb8aa3b, v16
	v_fma_f32 v26, v15, s30, -v20
	v_rndne_f32_e32 v27, v20
	v_fmac_f32_e32 v22, 0xb2a5705f, v14
	v_sub_f32_e32 v17, v17, v23
	v_fmac_f32_e32 v24, 0xb2a5705f, v18
	v_sub_f32_e32 v19, v19, v25
	v_fma_f32 v28, v16, s30, -v21
	v_rndne_f32_e32 v29, v21
	v_fmac_f32_e32 v26, 0xb2a5705f, v15
	v_sub_f32_e32 v20, v20, v27
	v_add_f32_e32 v17, v17, v22
	v_add_f32_e32 v19, v19, v24
	v_cvt_i32_f32_e32 v23, v23
	v_cvt_i32_f32_e32 v25, v25
	v_fmac_f32_e32 v28, 0xb2a5705f, v16
	v_sub_f32_e32 v21, v21, v29
	v_add_f32_e32 v20, v20, v26
	v_exp_f32_e32 v17, v17
	v_exp_f32_e32 v19, v19
	v_cvt_i32_f32_e32 v27, v27
	v_add_f32_e32 v21, v21, v28
	v_exp_f32_e32 v20, v20
	v_cvt_i32_f32_e32 v29, v29
	v_exp_f32_e32 v21, v21
	v_ldexp_f32 v17, v17, v23
	v_ldexp_f32 v19, v19, v25
	v_cmp_nlt_f32_e32 vcc, s31, v18
	v_cmp_nlt_f32_e64 s[10:11], s31, v14
	v_ldexp_f32 v20, v20, v27
	v_cmp_nlt_f32_e64 s[2:3], s31, v15
	v_cndmask_b32_e64 v17, 0, v17, s[10:11]
	v_cndmask_b32_e32 v19, 0, v19, vcc
	v_cmp_ngt_f32_e32 vcc, s33, v18
	v_cmp_ngt_f32_e64 s[10:11], s33, v14
	v_ldexp_f32 v21, v21, v29
	v_cmp_nlt_f32_e64 s[8:9], s31, v16
	v_cndmask_b32_e64 v18, 0, v20, s[2:3]
	v_cmp_ngt_f32_e64 s[2:3], s33, v15
	v_cndmask_b32_e64 v15, v11, v17, s[10:11]
	v_cndmask_b32_e32 v14, v11, v19, vcc
	v_cndmask_b32_e64 v20, 0, v21, s[8:9]
	v_cmp_ngt_f32_e64 s[8:9], s33, v16
	v_pk_add_f32 v[14:15], v[14:15], 1.0 op_sel_hi:[1,0]
	v_cndmask_b32_e64 v17, v11, v18, s[2:3]
	v_cndmask_b32_e64 v16, v11, v20, s[8:9]
	v_div_scale_f32 v18, s[2:3], v15, v15, 1.0
	v_pk_add_f32 v[16:17], v[16:17], 1.0 op_sel_hi:[1,0]
	v_div_scale_f32 v20, s[2:3], v14, v14, 1.0
	v_rcp_f32_e32 v26, v18
	v_div_scale_f32 v22, s[8:9], v17, v17, 1.0
	v_rcp_f32_e32 v27, v20
	;; [unrolled: 2-line block ×3, first 2 shown]
	v_rcp_f32_e32 v29, v24
	v_fma_f32 v30, -v18, v26, 1.0
	v_div_scale_f32 v19, vcc, 1.0, v15, 1.0
	v_fma_f32 v31, -v20, v27, 1.0
	v_fmac_f32_e32 v26, v30, v26
	v_div_scale_f32 v21, s[2:3], 1.0, v14, 1.0
	v_fma_f32 v32, -v22, v28, 1.0
	v_fmac_f32_e32 v27, v31, v27
	v_mul_f32_e32 v30, v19, v26
	v_div_scale_f32 v23, s[8:9], 1.0, v17, 1.0
	v_fma_f32 v33, -v24, v29, 1.0
	v_fmac_f32_e32 v28, v32, v28
	v_mul_f32_e32 v31, v21, v27
	v_fma_f32 v34, -v18, v30, v19
	v_div_scale_f32 v25, s[10:11], 1.0, v16, 1.0
	v_fmac_f32_e32 v29, v33, v29
	v_mul_f32_e32 v32, v23, v28
	v_fma_f32 v35, -v20, v31, v21
	v_fmac_f32_e32 v30, v34, v26
	v_mul_f32_e32 v33, v25, v29
	v_fma_f32 v36, -v22, v32, v23
	v_fmac_f32_e32 v31, v35, v27
	v_fma_f32 v18, -v18, v30, v19
	v_fma_f32 v37, -v24, v33, v25
	v_fmac_f32_e32 v32, v36, v28
	v_fma_f32 v19, -v20, v31, v21
	v_div_fmas_f32 v18, v18, v26, v30
	s_mov_b64 vcc, s[2:3]
	v_fmac_f32_e32 v33, v37, v29
	v_fma_f32 v20, -v22, v32, v23
	v_div_fixup_f32 v15, v18, v15, 1.0
	v_div_fmas_f32 v18, v19, v27, v31
	s_mov_b64 vcc, s[8:9]
	v_fma_f32 v21, -v24, v33, v25
	v_div_fixup_f32 v14, v18, v14, 1.0
	v_div_fmas_f32 v18, v20, v28, v32
	s_mov_b64 vcc, s[10:11]
	v_div_fixup_f32 v17, v18, v17, 1.0
	v_div_fmas_f32 v18, v21, v29, v33
	v_div_fixup_f32 v16, v18, v16, 1.0
	v_pk_add_f32 v[4:5], v[14:15], v[4:5]
	v_pk_add_f32 v[6:7], v[16:17], v[6:7]
	ds_write_b128 v3, v[4:7]
	v_add_u32_e32 v3, s29, v3
	s_andn2_b64 exec, exec, s[24:25]
	s_cbranch_execnz .LBB66_2
.LBB66_3:
	s_or_b64 exec, exec, s[22:23]
	s_lshr_b32 s2, s12, 31
	s_add_i32 s2, s12, s2
	s_ashr_i32 s29, s2, 1
	s_lshl_b32 s2, s12, 2
	s_add_i32 s28, s2, 0
	v_cmp_gt_u32_e32 vcc, 64, v0
	s_waitcnt lgkmcnt(0)
	s_barrier
	s_and_saveexec_b64 s[10:11], vcc
	s_cbranch_execz .LBB66_12
; %bb.4:
	s_load_dword s8, s[4:5], 0x4c
	v_lshrrev_b32_e32 v2, 5, v0
	s_lshr_b32 s2, s15, 29
	v_and_b32_e32 v1, 31, v0
	s_add_i32 s2, s12, s2
	s_waitcnt lgkmcnt(0)
	s_bfe_u32 s15, s8, 0xb0005
	v_mul_lo_u32 v3, s29, v2
	s_ashr_i32 s12, s2, 3
	v_lshlrev_b32_e32 v3, 2, v3
	v_lshlrev_b32_e32 v4, 4, v1
	s_mul_i32 s8, s29, s15
	v_cmp_gt_i32_e32 vcc, s12, v1
	v_cmp_eq_u32_e64 s[2:3], 0, v1
	v_add3_u32 v3, v3, v4, 0
	s_lshl_b32 s30, s8, 2
	s_mov_b64 s[22:23], 0
	s_branch .LBB66_6
.LBB66_5:                               ;   in Loop: Header=BB66_6 Depth=1
	s_or_b64 exec, exec, s[8:9]
	v_add_u32_e32 v2, s15, v2
	v_cmp_lt_u32_e64 s[8:9], 1, v2
	s_or_b64 s[22:23], s[8:9], s[22:23]
	v_add_u32_e32 v3, s30, v3
	s_andn2_b64 exec, exec, s[22:23]
	s_cbranch_execz .LBB66_12
.LBB66_6:                               ; =>This Loop Header: Depth=1
                                        ;     Child Loop BB66_8 Depth 2
	v_mov_b32_e32 v4, 0xff800000
	v_mov_b32_e32 v7, 0xff800000
	s_and_saveexec_b64 s[24:25], vcc
	s_cbranch_execz .LBB66_10
; %bb.7:                                ;   in Loop: Header=BB66_6 Depth=1
	s_mov_b64 s[26:27], 0
	v_mov_b32_e32 v4, 0xff800000
	v_mov_b32_e32 v5, v3
	;; [unrolled: 1-line block ×4, first 2 shown]
.LBB66_8:                               ;   Parent Loop BB66_6 Depth=1
                                        ; =>  This Inner Loop Header: Depth=2
	ds_read_b128 v[10:13], v5
	v_add_u32_e32 v6, 32, v6
	v_max_f32_e32 v7, v7, v7
	v_cmp_le_i32_e64 s[8:9], s12, v6
	s_or_b64 s[26:27], s[8:9], s[26:27]
	s_waitcnt lgkmcnt(0)
	v_max_f32_e32 v14, v10, v10
	v_max_f32_e32 v7, v14, v7
	v_cmp_gt_f32_e64 s[8:9], v10, v4
	v_max_f32_e32 v9, v4, v4
	v_cndmask_b32_e64 v4, v7, v4, s[8:9]
	v_max_f32_e32 v15, v11, v11
	v_max_f32_e32 v9, v14, v9
	v_max_f32_e32 v4, v4, v4
	v_max_f32_e32 v14, v15, v4
	v_cmp_gt_f32_e64 s[8:9], v11, v9
	v_max_f32_e32 v16, v12, v12
	v_max_f32_e32 v7, v15, v9
	v_cndmask_b32_e64 v9, v14, v9, s[8:9]
	v_max_f32_e32 v9, v16, v9
	v_cmp_gt_f32_e64 s[8:9], v12, v7
	v_max_f32_e32 v17, v13, v13
	v_max_f32_e32 v10, v16, v7
	v_cndmask_b32_e64 v7, v9, v7, s[8:9]
	v_max_f32_e32 v7, v17, v7
	v_cmp_gt_f32_e64 s[8:9], v13, v10
	v_add_u32_e32 v5, 0x200, v5
	v_max_f32_e32 v4, v17, v10
	v_cndmask_b32_e64 v7, v7, v10, s[8:9]
	s_andn2_b64 exec, exec, s[26:27]
	s_cbranch_execnz .LBB66_8
; %bb.9:                                ;   in Loop: Header=BB66_6 Depth=1
	s_or_b64 exec, exec, s[26:27]
.LBB66_10:                              ;   in Loop: Header=BB66_6 Depth=1
	s_or_b64 exec, exec, s[24:25]
	s_and_saveexec_b64 s[8:9], s[2:3]
	s_cbranch_execz .LBB66_5
; %bb.11:                               ;   in Loop: Header=BB66_6 Depth=1
	v_lshl_add_u32 v5, v2, 2, s28
	v_add_f32_e32 v4, v7, v4
	ds_write_b32 v5, v4
	s_branch .LBB66_5
.LBB66_12:
	s_or_b64 exec, exec, s[10:11]
	s_cmp_lt_i32 s14, 1
	s_waitcnt lgkmcnt(0)
	s_barrier
	s_cbranch_scc1 .LBB66_15
; %bb.13:
	v_mov_b32_e32 v1, s28
	s_mov_b32 s2, 0xff800000
	v_mov_b32_e32 v2, 0xff800000
.LBB66_14:                              ; =>This Inner Loop Header: Depth=1
	ds_read2_b32 v[4:5], v1 offset1:1
	s_add_i32 s14, s14, -1
	s_cmp_lg_u32 s14, 0
	s_waitcnt lgkmcnt(0)
	v_cmp_nlg_f32_e32 vcc, s2, v4
	v_cndmask_b32_e64 v3, 0, 1, vcc
	v_cmp_lg_f32_e32 vcc, s2, v4
	v_cndmask_b32_e32 v4, v2, v4, vcc
	v_lshlrev_b32_e32 v3, 1, v3
	v_cmp_ngt_f32_e32 vcc, v5, v4
	v_cndmask_b32_e32 v3, 1, v3, vcc
	v_lshlrev_b32_e32 v3, 2, v3
	v_add_u32_e32 v3, s28, v3
	ds_write_b32 v3, v2
	s_cbranch_scc1 .LBB66_14
.LBB66_15:
	v_lshlrev_b32_e32 v1, 2, v0
	s_and_saveexec_b64 s[2:3], s[0:1]
	s_cbranch_execz .LBB66_20
; %bb.16:
	s_abs_i32 s12, s29
	v_cvt_f32_u32_e32 v2, s12
	s_load_dword s10, s[4:5], 0x4c
	s_sub_i32 s11, 0, s12
	s_ashr_i32 s14, s29, 31
	v_rcp_iflag_f32_e32 v2, v2
	v_lshlrev_b32_e32 v6, 2, v0
	s_waitcnt lgkmcnt(0)
	s_and_b32 s15, s10, 0xffff
	v_lshl_add_u32 v7, v0, 4, 0
	v_mul_f32_e32 v2, 0x4f7ffffe, v2
	v_cvt_u32_f32_e32 v2, v2
	s_mov_b64 s[8:9], 0
	s_lshl_b32 s22, s15, 2
	s_lshl_b32 s23, s15, 4
	v_mul_lo_u32 v3, s11, v2
	v_mul_hi_u32 v3, v2, v3
	v_add_u32_e32 v9, v2, v3
	s_mov_b32 s24, 0xff800000
	v_mov_b32_e32 v2, 0xff800000
	v_mov_b32_e32 v10, v0
	s_branch .LBB66_18
.LBB66_17:                              ;   in Loop: Header=BB66_18 Depth=1
	s_or_b64 exec, exec, s[10:11]
	v_add_u32_e32 v10, s15, v10
	v_cmp_le_i32_e32 vcc, s7, v10
	v_add_u32_e32 v6, s22, v6
	s_or_b64 s[8:9], vcc, s[8:9]
	v_add_u32_e32 v7, s23, v7
	s_andn2_b64 exec, exec, s[8:9]
	s_cbranch_execz .LBB66_20
.LBB66_18:                              ; =>This Inner Loop Header: Depth=1
	v_mul_hi_u32 v3, v6, v9
	v_mul_lo_u32 v4, v3, s12
	v_sub_u32_e32 v4, v6, v4
	v_add_u32_e32 v5, 1, v3
	v_cmp_le_u32_e32 vcc, s12, v4
	v_cndmask_b32_e32 v3, v3, v5, vcc
	v_subrev_u32_e32 v5, s12, v4
	v_cndmask_b32_e32 v4, v4, v5, vcc
	v_add_u32_e32 v5, 1, v3
	v_cmp_le_u32_e32 vcc, s12, v4
	v_cndmask_b32_e32 v3, v3, v5, vcc
	v_xor_b32_e32 v3, s14, v3
	v_subrev_u32_e32 v3, s14, v3
	v_lshl_add_u32 v3, v3, 2, s28
	ds_read_b32 v3, v3
	s_waitcnt lgkmcnt(0)
	v_cmp_neq_f32_e32 vcc, s24, v3
	s_and_saveexec_b64 s[10:11], vcc
	s_cbranch_execz .LBB66_17
; %bb.19:                               ;   in Loop: Header=BB66_18 Depth=1
	v_mov_b32_e32 v3, v2
	v_mov_b32_e32 v4, v2
	;; [unrolled: 1-line block ×3, first 2 shown]
	ds_write_b128 v7, v[2:5]
	s_branch .LBB66_17
.LBB66_20:
	s_or_b64 exec, exec, s[2:3]
	s_cmp_lt_i32 s13, 1
	s_waitcnt lgkmcnt(0)
	s_barrier
	s_cbranch_scc1 .LBB66_27
; %bb.21:
	s_add_u32 s2, s4, 64
	s_addc_u32 s3, s5, 0
	s_mov_b32 s12, 0
	v_mov_b32_e32 v4, 0
	v_mov_b32_e32 v5, 0xff800000
                                        ; implicit-def: $vgpr3
                                        ; implicit-def: $vgpr2
	s_branch .LBB66_23
.LBB66_22:                              ;   in Loop: Header=BB66_23 Depth=1
	s_or_b64 exec, exec, s[8:9]
	v_mov_b32_dpp v10, v7 quad_perm:[1,0,3,2] row_mask:0xf bank_mask:0xf
	v_cmp_lt_f32_e32 vcc, v7, v10
	v_cndmask_b32_e32 v7, v7, v10, vcc
	v_mov_b32_dpp v9, v6 quad_perm:[1,0,3,2] row_mask:0xf bank_mask:0xf
	v_cndmask_b32_e32 v6, v6, v9, vcc
	v_mov_b32_dpp v10, v7 quad_perm:[2,3,0,1] row_mask:0xf bank_mask:0xf
	v_cmp_gt_f32_e32 vcc, v10, v7
	v_cndmask_b32_e32 v7, v7, v10, vcc
	v_mov_b32_dpp v9, v6 quad_perm:[2,3,0,1] row_mask:0xf bank_mask:0xf
	v_cndmask_b32_e32 v6, v6, v9, vcc
	v_mov_b32_dpp v10, v7 row_half_mirror row_mask:0xf bank_mask:0xf
	v_cmp_gt_f32_e32 vcc, v10, v7
	v_cndmask_b32_e32 v7, v7, v10, vcc
	v_mov_b32_dpp v9, v6 row_half_mirror row_mask:0xf bank_mask:0xf
	v_cndmask_b32_e32 v6, v6, v9, vcc
	v_mov_b32_dpp v10, v7 row_mirror row_mask:0xf bank_mask:0xf
	v_cmp_gt_f32_e32 vcc, v10, v7
	v_cndmask_b32_e32 v7, v7, v10, vcc
	v_mov_b32_dpp v9, v6 row_mirror row_mask:0xf bank_mask:0xf
	v_cndmask_b32_e32 v6, v6, v9, vcc
	v_mov_b32_dpp v10, v7 row_bcast:15 row_mask:0xf bank_mask:0xf
	v_cmp_gt_f32_e32 vcc, v10, v7
	v_mov_b32_dpp v9, v6 row_bcast:15 row_mask:0xf bank_mask:0xf
	v_cndmask_b32_e32 v7, v7, v10, vcc
	v_cndmask_b32_e32 v6, v6, v9, vcc
	s_nop 0
	v_mov_b32_dpp v10, v7 row_bcast:31 row_mask:0xf bank_mask:0xf
	v_mov_b32_dpp v9, v6 row_bcast:31 row_mask:0xf bank_mask:0xf
	v_cmp_gt_f32_e32 vcc, v10, v7
	v_cndmask_b32_e32 v6, v6, v9, vcc
	v_readlane_b32 s8, v6, 63
	s_ashr_i32 s9, s8, 31
	s_lshl_b64 s[10:11], s[8:9], 1
	s_add_u32 s10, s16, s10
	s_addc_u32 s11, s17, s11
	global_load_ushort v6, v4, s[10:11]
	v_cndmask_b32_e32 v7, v7, v10, vcc
	v_readlane_b32 s9, v7, 63
	v_mov_b32_e32 v7, s8
	s_lshl_b32 s8, s8, 2
	v_cmp_eq_u32_e32 vcc, s12, v0
	s_add_i32 s8, s8, 0
	v_cndmask_b32_e32 v2, v2, v7, vcc
	v_mov_b32_e32 v7, s8
	ds_write_b32 v7, v5
	s_add_i32 s12, s12, 1
	s_cmp_eq_u32 s12, s13
	s_waitcnt vmcnt(0)
	v_and_b32_e32 v7, 0xff, v6
	v_lshlrev_b32_e32 v6, 16, v6
	v_lshlrev_b32_e32 v7, 16, v7
	v_and_b32_e32 v6, 0xff000000, v6
	v_or_b32_e32 v6, v7, v6
	v_sub_f32_e32 v6, s9, v6
	v_cndmask_b32_e32 v3, v3, v6, vcc
	s_cbranch_scc1 .LBB66_28
.LBB66_23:                              ; =>This Loop Header: Depth=1
                                        ;     Child Loop BB66_25 Depth 2
	v_mov_b32_e32 v6, s12
	v_mov_b32_e32 v7, 0xff800000
	s_and_saveexec_b64 s[8:9], s[0:1]
	s_cbranch_execz .LBB66_22
; %bb.24:                               ;   in Loop: Header=BB66_23 Depth=1
	s_load_dword s14, s[2:3], 0xc
	s_mov_b64 s[10:11], 0
	v_mov_b32_e32 v6, s12
	v_mov_b32_e32 v7, 0xff800000
	;; [unrolled: 1-line block ×3, first 2 shown]
	s_waitcnt lgkmcnt(0)
	s_and_b32 s14, s14, 0xffff
	s_lshl_b32 s15, s14, 2
	s_lshl_b32 s22, s14, 4
	v_mov_b32_e32 v10, v1
	v_mov_b32_e32 v11, v0
.LBB66_25:                              ;   Parent Loop BB66_23 Depth=1
                                        ; =>  This Inner Loop Header: Depth=2
	ds_read_b128 v[12:15], v9
	v_add_u32_e32 v11, s14, v11
	v_cmp_le_i32_e32 vcc, s7, v11
	s_or_b64 s[10:11], vcc, s[10:11]
	v_add_u32_e32 v16, 1, v10
	s_waitcnt lgkmcnt(0)
	v_cmp_gt_f32_e32 vcc, v12, v7
	v_cndmask_b32_e32 v7, v7, v12, vcc
	v_cndmask_b32_e32 v6, v6, v10, vcc
	v_cmp_gt_f32_e32 vcc, v13, v7
	v_cndmask_b32_e32 v7, v7, v13, vcc
	v_cndmask_b32_e32 v6, v6, v16, vcc
	v_cmp_gt_f32_e32 vcc, v14, v7
	v_add_u32_e32 v17, 2, v10
	v_cndmask_b32_e32 v7, v7, v14, vcc
	v_add_u32_e32 v18, 3, v10
	v_cndmask_b32_e32 v6, v6, v17, vcc
	v_cmp_gt_f32_e32 vcc, v15, v7
	v_add_u32_e32 v9, s22, v9
	v_add_u32_e32 v10, s15, v10
	v_cndmask_b32_e32 v7, v7, v15, vcc
	v_cndmask_b32_e32 v6, v6, v18, vcc
	s_andn2_b64 exec, exec, s[10:11]
	s_cbranch_execnz .LBB66_25
; %bb.26:                               ;   in Loop: Header=BB66_23 Depth=1
	s_or_b64 exec, exec, s[10:11]
	s_branch .LBB66_22
.LBB66_27:
                                        ; implicit-def: $vgpr3
                                        ; implicit-def: $vgpr2
.LBB66_28:
	v_cmp_gt_i32_e32 vcc, s13, v0
	s_and_saveexec_b64 s[0:1], vcc
	s_cbranch_execz .LBB66_31
; %bb.29:
	s_load_dword s2, s[4:5], 0x38
	s_load_dwordx2 s[0:1], s[4:5], 0x20
	s_ashr_i32 s3, s6, 31
	s_load_dword s4, s[4:5], 0x4c
	v_mov_b32_e32 v4, s19
	s_waitcnt lgkmcnt(0)
	v_mul_f32_e32 v1, s2, v3
	s_mul_i32 s1, s6, s1
	s_mul_hi_u32 s2, s6, s0
	s_add_i32 s1, s2, s1
	s_mul_i32 s3, s3, s0
	s_add_i32 s5, s1, s3
	s_mul_i32 s2, s6, s0
	s_and_b32 s3, s4, 0xffff
	s_mov_b64 s[0:1], 0
	v_mov_b32_e32 v3, s5
	v_mov_b32_e32 v5, s21
.LBB66_30:                              ; =>This Inner Loop Header: Depth=1
	v_ashrrev_i32_e32 v7, 31, v0
	v_add_co_u32_e32 v6, vcc, s2, v0
	v_addc_co_u32_e32 v7, vcc, v3, v7, vcc
	v_add_u32_e32 v0, s3, v0
	v_cmp_le_i32_e32 vcc, s13, v0
	v_lshlrev_b64 v[6:7], 2, v[6:7]
	s_or_b64 s[0:1], vcc, s[0:1]
	v_add_co_u32_e32 v8, vcc, s18, v6
	v_addc_co_u32_e32 v9, vcc, v4, v7, vcc
	v_add_co_u32_e32 v6, vcc, s20, v6
	v_addc_co_u32_e32 v7, vcc, v5, v7, vcc
	global_store_dword v[8:9], v1, off
	global_store_dword v[6:7], v2, off
	s_andn2_b64 exec, exec, s[0:1]
	s_cbranch_execnz .LBB66_30
.LBB66_31:
	s_endpgm
	.section	.rodata,"a",@progbits
	.p2align	6, 0x0
	.amdhsa_kernel _ZN5aiter19grouped_topk_kernelIN3c108BFloat16EDv4_fLi2ELb0ELb1ELb0EEEvPT_PKS4_PfPimiiiif
		.amdhsa_group_segment_fixed_size 0
		.amdhsa_private_segment_fixed_size 0
		.amdhsa_kernarg_size 320
		.amdhsa_user_sgpr_count 6
		.amdhsa_user_sgpr_private_segment_buffer 1
		.amdhsa_user_sgpr_dispatch_ptr 0
		.amdhsa_user_sgpr_queue_ptr 0
		.amdhsa_user_sgpr_kernarg_segment_ptr 1
		.amdhsa_user_sgpr_dispatch_id 0
		.amdhsa_user_sgpr_flat_scratch_init 0
		.amdhsa_user_sgpr_kernarg_preload_length 0
		.amdhsa_user_sgpr_kernarg_preload_offset 0
		.amdhsa_user_sgpr_private_segment_size 0
		.amdhsa_uses_dynamic_stack 0
		.amdhsa_system_sgpr_private_segment_wavefront_offset 0
		.amdhsa_system_sgpr_workgroup_id_x 1
		.amdhsa_system_sgpr_workgroup_id_y 0
		.amdhsa_system_sgpr_workgroup_id_z 0
		.amdhsa_system_sgpr_workgroup_info 0
		.amdhsa_system_vgpr_workitem_id 0
		.amdhsa_next_free_vgpr 38
		.amdhsa_next_free_sgpr 34
		.amdhsa_accum_offset 40
		.amdhsa_reserve_vcc 1
		.amdhsa_reserve_flat_scratch 0
		.amdhsa_float_round_mode_32 0
		.amdhsa_float_round_mode_16_64 0
		.amdhsa_float_denorm_mode_32 3
		.amdhsa_float_denorm_mode_16_64 3
		.amdhsa_dx10_clamp 1
		.amdhsa_ieee_mode 1
		.amdhsa_fp16_overflow 0
		.amdhsa_tg_split 0
		.amdhsa_exception_fp_ieee_invalid_op 0
		.amdhsa_exception_fp_denorm_src 0
		.amdhsa_exception_fp_ieee_div_zero 0
		.amdhsa_exception_fp_ieee_overflow 0
		.amdhsa_exception_fp_ieee_underflow 0
		.amdhsa_exception_fp_ieee_inexact 0
		.amdhsa_exception_int_div_zero 0
	.end_amdhsa_kernel
	.section	.text._ZN5aiter19grouped_topk_kernelIN3c108BFloat16EDv4_fLi2ELb0ELb1ELb0EEEvPT_PKS4_PfPimiiiif,"axG",@progbits,_ZN5aiter19grouped_topk_kernelIN3c108BFloat16EDv4_fLi2ELb0ELb1ELb0EEEvPT_PKS4_PfPimiiiif,comdat
.Lfunc_end66:
	.size	_ZN5aiter19grouped_topk_kernelIN3c108BFloat16EDv4_fLi2ELb0ELb1ELb0EEEvPT_PKS4_PfPimiiiif, .Lfunc_end66-_ZN5aiter19grouped_topk_kernelIN3c108BFloat16EDv4_fLi2ELb0ELb1ELb0EEEvPT_PKS4_PfPimiiiif
                                        ; -- End function
	.section	.AMDGPU.csdata,"",@progbits
; Kernel info:
; codeLenInByte = 2516
; NumSgprs: 38
; NumVgprs: 38
; NumAgprs: 0
; TotalNumVgprs: 38
; ScratchSize: 0
; MemoryBound: 0
; FloatMode: 240
; IeeeMode: 1
; LDSByteSize: 0 bytes/workgroup (compile time only)
; SGPRBlocks: 4
; VGPRBlocks: 4
; NumSGPRsForWavesPerEU: 38
; NumVGPRsForWavesPerEU: 38
; AccumOffset: 40
; Occupancy: 8
; WaveLimiterHint : 0
; COMPUTE_PGM_RSRC2:SCRATCH_EN: 0
; COMPUTE_PGM_RSRC2:USER_SGPR: 6
; COMPUTE_PGM_RSRC2:TRAP_HANDLER: 0
; COMPUTE_PGM_RSRC2:TGID_X_EN: 1
; COMPUTE_PGM_RSRC2:TGID_Y_EN: 0
; COMPUTE_PGM_RSRC2:TGID_Z_EN: 0
; COMPUTE_PGM_RSRC2:TIDIG_COMP_CNT: 0
; COMPUTE_PGM_RSRC3_GFX90A:ACCUM_OFFSET: 9
; COMPUTE_PGM_RSRC3_GFX90A:TG_SPLIT: 0
	.section	.text._ZN5aiter19grouped_topk_kernelIfDv4_fLi2ELb0ELb0ELb1EEEvPT_PKS2_PfPimiiiif,"axG",@progbits,_ZN5aiter19grouped_topk_kernelIfDv4_fLi2ELb0ELb0ELb1EEEvPT_PKS2_PfPimiiiif,comdat
	.protected	_ZN5aiter19grouped_topk_kernelIfDv4_fLi2ELb0ELb0ELb1EEEvPT_PKS2_PfPimiiiif ; -- Begin function _ZN5aiter19grouped_topk_kernelIfDv4_fLi2ELb0ELb0ELb1EEEvPT_PKS2_PfPimiiiif
	.globl	_ZN5aiter19grouped_topk_kernelIfDv4_fLi2ELb0ELb0ELb1EEEvPT_PKS2_PfPimiiiif
	.p2align	8
	.type	_ZN5aiter19grouped_topk_kernelIfDv4_fLi2ELb0ELb0ELb1EEEvPT_PKS2_PfPimiiiif,@function
_ZN5aiter19grouped_topk_kernelIfDv4_fLi2ELb0ELb0ELb1EEEvPT_PKS2_PfPimiiiif: ; @_ZN5aiter19grouped_topk_kernelIfDv4_fLi2ELb0ELb0ELb1EEEvPT_PKS2_PfPimiiiif
; %bb.0:
	s_load_dwordx4 s[8:11], s[4:5], 0x28
	s_load_dwordx4 s[12:15], s[4:5], 0x10
	v_mov_b32_e32 v1, 0xff800000
	s_waitcnt lgkmcnt(0)
	v_cmp_gt_i32_e32 vcc, s8, v0
	s_and_saveexec_b64 s[2:3], vcc
	s_cbranch_execz .LBB67_4
; %bb.1:
	s_load_dword s0, s[4:5], 0x4c
	s_load_dwordx2 s[16:17], s[4:5], 0x0
	s_mul_i32 s7, s6, s8
	v_lshl_add_u32 v2, v0, 2, 0
	s_mov_b64 s[18:19], 0
	s_waitcnt lgkmcnt(0)
	s_and_b32 s11, s0, 0xffff
	s_lshl_b32 s20, s11, 2
	v_mov_b32_e32 v1, 0xff800000
	v_mov_b32_e32 v3, s17
	;; [unrolled: 1-line block ×3, first 2 shown]
.LBB67_2:                               ; =>This Inner Loop Header: Depth=1
	v_add_u32_e32 v6, s7, v4
	v_ashrrev_i32_e32 v7, 31, v6
	v_lshlrev_b64 v[6:7], 2, v[6:7]
	v_add_co_u32_e64 v6, s[0:1], s16, v6
	v_addc_co_u32_e64 v7, s[0:1], v3, v7, s[0:1]
	global_load_dword v5, v[6:7], off
	v_add_u32_e32 v4, s11, v4
	v_cmp_le_i32_e64 s[0:1], s8, v4
	s_or_b64 s[18:19], s[0:1], s[18:19]
	s_waitcnt vmcnt(0)
	v_cmp_gt_f32_e64 s[0:1], v5, v1
	ds_write_b32 v2, v5
	v_cndmask_b32_e64 v1, v1, v5, s[0:1]
	v_add_u32_e32 v2, s20, v2
	s_andn2_b64 exec, exec, s[18:19]
	s_cbranch_execnz .LBB67_2
; %bb.3:
	s_or_b64 exec, exec, s[18:19]
.LBB67_4:
	s_or_b64 exec, exec, s[2:3]
	v_mov_b32_dpp v2, v1 quad_perm:[1,0,3,2] row_mask:0xf bank_mask:0xf
	v_cmp_lt_f32_e64 s[0:1], v1, v2
	v_cndmask_b32_e64 v1, v1, v2, s[0:1]
	v_bfrev_b32_e32 v3, 0.5
	s_waitcnt lgkmcnt(0)
	v_mov_b32_dpp v2, v1 quad_perm:[2,3,0,1] row_mask:0xf bank_mask:0xf
	v_cmp_lt_f32_e64 s[0:1], v1, v2
	v_cndmask_b32_e64 v1, v1, v2, s[0:1]
	s_barrier
	s_nop 0
	v_mov_b32_dpp v2, v1 row_half_mirror row_mask:0xf bank_mask:0xf
	v_cmp_lt_f32_e64 s[0:1], v1, v2
	v_cndmask_b32_e64 v1, v1, v2, s[0:1]
	s_nop 1
	v_mov_b32_dpp v2, v1 row_mirror row_mask:0xf bank_mask:0xf
	v_cmp_lt_f32_e64 s[0:1], v1, v2
	v_cndmask_b32_e64 v1, v1, v2, s[0:1]
	s_nop 1
	v_mov_b32_dpp v2, v1 row_bcast:15 row_mask:0xf bank_mask:0xf
	v_cmp_lt_f32_e64 s[0:1], v1, v2
	v_cndmask_b32_e64 v1, v1, v2, s[0:1]
	s_nop 1
	v_mov_b32_dpp v2, v1 row_bcast:31 row_mask:0xf bank_mask:0xf
	v_cmp_lt_f32_e64 s[0:1], v1, v2
	v_cndmask_b32_e64 v2, v1, v2, s[0:1]
	v_mbcnt_lo_u32_b32 v1, -1, 0
	v_mbcnt_hi_u32_b32 v1, -1, v1
	v_lshl_or_b32 v1, v1, 2, v3
	ds_bpermute_b32 v3, v1, v2
	v_mov_b32_e32 v2, 0
	s_and_saveexec_b64 s[2:3], vcc
	s_cbranch_execz .LBB67_8
; %bb.5:
	s_load_dword s0, s[4:5], 0x4c
	v_lshl_add_u32 v4, v0, 2, 0
	s_mov_b64 s[16:17], 0
	v_mov_b32_e32 v2, 0
	s_mov_b32 s7, 0x3fb8aa3b
	s_waitcnt lgkmcnt(0)
	s_and_b32 s11, s0, 0xffff
	s_lshl_b32 s18, s11, 2
	s_mov_b32 s19, 0xc2ce8ed0
	s_mov_b32 s20, 0x42b17218
	v_mov_b32_e32 v5, 0x7f800000
	v_mov_b32_e32 v6, v0
.LBB67_6:                               ; =>This Inner Loop Header: Depth=1
	ds_read_b32 v7, v4
	v_add_u32_e32 v6, s11, v6
	s_waitcnt lgkmcnt(0)
	v_sub_f32_e32 v7, v7, v3
	v_mul_f32_e32 v8, 0x3fb8aa3b, v7
	v_fma_f32 v9, v7, s7, -v8
	v_rndne_f32_e32 v10, v8
	v_fmac_f32_e32 v9, 0x32a5705f, v7
	v_sub_f32_e32 v8, v8, v10
	v_add_f32_e32 v8, v8, v9
	v_cvt_i32_f32_e32 v10, v10
	v_exp_f32_e32 v8, v8
	v_cmp_ngt_f32_e64 s[0:1], s19, v7
	v_ldexp_f32 v8, v8, v10
	v_cndmask_b32_e64 v8, 0, v8, s[0:1]
	v_cmp_nlt_f32_e64 s[0:1], s20, v7
	v_cndmask_b32_e64 v7, v5, v8, s[0:1]
	v_cmp_le_i32_e64 s[0:1], s8, v6
	ds_write_b32 v4, v7
	v_add_f32_e32 v2, v2, v7
	s_or_b64 s[16:17], s[0:1], s[16:17]
	v_add_u32_e32 v4, s18, v4
	s_andn2_b64 exec, exec, s[16:17]
	s_cbranch_execnz .LBB67_6
; %bb.7:
	s_or_b64 exec, exec, s[16:17]
.LBB67_8:
	s_or_b64 exec, exec, s[2:3]
	s_waitcnt lgkmcnt(0)
	v_mov_b32_dpp v3, v2 quad_perm:[1,0,3,2] row_mask:0xf bank_mask:0xf
	v_add_f32_e32 v2, v2, v3
	s_barrier
	s_nop 0
	v_mov_b32_dpp v3, v2 quad_perm:[2,3,0,1] row_mask:0xf bank_mask:0xf
	v_add_f32_e32 v2, v2, v3
	s_nop 1
	v_mov_b32_dpp v3, v2 row_half_mirror row_mask:0xf bank_mask:0xf
	v_add_f32_e32 v2, v2, v3
	s_nop 1
	v_mov_b32_dpp v3, v2 row_mirror row_mask:0xf bank_mask:0xf
	v_add_f32_e32 v2, v2, v3
	s_nop 1
	v_mov_b32_dpp v3, v2 row_bcast:15 row_mask:0xf bank_mask:0xf
	v_add_f32_e32 v2, v2, v3
	s_nop 1
	v_mov_b32_dpp v3, v2 row_bcast:31 row_mask:0xf bank_mask:0xf
	v_add_f32_e32 v2, v2, v3
	ds_bpermute_b32 v1, v1, v2
	s_and_saveexec_b64 s[0:1], vcc
	s_cbranch_execz .LBB67_11
; %bb.9:
	s_load_dword s7, s[4:5], 0x4c
	v_lshl_add_u32 v2, v0, 2, 0
	s_mov_b64 s[2:3], 0
	v_mov_b32_e32 v3, v0
	s_waitcnt lgkmcnt(0)
	s_and_b32 s7, s7, 0xffff
	s_lshl_b32 s11, s7, 2
.LBB67_10:                              ; =>This Inner Loop Header: Depth=1
	ds_read_b32 v4, v2
	v_add_u32_e32 v3, s7, v3
	v_cmp_le_i32_e32 vcc, s8, v3
	s_or_b64 s[2:3], vcc, s[2:3]
	s_waitcnt lgkmcnt(0)
	v_div_scale_f32 v5, s[16:17], v1, v1, v4
	v_rcp_f32_e32 v6, v5
	v_div_scale_f32 v7, vcc, v4, v1, v4
	v_fma_f32 v8, -v5, v6, 1.0
	v_fmac_f32_e32 v6, v8, v6
	v_mul_f32_e32 v8, v7, v6
	v_fma_f32 v9, -v5, v8, v7
	v_fmac_f32_e32 v8, v9, v6
	v_fma_f32 v5, -v5, v8, v7
	v_div_fmas_f32 v5, v5, v6, v8
	v_div_fixup_f32 v4, v5, v1, v4
	ds_write_b32 v2, v4
	v_add_u32_e32 v2, s11, v2
	s_andn2_b64 exec, exec, s[2:3]
	s_cbranch_execnz .LBB67_10
.LBB67_11:
	s_or_b64 exec, exec, s[0:1]
	s_lshr_b32 s0, s8, 31
	s_add_i32 s0, s8, s0
	s_ashr_i32 s11, s0, 1
	s_lshl_b32 s0, s8, 2
	s_add_i32 s20, s0, 0
	v_cmp_gt_u32_e32 vcc, 2, v0
	s_waitcnt lgkmcnt(0)
	s_barrier
	s_and_saveexec_b64 s[2:3], vcc
	s_cbranch_execz .LBB67_18
; %bb.12:
	s_load_dword s0, s[4:5], 0x4c
	v_mul_lo_u32 v1, v0, s11
	v_lshl_add_u32 v1, v1, 2, 0
	s_waitcnt lgkmcnt(0)
	s_and_b32 s7, s0, 0xffff
	s_cmp_gt_i32 s8, 1
	s_cselect_b64 s[0:1], -1, 0
	s_mul_i32 s16, s11, s7
	v_cndmask_b32_e64 v2, 0, 1, s[0:1]
	s_lshl_b32 s21, s16, 2
	s_mov_b64 s[16:17], 0
	v_cmp_ne_u32_e64 s[0:1], 1, v2
	v_mov_b32_e32 v2, v0
	s_branch .LBB67_14
.LBB67_13:                              ;   in Loop: Header=BB67_14 Depth=1
	v_lshl_add_u32 v4, v2, 2, s20
	v_add_u32_e32 v2, s7, v2
	v_cmp_lt_u32_e32 vcc, 1, v2
	s_or_b64 s[16:17], vcc, s[16:17]
	v_add_u32_e32 v1, s21, v1
	ds_write_b32 v4, v3
	s_andn2_b64 exec, exec, s[16:17]
	s_cbranch_execz .LBB67_18
.LBB67_14:                              ; =>This Loop Header: Depth=1
                                        ;     Child Loop BB67_16 Depth 2
	s_and_b64 vcc, exec, s[0:1]
	v_mov_b32_e32 v3, 0xff800000
	s_cbranch_vccnz .LBB67_13
; %bb.15:                               ;   in Loop: Header=BB67_14 Depth=1
	v_mul_lo_u32 v4, v2, s11
	v_add_u32_e32 v5, s11, v4
	s_mov_b64 s[18:19], 0
	v_mov_b32_e32 v3, 0xff800000
	v_mov_b32_e32 v6, v1
.LBB67_16:                              ;   Parent Loop BB67_14 Depth=1
                                        ; =>  This Inner Loop Header: Depth=2
	ds_read_b32 v7, v6
	v_add_u32_e32 v4, 1, v4
	v_cmp_ge_i32_e32 vcc, v4, v5
	s_or_b64 s[18:19], vcc, s[18:19]
	v_add_u32_e32 v6, 4, v6
	s_waitcnt lgkmcnt(0)
	v_cmp_gt_f32_e32 vcc, v7, v3
	v_cndmask_b32_e32 v3, v3, v7, vcc
	s_andn2_b64 exec, exec, s[18:19]
	s_cbranch_execnz .LBB67_16
; %bb.17:                               ;   in Loop: Header=BB67_14 Depth=1
	s_or_b64 exec, exec, s[18:19]
	s_branch .LBB67_13
.LBB67_18:
	s_or_b64 exec, exec, s[2:3]
	s_cmp_lt_i32 s10, 1
	s_waitcnt lgkmcnt(0)
	s_barrier
	s_cbranch_scc1 .LBB67_21
; %bb.19:
	v_mov_b32_e32 v1, s20
	s_mov_b32 s0, 0xff800000
	v_mov_b32_e32 v2, 0xff800000
.LBB67_20:                              ; =>This Inner Loop Header: Depth=1
	ds_read2_b32 v[4:5], v1 offset1:1
	s_add_i32 s10, s10, -1
	s_cmp_lg_u32 s10, 0
	s_waitcnt lgkmcnt(0)
	v_cmp_nlg_f32_e32 vcc, s0, v4
	v_cndmask_b32_e64 v3, 0, 1, vcc
	v_cmp_lg_f32_e32 vcc, s0, v4
	v_cndmask_b32_e32 v4, v2, v4, vcc
	v_lshlrev_b32_e32 v3, 1, v3
	v_cmp_ngt_f32_e32 vcc, v5, v4
	v_cndmask_b32_e32 v3, 1, v3, vcc
	v_lshlrev_b32_e32 v3, 2, v3
	v_add_u32_e32 v3, s20, v3
	ds_write_b32 v3, v2
	s_cbranch_scc1 .LBB67_20
.LBB67_21:
	s_ashr_i32 s0, s8, 31
	s_lshr_b32 s0, s0, 30
	s_add_i32 s0, s8, s0
	s_ashr_i32 s7, s0, 2
	v_cmp_gt_i32_e32 vcc, s7, v0
	v_lshlrev_b32_e32 v1, 2, v0
	v_lshl_add_u32 v6, v0, 4, 0
	s_and_saveexec_b64 s[2:3], vcc
	s_cbranch_execz .LBB67_26
; %bb.22:
	s_abs_i32 s8, s11
	v_cvt_f32_u32_e32 v2, s8
	s_load_dword s0, s[4:5], 0x4c
	s_sub_i32 s1, 0, s8
	s_ashr_i32 s18, s11, 31
	v_rcp_iflag_f32_e32 v2, v2
	v_lshlrev_b32_e32 v7, 2, v0
	s_waitcnt lgkmcnt(0)
	s_and_b32 s19, s0, 0xffff
	v_lshl_add_u32 v8, v0, 4, 0
	v_mul_f32_e32 v2, 0x4f7ffffe, v2
	v_cvt_u32_f32_e32 v2, v2
	s_mov_b64 s[10:11], 0
	s_lshl_b32 s21, s19, 2
	s_lshl_b32 s22, s19, 4
	v_mul_lo_u32 v3, s1, v2
	v_mul_hi_u32 v3, v2, v3
	v_add_u32_e32 v9, v2, v3
	s_mov_b32 s23, 0xff800000
	v_mov_b32_e32 v2, 0xff800000
	v_mov_b32_e32 v10, v0
	s_branch .LBB67_24
.LBB67_23:                              ;   in Loop: Header=BB67_24 Depth=1
	s_or_b64 exec, exec, s[16:17]
	v_add_u32_e32 v10, s19, v10
	v_cmp_le_i32_e64 s[0:1], s7, v10
	v_add_u32_e32 v7, s21, v7
	s_or_b64 s[10:11], s[0:1], s[10:11]
	v_add_u32_e32 v8, s22, v8
	s_andn2_b64 exec, exec, s[10:11]
	s_cbranch_execz .LBB67_26
.LBB67_24:                              ; =>This Inner Loop Header: Depth=1
	v_mul_hi_u32 v3, v7, v9
	v_mul_lo_u32 v4, v3, s8
	v_sub_u32_e32 v4, v7, v4
	v_add_u32_e32 v5, 1, v3
	v_cmp_le_u32_e64 s[0:1], s8, v4
	v_cndmask_b32_e64 v3, v3, v5, s[0:1]
	v_subrev_u32_e32 v5, s8, v4
	v_cndmask_b32_e64 v4, v4, v5, s[0:1]
	v_add_u32_e32 v5, 1, v3
	v_cmp_le_u32_e64 s[0:1], s8, v4
	v_cndmask_b32_e64 v3, v3, v5, s[0:1]
	v_xor_b32_e32 v3, s18, v3
	v_subrev_u32_e32 v3, s18, v3
	v_lshl_add_u32 v3, v3, 2, s20
	ds_read_b32 v3, v3
	s_waitcnt lgkmcnt(0)
	v_cmp_neq_f32_e64 s[0:1], s23, v3
	s_and_saveexec_b64 s[16:17], s[0:1]
	s_cbranch_execz .LBB67_23
; %bb.25:                               ;   in Loop: Header=BB67_24 Depth=1
	v_mov_b32_e32 v3, v2
	v_mov_b32_e32 v4, v2
	;; [unrolled: 1-line block ×3, first 2 shown]
	ds_write_b128 v8, v[2:5]
	s_branch .LBB67_23
.LBB67_26:
	s_or_b64 exec, exec, s[2:3]
	s_cmp_lt_i32 s9, 1
	s_waitcnt lgkmcnt(0)
	s_barrier
	s_cbranch_scc1 .LBB67_33
; %bb.27:
	s_add_u32 s2, s4, 64
	s_addc_u32 s3, s5, 0
	s_mov_b32 s8, 0
	v_mov_b32_e32 v4, 0xff800000
                                        ; implicit-def: $vgpr3
                                        ; implicit-def: $vgpr2
	s_branch .LBB67_29
.LBB67_28:                              ;   in Loop: Header=BB67_29 Depth=1
	s_or_b64 exec, exec, s[10:11]
	v_mov_b32_dpp v9, v7 quad_perm:[1,0,3,2] row_mask:0xf bank_mask:0xf
	v_cmp_lt_f32_e64 s[0:1], v7, v9
	v_cndmask_b32_e64 v7, v7, v9, s[0:1]
	v_mov_b32_dpp v8, v5 quad_perm:[1,0,3,2] row_mask:0xf bank_mask:0xf
	v_cndmask_b32_e64 v5, v5, v8, s[0:1]
	v_mov_b32_dpp v9, v7 quad_perm:[2,3,0,1] row_mask:0xf bank_mask:0xf
	v_cmp_gt_f32_e64 s[0:1], v9, v7
	v_cndmask_b32_e64 v7, v7, v9, s[0:1]
	v_mov_b32_dpp v8, v5 quad_perm:[2,3,0,1] row_mask:0xf bank_mask:0xf
	v_cndmask_b32_e64 v5, v5, v8, s[0:1]
	v_mov_b32_dpp v9, v7 row_half_mirror row_mask:0xf bank_mask:0xf
	v_cmp_gt_f32_e64 s[0:1], v9, v7
	v_cndmask_b32_e64 v7, v7, v9, s[0:1]
	v_mov_b32_dpp v8, v5 row_half_mirror row_mask:0xf bank_mask:0xf
	v_cndmask_b32_e64 v5, v5, v8, s[0:1]
	v_mov_b32_dpp v9, v7 row_mirror row_mask:0xf bank_mask:0xf
	v_cmp_gt_f32_e64 s[0:1], v9, v7
	v_cndmask_b32_e64 v7, v7, v9, s[0:1]
	v_mov_b32_dpp v8, v5 row_mirror row_mask:0xf bank_mask:0xf
	v_cndmask_b32_e64 v5, v5, v8, s[0:1]
	v_mov_b32_dpp v9, v7 row_bcast:15 row_mask:0xf bank_mask:0xf
	v_cmp_gt_f32_e64 s[0:1], v9, v7
	v_mov_b32_dpp v8, v5 row_bcast:15 row_mask:0xf bank_mask:0xf
	v_cndmask_b32_e64 v7, v7, v9, s[0:1]
	v_cndmask_b32_e64 v5, v5, v8, s[0:1]
	s_nop 0
	v_mov_b32_dpp v9, v7 row_bcast:31 row_mask:0xf bank_mask:0xf
	v_mov_b32_dpp v8, v5 row_bcast:31 row_mask:0xf bank_mask:0xf
	v_cmp_gt_f32_e64 s[0:1], v9, v7
	v_cndmask_b32_e64 v5, v5, v8, s[0:1]
	v_cndmask_b32_e64 v7, v7, v9, s[0:1]
	v_readlane_b32 s0, v5, 63
	s_lshl_b32 s1, s0, 2
	s_add_i32 s1, s1, 0
	v_mov_b32_e32 v5, s1
	v_readlane_b32 s10, v7, 63
	ds_write_b32 v5, v4
	v_mov_b32_e32 v5, s0
	v_cmp_eq_u32_e64 s[0:1], s8, v0
	v_cndmask_b32_e64 v2, v2, v5, s[0:1]
	v_mov_b32_e32 v5, s10
	s_add_i32 s8, s8, 1
	s_cmp_eq_u32 s8, s9
	v_cndmask_b32_e64 v3, v3, v5, s[0:1]
	s_cbranch_scc1 .LBB67_34
.LBB67_29:                              ; =>This Loop Header: Depth=1
                                        ;     Child Loop BB67_31 Depth 2
	v_mov_b32_e32 v5, s8
	v_mov_b32_e32 v7, 0xff800000
	s_and_saveexec_b64 s[10:11], vcc
	s_cbranch_execz .LBB67_28
; %bb.30:                               ;   in Loop: Header=BB67_29 Depth=1
	s_load_dword s0, s[2:3], 0xc
	s_mov_b64 s[16:17], 0
	v_mov_b32_e32 v5, s8
	v_mov_b32_e32 v7, 0xff800000
	;; [unrolled: 1-line block ×3, first 2 shown]
	s_waitcnt lgkmcnt(0)
	s_and_b32 s18, s0, 0xffff
	s_lshl_b32 s19, s18, 2
	s_lshl_b32 s20, s18, 4
	v_mov_b32_e32 v9, v1
	v_mov_b32_e32 v10, v0
.LBB67_31:                              ;   Parent Loop BB67_29 Depth=1
                                        ; =>  This Inner Loop Header: Depth=2
	ds_read_b128 v[12:15], v8
	v_add_u32_e32 v10, s18, v10
	v_cmp_le_i32_e64 s[0:1], s7, v10
	s_or_b64 s[16:17], s[0:1], s[16:17]
	v_add_u32_e32 v11, 1, v9
	s_waitcnt lgkmcnt(0)
	v_cmp_gt_f32_e64 s[0:1], v12, v7
	v_cndmask_b32_e64 v7, v7, v12, s[0:1]
	v_cndmask_b32_e64 v5, v5, v9, s[0:1]
	v_cmp_gt_f32_e64 s[0:1], v13, v7
	v_cndmask_b32_e64 v7, v7, v13, s[0:1]
	v_cndmask_b32_e64 v5, v5, v11, s[0:1]
	v_cmp_gt_f32_e64 s[0:1], v14, v7
	v_add_u32_e32 v16, 2, v9
	v_cndmask_b32_e64 v7, v7, v14, s[0:1]
	v_add_u32_e32 v17, 3, v9
	v_cndmask_b32_e64 v5, v5, v16, s[0:1]
	v_cmp_gt_f32_e64 s[0:1], v15, v7
	v_add_u32_e32 v8, s20, v8
	v_add_u32_e32 v9, s19, v9
	v_cndmask_b32_e64 v7, v7, v15, s[0:1]
	v_cndmask_b32_e64 v5, v5, v17, s[0:1]
	s_andn2_b64 exec, exec, s[16:17]
	s_cbranch_execnz .LBB67_31
; %bb.32:                               ;   in Loop: Header=BB67_29 Depth=1
	s_or_b64 exec, exec, s[16:17]
	s_branch .LBB67_28
.LBB67_33:
                                        ; implicit-def: $vgpr3
                                        ; implicit-def: $vgpr2
.LBB67_34:
	v_cmp_gt_i32_e32 vcc, s9, v0
	s_and_saveexec_b64 s[0:1], vcc
	s_cbranch_execz .LBB67_37
; %bb.35:
	s_load_dword s2, s[4:5], 0x38
	s_load_dwordx2 s[0:1], s[4:5], 0x20
	s_ashr_i32 s3, s6, 31
	s_load_dword s4, s[4:5], 0x4c
	v_mov_b32_e32 v4, s13
	s_waitcnt lgkmcnt(0)
	v_mul_f32_e32 v1, s2, v3
	s_mul_i32 s1, s6, s1
	s_mul_hi_u32 s2, s6, s0
	s_add_i32 s1, s2, s1
	s_mul_i32 s3, s3, s0
	s_add_i32 s5, s1, s3
	s_mul_i32 s2, s6, s0
	s_and_b32 s3, s4, 0xffff
	s_mov_b64 s[0:1], 0
	v_mov_b32_e32 v3, s5
	v_mov_b32_e32 v5, s15
.LBB67_36:                              ; =>This Inner Loop Header: Depth=1
	v_ashrrev_i32_e32 v7, 31, v0
	v_add_co_u32_e32 v6, vcc, s2, v0
	v_addc_co_u32_e32 v7, vcc, v3, v7, vcc
	v_add_u32_e32 v0, s3, v0
	v_cmp_le_i32_e32 vcc, s9, v0
	v_lshlrev_b64 v[6:7], 2, v[6:7]
	s_or_b64 s[0:1], vcc, s[0:1]
	v_add_co_u32_e32 v8, vcc, s12, v6
	v_addc_co_u32_e32 v9, vcc, v4, v7, vcc
	v_add_co_u32_e32 v6, vcc, s14, v6
	v_addc_co_u32_e32 v7, vcc, v5, v7, vcc
	global_store_dword v[8:9], v1, off
	global_store_dword v[6:7], v2, off
	s_andn2_b64 exec, exec, s[0:1]
	s_cbranch_execnz .LBB67_36
.LBB67_37:
	s_endpgm
	.section	.rodata,"a",@progbits
	.p2align	6, 0x0
	.amdhsa_kernel _ZN5aiter19grouped_topk_kernelIfDv4_fLi2ELb0ELb0ELb1EEEvPT_PKS2_PfPimiiiif
		.amdhsa_group_segment_fixed_size 0
		.amdhsa_private_segment_fixed_size 0
		.amdhsa_kernarg_size 320
		.amdhsa_user_sgpr_count 6
		.amdhsa_user_sgpr_private_segment_buffer 1
		.amdhsa_user_sgpr_dispatch_ptr 0
		.amdhsa_user_sgpr_queue_ptr 0
		.amdhsa_user_sgpr_kernarg_segment_ptr 1
		.amdhsa_user_sgpr_dispatch_id 0
		.amdhsa_user_sgpr_flat_scratch_init 0
		.amdhsa_user_sgpr_kernarg_preload_length 0
		.amdhsa_user_sgpr_kernarg_preload_offset 0
		.amdhsa_user_sgpr_private_segment_size 0
		.amdhsa_uses_dynamic_stack 0
		.amdhsa_system_sgpr_private_segment_wavefront_offset 0
		.amdhsa_system_sgpr_workgroup_id_x 1
		.amdhsa_system_sgpr_workgroup_id_y 0
		.amdhsa_system_sgpr_workgroup_id_z 0
		.amdhsa_system_sgpr_workgroup_info 0
		.amdhsa_system_vgpr_workitem_id 0
		.amdhsa_next_free_vgpr 18
		.amdhsa_next_free_sgpr 24
		.amdhsa_accum_offset 20
		.amdhsa_reserve_vcc 1
		.amdhsa_reserve_flat_scratch 0
		.amdhsa_float_round_mode_32 0
		.amdhsa_float_round_mode_16_64 0
		.amdhsa_float_denorm_mode_32 3
		.amdhsa_float_denorm_mode_16_64 3
		.amdhsa_dx10_clamp 1
		.amdhsa_ieee_mode 1
		.amdhsa_fp16_overflow 0
		.amdhsa_tg_split 0
		.amdhsa_exception_fp_ieee_invalid_op 0
		.amdhsa_exception_fp_denorm_src 0
		.amdhsa_exception_fp_ieee_div_zero 0
		.amdhsa_exception_fp_ieee_overflow 0
		.amdhsa_exception_fp_ieee_underflow 0
		.amdhsa_exception_fp_ieee_inexact 0
		.amdhsa_exception_int_div_zero 0
	.end_amdhsa_kernel
	.section	.text._ZN5aiter19grouped_topk_kernelIfDv4_fLi2ELb0ELb0ELb1EEEvPT_PKS2_PfPimiiiif,"axG",@progbits,_ZN5aiter19grouped_topk_kernelIfDv4_fLi2ELb0ELb0ELb1EEEvPT_PKS2_PfPimiiiif,comdat
.Lfunc_end67:
	.size	_ZN5aiter19grouped_topk_kernelIfDv4_fLi2ELb0ELb0ELb1EEEvPT_PKS2_PfPimiiiif, .Lfunc_end67-_ZN5aiter19grouped_topk_kernelIfDv4_fLi2ELb0ELb0ELb1EEEvPT_PKS2_PfPimiiiif
                                        ; -- End function
	.section	.AMDGPU.csdata,"",@progbits
; Kernel info:
; codeLenInByte = 2408
; NumSgprs: 28
; NumVgprs: 18
; NumAgprs: 0
; TotalNumVgprs: 18
; ScratchSize: 0
; MemoryBound: 0
; FloatMode: 240
; IeeeMode: 1
; LDSByteSize: 0 bytes/workgroup (compile time only)
; SGPRBlocks: 3
; VGPRBlocks: 2
; NumSGPRsForWavesPerEU: 28
; NumVGPRsForWavesPerEU: 18
; AccumOffset: 20
; Occupancy: 8
; WaveLimiterHint : 0
; COMPUTE_PGM_RSRC2:SCRATCH_EN: 0
; COMPUTE_PGM_RSRC2:USER_SGPR: 6
; COMPUTE_PGM_RSRC2:TRAP_HANDLER: 0
; COMPUTE_PGM_RSRC2:TGID_X_EN: 1
; COMPUTE_PGM_RSRC2:TGID_Y_EN: 0
; COMPUTE_PGM_RSRC2:TGID_Z_EN: 0
; COMPUTE_PGM_RSRC2:TIDIG_COMP_CNT: 0
; COMPUTE_PGM_RSRC3_GFX90A:ACCUM_OFFSET: 4
; COMPUTE_PGM_RSRC3_GFX90A:TG_SPLIT: 0
	.section	.text._ZN5aiter19grouped_topk_kernelIN3c104HalfEDv4_fLi2ELb0ELb0ELb1EEEvPT_PKS4_PfPimiiiif,"axG",@progbits,_ZN5aiter19grouped_topk_kernelIN3c104HalfEDv4_fLi2ELb0ELb0ELb1EEEvPT_PKS4_PfPimiiiif,comdat
	.protected	_ZN5aiter19grouped_topk_kernelIN3c104HalfEDv4_fLi2ELb0ELb0ELb1EEEvPT_PKS4_PfPimiiiif ; -- Begin function _ZN5aiter19grouped_topk_kernelIN3c104HalfEDv4_fLi2ELb0ELb0ELb1EEEvPT_PKS4_PfPimiiiif
	.globl	_ZN5aiter19grouped_topk_kernelIN3c104HalfEDv4_fLi2ELb0ELb0ELb1EEEvPT_PKS4_PfPimiiiif
	.p2align	8
	.type	_ZN5aiter19grouped_topk_kernelIN3c104HalfEDv4_fLi2ELb0ELb0ELb1EEEvPT_PKS4_PfPimiiiif,@function
_ZN5aiter19grouped_topk_kernelIN3c104HalfEDv4_fLi2ELb0ELb0ELb1EEEvPT_PKS4_PfPimiiiif: ; @_ZN5aiter19grouped_topk_kernelIN3c104HalfEDv4_fLi2ELb0ELb0ELb1EEEvPT_PKS4_PfPimiiiif
; %bb.0:
	s_load_dwordx4 s[8:11], s[4:5], 0x28
	s_load_dwordx4 s[12:15], s[4:5], 0x10
	v_mov_b32_e32 v1, 0xff800000
	s_waitcnt lgkmcnt(0)
	v_cmp_gt_i32_e32 vcc, s8, v0
	s_and_saveexec_b64 s[2:3], vcc
	s_cbranch_execz .LBB68_4
; %bb.1:
	s_load_dword s0, s[4:5], 0x4c
	s_load_dwordx2 s[16:17], s[4:5], 0x0
	s_mul_i32 s7, s6, s8
	v_lshl_add_u32 v2, v0, 2, 0
	s_mov_b64 s[18:19], 0
	s_waitcnt lgkmcnt(0)
	s_and_b32 s11, s0, 0xffff
	s_lshl_b32 s20, s11, 2
	v_mov_b32_e32 v1, 0xff800000
	v_mov_b32_e32 v3, s17
	v_mov_b32_e32 v4, v0
.LBB68_2:                               ; =>This Inner Loop Header: Depth=1
	v_add_u32_e32 v6, s7, v4
	v_ashrrev_i32_e32 v7, 31, v6
	v_lshlrev_b64 v[6:7], 1, v[6:7]
	v_add_co_u32_e64 v6, s[0:1], s16, v6
	v_addc_co_u32_e64 v7, s[0:1], v3, v7, s[0:1]
	global_load_ushort v5, v[6:7], off
	v_add_u32_e32 v4, s11, v4
	v_cmp_le_i32_e64 s[0:1], s8, v4
	s_or_b64 s[18:19], s[0:1], s[18:19]
	s_waitcnt vmcnt(0)
	v_cvt_f32_f16_e32 v5, v5
	v_cmp_lt_f32_e64 s[0:1], v1, v5
	ds_write_b32 v2, v5
	v_cndmask_b32_e64 v1, v1, v5, s[0:1]
	v_add_u32_e32 v2, s20, v2
	s_andn2_b64 exec, exec, s[18:19]
	s_cbranch_execnz .LBB68_2
; %bb.3:
	s_or_b64 exec, exec, s[18:19]
.LBB68_4:
	s_or_b64 exec, exec, s[2:3]
	v_mov_b32_dpp v2, v1 quad_perm:[1,0,3,2] row_mask:0xf bank_mask:0xf
	v_cmp_lt_f32_e64 s[0:1], v1, v2
	v_cndmask_b32_e64 v1, v1, v2, s[0:1]
	v_bfrev_b32_e32 v3, 0.5
	s_waitcnt lgkmcnt(0)
	v_mov_b32_dpp v2, v1 quad_perm:[2,3,0,1] row_mask:0xf bank_mask:0xf
	v_cmp_lt_f32_e64 s[0:1], v1, v2
	v_cndmask_b32_e64 v1, v1, v2, s[0:1]
	s_barrier
	s_nop 0
	v_mov_b32_dpp v2, v1 row_half_mirror row_mask:0xf bank_mask:0xf
	v_cmp_lt_f32_e64 s[0:1], v1, v2
	v_cndmask_b32_e64 v1, v1, v2, s[0:1]
	s_nop 1
	v_mov_b32_dpp v2, v1 row_mirror row_mask:0xf bank_mask:0xf
	v_cmp_lt_f32_e64 s[0:1], v1, v2
	v_cndmask_b32_e64 v1, v1, v2, s[0:1]
	s_nop 1
	v_mov_b32_dpp v2, v1 row_bcast:15 row_mask:0xf bank_mask:0xf
	v_cmp_lt_f32_e64 s[0:1], v1, v2
	v_cndmask_b32_e64 v1, v1, v2, s[0:1]
	s_nop 1
	v_mov_b32_dpp v2, v1 row_bcast:31 row_mask:0xf bank_mask:0xf
	v_cmp_lt_f32_e64 s[0:1], v1, v2
	v_cndmask_b32_e64 v2, v1, v2, s[0:1]
	v_mbcnt_lo_u32_b32 v1, -1, 0
	v_mbcnt_hi_u32_b32 v1, -1, v1
	v_lshl_or_b32 v1, v1, 2, v3
	ds_bpermute_b32 v3, v1, v2
	v_mov_b32_e32 v2, 0
	s_and_saveexec_b64 s[2:3], vcc
	s_cbranch_execz .LBB68_8
; %bb.5:
	s_load_dword s0, s[4:5], 0x4c
	v_lshl_add_u32 v4, v0, 2, 0
	s_mov_b64 s[16:17], 0
	v_mov_b32_e32 v2, 0
	s_mov_b32 s7, 0x3fb8aa3b
	s_waitcnt lgkmcnt(0)
	s_and_b32 s11, s0, 0xffff
	s_lshl_b32 s18, s11, 2
	s_mov_b32 s19, 0xc2ce8ed0
	s_mov_b32 s20, 0x42b17218
	v_mov_b32_e32 v5, 0x7f800000
	v_mov_b32_e32 v6, v0
.LBB68_6:                               ; =>This Inner Loop Header: Depth=1
	ds_read_b32 v7, v4
	v_add_u32_e32 v6, s11, v6
	s_waitcnt lgkmcnt(0)
	v_sub_f32_e32 v7, v7, v3
	v_mul_f32_e32 v8, 0x3fb8aa3b, v7
	v_fma_f32 v9, v7, s7, -v8
	v_rndne_f32_e32 v10, v8
	v_fmac_f32_e32 v9, 0x32a5705f, v7
	v_sub_f32_e32 v8, v8, v10
	v_add_f32_e32 v8, v8, v9
	v_cvt_i32_f32_e32 v10, v10
	v_exp_f32_e32 v8, v8
	v_cmp_ngt_f32_e64 s[0:1], s19, v7
	v_ldexp_f32 v8, v8, v10
	v_cndmask_b32_e64 v8, 0, v8, s[0:1]
	v_cmp_nlt_f32_e64 s[0:1], s20, v7
	v_cndmask_b32_e64 v7, v5, v8, s[0:1]
	v_cmp_le_i32_e64 s[0:1], s8, v6
	ds_write_b32 v4, v7
	v_add_f32_e32 v2, v2, v7
	s_or_b64 s[16:17], s[0:1], s[16:17]
	v_add_u32_e32 v4, s18, v4
	s_andn2_b64 exec, exec, s[16:17]
	s_cbranch_execnz .LBB68_6
; %bb.7:
	s_or_b64 exec, exec, s[16:17]
.LBB68_8:
	s_or_b64 exec, exec, s[2:3]
	s_waitcnt lgkmcnt(0)
	v_mov_b32_dpp v3, v2 quad_perm:[1,0,3,2] row_mask:0xf bank_mask:0xf
	v_add_f32_e32 v2, v2, v3
	s_barrier
	s_nop 0
	v_mov_b32_dpp v3, v2 quad_perm:[2,3,0,1] row_mask:0xf bank_mask:0xf
	v_add_f32_e32 v2, v2, v3
	s_nop 1
	v_mov_b32_dpp v3, v2 row_half_mirror row_mask:0xf bank_mask:0xf
	v_add_f32_e32 v2, v2, v3
	s_nop 1
	v_mov_b32_dpp v3, v2 row_mirror row_mask:0xf bank_mask:0xf
	v_add_f32_e32 v2, v2, v3
	s_nop 1
	v_mov_b32_dpp v3, v2 row_bcast:15 row_mask:0xf bank_mask:0xf
	v_add_f32_e32 v2, v2, v3
	s_nop 1
	v_mov_b32_dpp v3, v2 row_bcast:31 row_mask:0xf bank_mask:0xf
	v_add_f32_e32 v2, v2, v3
	ds_bpermute_b32 v1, v1, v2
	s_and_saveexec_b64 s[0:1], vcc
	s_cbranch_execz .LBB68_11
; %bb.9:
	s_load_dword s7, s[4:5], 0x4c
	v_lshl_add_u32 v2, v0, 2, 0
	s_mov_b64 s[2:3], 0
	v_mov_b32_e32 v3, v0
	s_waitcnt lgkmcnt(0)
	s_and_b32 s7, s7, 0xffff
	s_lshl_b32 s11, s7, 2
.LBB68_10:                              ; =>This Inner Loop Header: Depth=1
	ds_read_b32 v4, v2
	v_add_u32_e32 v3, s7, v3
	v_cmp_le_i32_e32 vcc, s8, v3
	s_or_b64 s[2:3], vcc, s[2:3]
	s_waitcnt lgkmcnt(0)
	v_div_scale_f32 v5, s[16:17], v1, v1, v4
	v_rcp_f32_e32 v6, v5
	v_div_scale_f32 v7, vcc, v4, v1, v4
	v_fma_f32 v8, -v5, v6, 1.0
	v_fmac_f32_e32 v6, v8, v6
	v_mul_f32_e32 v8, v7, v6
	v_fma_f32 v9, -v5, v8, v7
	v_fmac_f32_e32 v8, v9, v6
	v_fma_f32 v5, -v5, v8, v7
	v_div_fmas_f32 v5, v5, v6, v8
	v_div_fixup_f32 v4, v5, v1, v4
	ds_write_b32 v2, v4
	v_add_u32_e32 v2, s11, v2
	s_andn2_b64 exec, exec, s[2:3]
	s_cbranch_execnz .LBB68_10
.LBB68_11:
	s_or_b64 exec, exec, s[0:1]
	s_lshr_b32 s0, s8, 31
	s_add_i32 s0, s8, s0
	s_ashr_i32 s11, s0, 1
	s_lshl_b32 s0, s8, 2
	s_add_i32 s20, s0, 0
	v_cmp_gt_u32_e32 vcc, 2, v0
	s_waitcnt lgkmcnt(0)
	s_barrier
	s_and_saveexec_b64 s[2:3], vcc
	s_cbranch_execz .LBB68_18
; %bb.12:
	s_load_dword s0, s[4:5], 0x4c
	v_mul_lo_u32 v1, v0, s11
	v_lshl_add_u32 v1, v1, 2, 0
	s_waitcnt lgkmcnt(0)
	s_and_b32 s7, s0, 0xffff
	s_cmp_gt_i32 s8, 1
	s_cselect_b64 s[0:1], -1, 0
	s_mul_i32 s16, s11, s7
	v_cndmask_b32_e64 v2, 0, 1, s[0:1]
	s_lshl_b32 s21, s16, 2
	s_mov_b64 s[16:17], 0
	v_cmp_ne_u32_e64 s[0:1], 1, v2
	v_mov_b32_e32 v2, v0
	s_branch .LBB68_14
.LBB68_13:                              ;   in Loop: Header=BB68_14 Depth=1
	v_lshl_add_u32 v4, v2, 2, s20
	v_add_u32_e32 v2, s7, v2
	v_cmp_lt_u32_e32 vcc, 1, v2
	s_or_b64 s[16:17], vcc, s[16:17]
	v_add_u32_e32 v1, s21, v1
	ds_write_b32 v4, v3
	s_andn2_b64 exec, exec, s[16:17]
	s_cbranch_execz .LBB68_18
.LBB68_14:                              ; =>This Loop Header: Depth=1
                                        ;     Child Loop BB68_16 Depth 2
	s_and_b64 vcc, exec, s[0:1]
	v_mov_b32_e32 v3, 0xff800000
	s_cbranch_vccnz .LBB68_13
; %bb.15:                               ;   in Loop: Header=BB68_14 Depth=1
	v_mul_lo_u32 v4, v2, s11
	v_add_u32_e32 v5, s11, v4
	s_mov_b64 s[18:19], 0
	v_mov_b32_e32 v3, 0xff800000
	v_mov_b32_e32 v6, v1
.LBB68_16:                              ;   Parent Loop BB68_14 Depth=1
                                        ; =>  This Inner Loop Header: Depth=2
	ds_read_b32 v7, v6
	v_add_u32_e32 v4, 1, v4
	v_cmp_ge_i32_e32 vcc, v4, v5
	s_or_b64 s[18:19], vcc, s[18:19]
	v_add_u32_e32 v6, 4, v6
	s_waitcnt lgkmcnt(0)
	v_cmp_gt_f32_e32 vcc, v7, v3
	v_cndmask_b32_e32 v3, v3, v7, vcc
	s_andn2_b64 exec, exec, s[18:19]
	s_cbranch_execnz .LBB68_16
; %bb.17:                               ;   in Loop: Header=BB68_14 Depth=1
	s_or_b64 exec, exec, s[18:19]
	s_branch .LBB68_13
.LBB68_18:
	s_or_b64 exec, exec, s[2:3]
	s_cmp_lt_i32 s10, 1
	s_waitcnt lgkmcnt(0)
	s_barrier
	s_cbranch_scc1 .LBB68_21
; %bb.19:
	v_mov_b32_e32 v1, s20
	s_mov_b32 s0, 0xff800000
	v_mov_b32_e32 v2, 0xff800000
.LBB68_20:                              ; =>This Inner Loop Header: Depth=1
	ds_read2_b32 v[4:5], v1 offset1:1
	s_add_i32 s10, s10, -1
	s_cmp_lg_u32 s10, 0
	s_waitcnt lgkmcnt(0)
	v_cmp_nlg_f32_e32 vcc, s0, v4
	v_cndmask_b32_e64 v3, 0, 1, vcc
	v_cmp_lg_f32_e32 vcc, s0, v4
	v_cndmask_b32_e32 v4, v2, v4, vcc
	v_lshlrev_b32_e32 v3, 1, v3
	v_cmp_ngt_f32_e32 vcc, v5, v4
	v_cndmask_b32_e32 v3, 1, v3, vcc
	v_lshlrev_b32_e32 v3, 2, v3
	v_add_u32_e32 v3, s20, v3
	ds_write_b32 v3, v2
	s_cbranch_scc1 .LBB68_20
.LBB68_21:
	s_ashr_i32 s0, s8, 31
	s_lshr_b32 s0, s0, 30
	s_add_i32 s0, s8, s0
	s_ashr_i32 s7, s0, 2
	v_cmp_gt_i32_e32 vcc, s7, v0
	v_lshlrev_b32_e32 v1, 2, v0
	v_lshl_add_u32 v6, v0, 4, 0
	s_and_saveexec_b64 s[2:3], vcc
	s_cbranch_execz .LBB68_26
; %bb.22:
	s_abs_i32 s8, s11
	v_cvt_f32_u32_e32 v2, s8
	s_load_dword s0, s[4:5], 0x4c
	s_sub_i32 s1, 0, s8
	s_ashr_i32 s18, s11, 31
	v_rcp_iflag_f32_e32 v2, v2
	v_lshlrev_b32_e32 v7, 2, v0
	s_waitcnt lgkmcnt(0)
	s_and_b32 s19, s0, 0xffff
	v_lshl_add_u32 v8, v0, 4, 0
	v_mul_f32_e32 v2, 0x4f7ffffe, v2
	v_cvt_u32_f32_e32 v2, v2
	s_mov_b64 s[10:11], 0
	s_lshl_b32 s21, s19, 2
	s_lshl_b32 s22, s19, 4
	v_mul_lo_u32 v3, s1, v2
	v_mul_hi_u32 v3, v2, v3
	v_add_u32_e32 v9, v2, v3
	s_mov_b32 s23, 0xff800000
	v_mov_b32_e32 v2, 0xff800000
	v_mov_b32_e32 v10, v0
	s_branch .LBB68_24
.LBB68_23:                              ;   in Loop: Header=BB68_24 Depth=1
	s_or_b64 exec, exec, s[16:17]
	v_add_u32_e32 v10, s19, v10
	v_cmp_le_i32_e64 s[0:1], s7, v10
	v_add_u32_e32 v7, s21, v7
	s_or_b64 s[10:11], s[0:1], s[10:11]
	v_add_u32_e32 v8, s22, v8
	s_andn2_b64 exec, exec, s[10:11]
	s_cbranch_execz .LBB68_26
.LBB68_24:                              ; =>This Inner Loop Header: Depth=1
	v_mul_hi_u32 v3, v7, v9
	v_mul_lo_u32 v4, v3, s8
	v_sub_u32_e32 v4, v7, v4
	v_add_u32_e32 v5, 1, v3
	v_cmp_le_u32_e64 s[0:1], s8, v4
	v_cndmask_b32_e64 v3, v3, v5, s[0:1]
	v_subrev_u32_e32 v5, s8, v4
	v_cndmask_b32_e64 v4, v4, v5, s[0:1]
	v_add_u32_e32 v5, 1, v3
	v_cmp_le_u32_e64 s[0:1], s8, v4
	v_cndmask_b32_e64 v3, v3, v5, s[0:1]
	v_xor_b32_e32 v3, s18, v3
	v_subrev_u32_e32 v3, s18, v3
	v_lshl_add_u32 v3, v3, 2, s20
	ds_read_b32 v3, v3
	s_waitcnt lgkmcnt(0)
	v_cmp_neq_f32_e64 s[0:1], s23, v3
	s_and_saveexec_b64 s[16:17], s[0:1]
	s_cbranch_execz .LBB68_23
; %bb.25:                               ;   in Loop: Header=BB68_24 Depth=1
	v_mov_b32_e32 v3, v2
	v_mov_b32_e32 v4, v2
	;; [unrolled: 1-line block ×3, first 2 shown]
	ds_write_b128 v8, v[2:5]
	s_branch .LBB68_23
.LBB68_26:
	s_or_b64 exec, exec, s[2:3]
	s_cmp_lt_i32 s9, 1
	s_waitcnt lgkmcnt(0)
	s_barrier
	s_cbranch_scc1 .LBB68_33
; %bb.27:
	s_add_u32 s2, s4, 64
	s_addc_u32 s3, s5, 0
	s_mov_b32 s8, 0
	v_mov_b32_e32 v4, 0xff800000
                                        ; implicit-def: $vgpr3
                                        ; implicit-def: $vgpr2
	s_branch .LBB68_29
.LBB68_28:                              ;   in Loop: Header=BB68_29 Depth=1
	s_or_b64 exec, exec, s[10:11]
	v_mov_b32_dpp v9, v7 quad_perm:[1,0,3,2] row_mask:0xf bank_mask:0xf
	v_cmp_lt_f32_e64 s[0:1], v7, v9
	v_cndmask_b32_e64 v7, v7, v9, s[0:1]
	v_mov_b32_dpp v8, v5 quad_perm:[1,0,3,2] row_mask:0xf bank_mask:0xf
	v_cndmask_b32_e64 v5, v5, v8, s[0:1]
	v_mov_b32_dpp v9, v7 quad_perm:[2,3,0,1] row_mask:0xf bank_mask:0xf
	v_cmp_gt_f32_e64 s[0:1], v9, v7
	v_cndmask_b32_e64 v7, v7, v9, s[0:1]
	v_mov_b32_dpp v8, v5 quad_perm:[2,3,0,1] row_mask:0xf bank_mask:0xf
	v_cndmask_b32_e64 v5, v5, v8, s[0:1]
	v_mov_b32_dpp v9, v7 row_half_mirror row_mask:0xf bank_mask:0xf
	v_cmp_gt_f32_e64 s[0:1], v9, v7
	v_cndmask_b32_e64 v7, v7, v9, s[0:1]
	v_mov_b32_dpp v8, v5 row_half_mirror row_mask:0xf bank_mask:0xf
	v_cndmask_b32_e64 v5, v5, v8, s[0:1]
	v_mov_b32_dpp v9, v7 row_mirror row_mask:0xf bank_mask:0xf
	v_cmp_gt_f32_e64 s[0:1], v9, v7
	v_cndmask_b32_e64 v7, v7, v9, s[0:1]
	v_mov_b32_dpp v8, v5 row_mirror row_mask:0xf bank_mask:0xf
	v_cndmask_b32_e64 v5, v5, v8, s[0:1]
	v_mov_b32_dpp v9, v7 row_bcast:15 row_mask:0xf bank_mask:0xf
	v_cmp_gt_f32_e64 s[0:1], v9, v7
	v_mov_b32_dpp v8, v5 row_bcast:15 row_mask:0xf bank_mask:0xf
	v_cndmask_b32_e64 v7, v7, v9, s[0:1]
	v_cndmask_b32_e64 v5, v5, v8, s[0:1]
	s_nop 0
	v_mov_b32_dpp v9, v7 row_bcast:31 row_mask:0xf bank_mask:0xf
	v_mov_b32_dpp v8, v5 row_bcast:31 row_mask:0xf bank_mask:0xf
	v_cmp_gt_f32_e64 s[0:1], v9, v7
	v_cndmask_b32_e64 v5, v5, v8, s[0:1]
	v_cndmask_b32_e64 v7, v7, v9, s[0:1]
	v_readlane_b32 s0, v5, 63
	s_lshl_b32 s1, s0, 2
	s_add_i32 s1, s1, 0
	v_mov_b32_e32 v5, s1
	v_readlane_b32 s10, v7, 63
	ds_write_b32 v5, v4
	v_mov_b32_e32 v5, s0
	v_cmp_eq_u32_e64 s[0:1], s8, v0
	v_cndmask_b32_e64 v2, v2, v5, s[0:1]
	v_mov_b32_e32 v5, s10
	s_add_i32 s8, s8, 1
	s_cmp_eq_u32 s8, s9
	v_cndmask_b32_e64 v3, v3, v5, s[0:1]
	s_cbranch_scc1 .LBB68_34
.LBB68_29:                              ; =>This Loop Header: Depth=1
                                        ;     Child Loop BB68_31 Depth 2
	v_mov_b32_e32 v5, s8
	v_mov_b32_e32 v7, 0xff800000
	s_and_saveexec_b64 s[10:11], vcc
	s_cbranch_execz .LBB68_28
; %bb.30:                               ;   in Loop: Header=BB68_29 Depth=1
	s_load_dword s0, s[2:3], 0xc
	s_mov_b64 s[16:17], 0
	v_mov_b32_e32 v5, s8
	v_mov_b32_e32 v7, 0xff800000
	;; [unrolled: 1-line block ×3, first 2 shown]
	s_waitcnt lgkmcnt(0)
	s_and_b32 s18, s0, 0xffff
	s_lshl_b32 s19, s18, 2
	s_lshl_b32 s20, s18, 4
	v_mov_b32_e32 v9, v1
	v_mov_b32_e32 v10, v0
.LBB68_31:                              ;   Parent Loop BB68_29 Depth=1
                                        ; =>  This Inner Loop Header: Depth=2
	ds_read_b128 v[12:15], v8
	v_add_u32_e32 v10, s18, v10
	v_cmp_le_i32_e64 s[0:1], s7, v10
	s_or_b64 s[16:17], s[0:1], s[16:17]
	v_add_u32_e32 v11, 1, v9
	s_waitcnt lgkmcnt(0)
	v_cmp_gt_f32_e64 s[0:1], v12, v7
	v_cndmask_b32_e64 v7, v7, v12, s[0:1]
	v_cndmask_b32_e64 v5, v5, v9, s[0:1]
	v_cmp_gt_f32_e64 s[0:1], v13, v7
	v_cndmask_b32_e64 v7, v7, v13, s[0:1]
	v_cndmask_b32_e64 v5, v5, v11, s[0:1]
	v_cmp_gt_f32_e64 s[0:1], v14, v7
	v_add_u32_e32 v16, 2, v9
	v_cndmask_b32_e64 v7, v7, v14, s[0:1]
	v_add_u32_e32 v17, 3, v9
	v_cndmask_b32_e64 v5, v5, v16, s[0:1]
	v_cmp_gt_f32_e64 s[0:1], v15, v7
	v_add_u32_e32 v8, s20, v8
	v_add_u32_e32 v9, s19, v9
	v_cndmask_b32_e64 v7, v7, v15, s[0:1]
	v_cndmask_b32_e64 v5, v5, v17, s[0:1]
	s_andn2_b64 exec, exec, s[16:17]
	s_cbranch_execnz .LBB68_31
; %bb.32:                               ;   in Loop: Header=BB68_29 Depth=1
	s_or_b64 exec, exec, s[16:17]
	s_branch .LBB68_28
.LBB68_33:
                                        ; implicit-def: $vgpr3
                                        ; implicit-def: $vgpr2
.LBB68_34:
	v_cmp_gt_i32_e32 vcc, s9, v0
	s_and_saveexec_b64 s[0:1], vcc
	s_cbranch_execz .LBB68_37
; %bb.35:
	s_load_dword s2, s[4:5], 0x38
	s_load_dwordx2 s[0:1], s[4:5], 0x20
	s_ashr_i32 s3, s6, 31
	s_load_dword s4, s[4:5], 0x4c
	v_mov_b32_e32 v4, s13
	s_waitcnt lgkmcnt(0)
	v_mul_f32_e32 v1, s2, v3
	s_mul_i32 s1, s6, s1
	s_mul_hi_u32 s2, s6, s0
	s_add_i32 s1, s2, s1
	s_mul_i32 s3, s3, s0
	s_add_i32 s5, s1, s3
	s_mul_i32 s2, s6, s0
	s_and_b32 s3, s4, 0xffff
	s_mov_b64 s[0:1], 0
	v_mov_b32_e32 v3, s5
	v_mov_b32_e32 v5, s15
.LBB68_36:                              ; =>This Inner Loop Header: Depth=1
	v_ashrrev_i32_e32 v7, 31, v0
	v_add_co_u32_e32 v6, vcc, s2, v0
	v_addc_co_u32_e32 v7, vcc, v3, v7, vcc
	v_add_u32_e32 v0, s3, v0
	v_cmp_le_i32_e32 vcc, s9, v0
	v_lshlrev_b64 v[6:7], 2, v[6:7]
	s_or_b64 s[0:1], vcc, s[0:1]
	v_add_co_u32_e32 v8, vcc, s12, v6
	v_addc_co_u32_e32 v9, vcc, v4, v7, vcc
	v_add_co_u32_e32 v6, vcc, s14, v6
	v_addc_co_u32_e32 v7, vcc, v5, v7, vcc
	global_store_dword v[8:9], v1, off
	global_store_dword v[6:7], v2, off
	s_andn2_b64 exec, exec, s[0:1]
	s_cbranch_execnz .LBB68_36
.LBB68_37:
	s_endpgm
	.section	.rodata,"a",@progbits
	.p2align	6, 0x0
	.amdhsa_kernel _ZN5aiter19grouped_topk_kernelIN3c104HalfEDv4_fLi2ELb0ELb0ELb1EEEvPT_PKS4_PfPimiiiif
		.amdhsa_group_segment_fixed_size 0
		.amdhsa_private_segment_fixed_size 0
		.amdhsa_kernarg_size 320
		.amdhsa_user_sgpr_count 6
		.amdhsa_user_sgpr_private_segment_buffer 1
		.amdhsa_user_sgpr_dispatch_ptr 0
		.amdhsa_user_sgpr_queue_ptr 0
		.amdhsa_user_sgpr_kernarg_segment_ptr 1
		.amdhsa_user_sgpr_dispatch_id 0
		.amdhsa_user_sgpr_flat_scratch_init 0
		.amdhsa_user_sgpr_kernarg_preload_length 0
		.amdhsa_user_sgpr_kernarg_preload_offset 0
		.amdhsa_user_sgpr_private_segment_size 0
		.amdhsa_uses_dynamic_stack 0
		.amdhsa_system_sgpr_private_segment_wavefront_offset 0
		.amdhsa_system_sgpr_workgroup_id_x 1
		.amdhsa_system_sgpr_workgroup_id_y 0
		.amdhsa_system_sgpr_workgroup_id_z 0
		.amdhsa_system_sgpr_workgroup_info 0
		.amdhsa_system_vgpr_workitem_id 0
		.amdhsa_next_free_vgpr 18
		.amdhsa_next_free_sgpr 24
		.amdhsa_accum_offset 20
		.amdhsa_reserve_vcc 1
		.amdhsa_reserve_flat_scratch 0
		.amdhsa_float_round_mode_32 0
		.amdhsa_float_round_mode_16_64 0
		.amdhsa_float_denorm_mode_32 3
		.amdhsa_float_denorm_mode_16_64 3
		.amdhsa_dx10_clamp 1
		.amdhsa_ieee_mode 1
		.amdhsa_fp16_overflow 0
		.amdhsa_tg_split 0
		.amdhsa_exception_fp_ieee_invalid_op 0
		.amdhsa_exception_fp_denorm_src 0
		.amdhsa_exception_fp_ieee_div_zero 0
		.amdhsa_exception_fp_ieee_overflow 0
		.amdhsa_exception_fp_ieee_underflow 0
		.amdhsa_exception_fp_ieee_inexact 0
		.amdhsa_exception_int_div_zero 0
	.end_amdhsa_kernel
	.section	.text._ZN5aiter19grouped_topk_kernelIN3c104HalfEDv4_fLi2ELb0ELb0ELb1EEEvPT_PKS4_PfPimiiiif,"axG",@progbits,_ZN5aiter19grouped_topk_kernelIN3c104HalfEDv4_fLi2ELb0ELb0ELb1EEEvPT_PKS4_PfPimiiiif,comdat
.Lfunc_end68:
	.size	_ZN5aiter19grouped_topk_kernelIN3c104HalfEDv4_fLi2ELb0ELb0ELb1EEEvPT_PKS4_PfPimiiiif, .Lfunc_end68-_ZN5aiter19grouped_topk_kernelIN3c104HalfEDv4_fLi2ELb0ELb0ELb1EEEvPT_PKS4_PfPimiiiif
                                        ; -- End function
	.section	.AMDGPU.csdata,"",@progbits
; Kernel info:
; codeLenInByte = 2412
; NumSgprs: 28
; NumVgprs: 18
; NumAgprs: 0
; TotalNumVgprs: 18
; ScratchSize: 0
; MemoryBound: 0
; FloatMode: 240
; IeeeMode: 1
; LDSByteSize: 0 bytes/workgroup (compile time only)
; SGPRBlocks: 3
; VGPRBlocks: 2
; NumSGPRsForWavesPerEU: 28
; NumVGPRsForWavesPerEU: 18
; AccumOffset: 20
; Occupancy: 8
; WaveLimiterHint : 0
; COMPUTE_PGM_RSRC2:SCRATCH_EN: 0
; COMPUTE_PGM_RSRC2:USER_SGPR: 6
; COMPUTE_PGM_RSRC2:TRAP_HANDLER: 0
; COMPUTE_PGM_RSRC2:TGID_X_EN: 1
; COMPUTE_PGM_RSRC2:TGID_Y_EN: 0
; COMPUTE_PGM_RSRC2:TGID_Z_EN: 0
; COMPUTE_PGM_RSRC2:TIDIG_COMP_CNT: 0
; COMPUTE_PGM_RSRC3_GFX90A:ACCUM_OFFSET: 4
; COMPUTE_PGM_RSRC3_GFX90A:TG_SPLIT: 0
	.section	.text._ZN5aiter19grouped_topk_kernelIN3c108BFloat16EDv4_fLi2ELb0ELb0ELb1EEEvPT_PKS4_PfPimiiiif,"axG",@progbits,_ZN5aiter19grouped_topk_kernelIN3c108BFloat16EDv4_fLi2ELb0ELb0ELb1EEEvPT_PKS4_PfPimiiiif,comdat
	.protected	_ZN5aiter19grouped_topk_kernelIN3c108BFloat16EDv4_fLi2ELb0ELb0ELb1EEEvPT_PKS4_PfPimiiiif ; -- Begin function _ZN5aiter19grouped_topk_kernelIN3c108BFloat16EDv4_fLi2ELb0ELb0ELb1EEEvPT_PKS4_PfPimiiiif
	.globl	_ZN5aiter19grouped_topk_kernelIN3c108BFloat16EDv4_fLi2ELb0ELb0ELb1EEEvPT_PKS4_PfPimiiiif
	.p2align	8
	.type	_ZN5aiter19grouped_topk_kernelIN3c108BFloat16EDv4_fLi2ELb0ELb0ELb1EEEvPT_PKS4_PfPimiiiif,@function
_ZN5aiter19grouped_topk_kernelIN3c108BFloat16EDv4_fLi2ELb0ELb0ELb1EEEvPT_PKS4_PfPimiiiif: ; @_ZN5aiter19grouped_topk_kernelIN3c108BFloat16EDv4_fLi2ELb0ELb0ELb1EEEvPT_PKS4_PfPimiiiif
; %bb.0:
	s_load_dwordx4 s[8:11], s[4:5], 0x28
	s_load_dwordx4 s[12:15], s[4:5], 0x10
	v_mov_b32_e32 v1, 0xff800000
	s_waitcnt lgkmcnt(0)
	v_cmp_gt_i32_e32 vcc, s8, v0
	s_and_saveexec_b64 s[2:3], vcc
	s_cbranch_execz .LBB69_4
; %bb.1:
	s_load_dword s0, s[4:5], 0x4c
	s_load_dwordx2 s[16:17], s[4:5], 0x0
	s_mul_i32 s7, s6, s8
	v_lshl_add_u32 v2, v0, 2, 0
	s_mov_b64 s[18:19], 0
	s_waitcnt lgkmcnt(0)
	s_and_b32 s11, s0, 0xffff
	s_lshl_b32 s20, s11, 2
	v_mov_b32_e32 v1, 0xff800000
	v_mov_b32_e32 v3, s17
	;; [unrolled: 1-line block ×3, first 2 shown]
.LBB69_2:                               ; =>This Inner Loop Header: Depth=1
	v_add_u32_e32 v6, s7, v4
	v_ashrrev_i32_e32 v7, 31, v6
	v_lshlrev_b64 v[6:7], 1, v[6:7]
	v_add_co_u32_e64 v6, s[0:1], s16, v6
	v_addc_co_u32_e64 v7, s[0:1], v3, v7, s[0:1]
	global_load_ushort v5, v[6:7], off
	v_add_u32_e32 v4, s11, v4
	v_cmp_le_i32_e64 s[0:1], s8, v4
	s_or_b64 s[18:19], s[0:1], s[18:19]
	s_waitcnt vmcnt(0)
	v_lshrrev_b16_e32 v6, 8, v5
	v_and_b32_e32 v5, 0xff, v5
	v_lshlrev_b32_e32 v5, 16, v5
	v_lshl_or_b32 v5, v6, 24, v5
	v_cmp_lt_f32_e64 s[0:1], v1, v5
	ds_write_b32 v2, v5
	v_cndmask_b32_e64 v1, v1, v5, s[0:1]
	v_add_u32_e32 v2, s20, v2
	s_andn2_b64 exec, exec, s[18:19]
	s_cbranch_execnz .LBB69_2
; %bb.3:
	s_or_b64 exec, exec, s[18:19]
.LBB69_4:
	s_or_b64 exec, exec, s[2:3]
	v_mov_b32_dpp v2, v1 quad_perm:[1,0,3,2] row_mask:0xf bank_mask:0xf
	v_cmp_lt_f32_e64 s[0:1], v1, v2
	v_cndmask_b32_e64 v1, v1, v2, s[0:1]
	v_bfrev_b32_e32 v3, 0.5
	s_waitcnt lgkmcnt(0)
	v_mov_b32_dpp v2, v1 quad_perm:[2,3,0,1] row_mask:0xf bank_mask:0xf
	v_cmp_lt_f32_e64 s[0:1], v1, v2
	v_cndmask_b32_e64 v1, v1, v2, s[0:1]
	s_barrier
	s_nop 0
	v_mov_b32_dpp v2, v1 row_half_mirror row_mask:0xf bank_mask:0xf
	v_cmp_lt_f32_e64 s[0:1], v1, v2
	v_cndmask_b32_e64 v1, v1, v2, s[0:1]
	s_nop 1
	v_mov_b32_dpp v2, v1 row_mirror row_mask:0xf bank_mask:0xf
	v_cmp_lt_f32_e64 s[0:1], v1, v2
	v_cndmask_b32_e64 v1, v1, v2, s[0:1]
	s_nop 1
	v_mov_b32_dpp v2, v1 row_bcast:15 row_mask:0xf bank_mask:0xf
	v_cmp_lt_f32_e64 s[0:1], v1, v2
	v_cndmask_b32_e64 v1, v1, v2, s[0:1]
	s_nop 1
	v_mov_b32_dpp v2, v1 row_bcast:31 row_mask:0xf bank_mask:0xf
	v_cmp_lt_f32_e64 s[0:1], v1, v2
	v_cndmask_b32_e64 v2, v1, v2, s[0:1]
	v_mbcnt_lo_u32_b32 v1, -1, 0
	v_mbcnt_hi_u32_b32 v1, -1, v1
	v_lshl_or_b32 v1, v1, 2, v3
	ds_bpermute_b32 v3, v1, v2
	v_mov_b32_e32 v2, 0
	s_and_saveexec_b64 s[2:3], vcc
	s_cbranch_execz .LBB69_8
; %bb.5:
	s_load_dword s0, s[4:5], 0x4c
	v_lshl_add_u32 v4, v0, 2, 0
	s_mov_b64 s[16:17], 0
	v_mov_b32_e32 v2, 0
	s_mov_b32 s7, 0x3fb8aa3b
	s_waitcnt lgkmcnt(0)
	s_and_b32 s11, s0, 0xffff
	s_lshl_b32 s18, s11, 2
	s_mov_b32 s19, 0xc2ce8ed0
	s_mov_b32 s20, 0x42b17218
	v_mov_b32_e32 v5, 0x7f800000
	v_mov_b32_e32 v6, v0
.LBB69_6:                               ; =>This Inner Loop Header: Depth=1
	ds_read_b32 v7, v4
	v_add_u32_e32 v6, s11, v6
	s_waitcnt lgkmcnt(0)
	v_sub_f32_e32 v7, v7, v3
	v_mul_f32_e32 v8, 0x3fb8aa3b, v7
	v_fma_f32 v9, v7, s7, -v8
	v_rndne_f32_e32 v10, v8
	v_fmac_f32_e32 v9, 0x32a5705f, v7
	v_sub_f32_e32 v8, v8, v10
	v_add_f32_e32 v8, v8, v9
	v_cvt_i32_f32_e32 v10, v10
	v_exp_f32_e32 v8, v8
	v_cmp_ngt_f32_e64 s[0:1], s19, v7
	v_ldexp_f32 v8, v8, v10
	v_cndmask_b32_e64 v8, 0, v8, s[0:1]
	v_cmp_nlt_f32_e64 s[0:1], s20, v7
	v_cndmask_b32_e64 v7, v5, v8, s[0:1]
	v_cmp_le_i32_e64 s[0:1], s8, v6
	ds_write_b32 v4, v7
	v_add_f32_e32 v2, v2, v7
	s_or_b64 s[16:17], s[0:1], s[16:17]
	v_add_u32_e32 v4, s18, v4
	s_andn2_b64 exec, exec, s[16:17]
	s_cbranch_execnz .LBB69_6
; %bb.7:
	s_or_b64 exec, exec, s[16:17]
.LBB69_8:
	s_or_b64 exec, exec, s[2:3]
	s_waitcnt lgkmcnt(0)
	v_mov_b32_dpp v3, v2 quad_perm:[1,0,3,2] row_mask:0xf bank_mask:0xf
	v_add_f32_e32 v2, v2, v3
	s_barrier
	s_nop 0
	v_mov_b32_dpp v3, v2 quad_perm:[2,3,0,1] row_mask:0xf bank_mask:0xf
	v_add_f32_e32 v2, v2, v3
	s_nop 1
	v_mov_b32_dpp v3, v2 row_half_mirror row_mask:0xf bank_mask:0xf
	v_add_f32_e32 v2, v2, v3
	s_nop 1
	v_mov_b32_dpp v3, v2 row_mirror row_mask:0xf bank_mask:0xf
	v_add_f32_e32 v2, v2, v3
	s_nop 1
	v_mov_b32_dpp v3, v2 row_bcast:15 row_mask:0xf bank_mask:0xf
	v_add_f32_e32 v2, v2, v3
	s_nop 1
	v_mov_b32_dpp v3, v2 row_bcast:31 row_mask:0xf bank_mask:0xf
	v_add_f32_e32 v2, v2, v3
	ds_bpermute_b32 v1, v1, v2
	s_and_saveexec_b64 s[0:1], vcc
	s_cbranch_execz .LBB69_11
; %bb.9:
	s_load_dword s7, s[4:5], 0x4c
	v_lshl_add_u32 v2, v0, 2, 0
	s_mov_b64 s[2:3], 0
	v_mov_b32_e32 v3, v0
	s_waitcnt lgkmcnt(0)
	s_and_b32 s7, s7, 0xffff
	s_lshl_b32 s11, s7, 2
.LBB69_10:                              ; =>This Inner Loop Header: Depth=1
	ds_read_b32 v4, v2
	v_add_u32_e32 v3, s7, v3
	v_cmp_le_i32_e32 vcc, s8, v3
	s_or_b64 s[2:3], vcc, s[2:3]
	s_waitcnt lgkmcnt(0)
	v_div_scale_f32 v5, s[16:17], v1, v1, v4
	v_rcp_f32_e32 v6, v5
	v_div_scale_f32 v7, vcc, v4, v1, v4
	v_fma_f32 v8, -v5, v6, 1.0
	v_fmac_f32_e32 v6, v8, v6
	v_mul_f32_e32 v8, v7, v6
	v_fma_f32 v9, -v5, v8, v7
	v_fmac_f32_e32 v8, v9, v6
	v_fma_f32 v5, -v5, v8, v7
	v_div_fmas_f32 v5, v5, v6, v8
	v_div_fixup_f32 v4, v5, v1, v4
	ds_write_b32 v2, v4
	v_add_u32_e32 v2, s11, v2
	s_andn2_b64 exec, exec, s[2:3]
	s_cbranch_execnz .LBB69_10
.LBB69_11:
	s_or_b64 exec, exec, s[0:1]
	s_lshr_b32 s0, s8, 31
	s_add_i32 s0, s8, s0
	s_ashr_i32 s11, s0, 1
	s_lshl_b32 s0, s8, 2
	s_add_i32 s20, s0, 0
	v_cmp_gt_u32_e32 vcc, 2, v0
	s_waitcnt lgkmcnt(0)
	s_barrier
	s_and_saveexec_b64 s[2:3], vcc
	s_cbranch_execz .LBB69_18
; %bb.12:
	s_load_dword s0, s[4:5], 0x4c
	v_mul_lo_u32 v1, v0, s11
	v_lshl_add_u32 v1, v1, 2, 0
	s_waitcnt lgkmcnt(0)
	s_and_b32 s7, s0, 0xffff
	s_cmp_gt_i32 s8, 1
	s_cselect_b64 s[0:1], -1, 0
	s_mul_i32 s16, s11, s7
	v_cndmask_b32_e64 v2, 0, 1, s[0:1]
	s_lshl_b32 s21, s16, 2
	s_mov_b64 s[16:17], 0
	v_cmp_ne_u32_e64 s[0:1], 1, v2
	v_mov_b32_e32 v2, v0
	s_branch .LBB69_14
.LBB69_13:                              ;   in Loop: Header=BB69_14 Depth=1
	v_lshl_add_u32 v4, v2, 2, s20
	v_add_u32_e32 v2, s7, v2
	v_cmp_lt_u32_e32 vcc, 1, v2
	s_or_b64 s[16:17], vcc, s[16:17]
	v_add_u32_e32 v1, s21, v1
	ds_write_b32 v4, v3
	s_andn2_b64 exec, exec, s[16:17]
	s_cbranch_execz .LBB69_18
.LBB69_14:                              ; =>This Loop Header: Depth=1
                                        ;     Child Loop BB69_16 Depth 2
	s_and_b64 vcc, exec, s[0:1]
	v_mov_b32_e32 v3, 0xff800000
	s_cbranch_vccnz .LBB69_13
; %bb.15:                               ;   in Loop: Header=BB69_14 Depth=1
	v_mul_lo_u32 v4, v2, s11
	v_add_u32_e32 v5, s11, v4
	s_mov_b64 s[18:19], 0
	v_mov_b32_e32 v3, 0xff800000
	v_mov_b32_e32 v6, v1
.LBB69_16:                              ;   Parent Loop BB69_14 Depth=1
                                        ; =>  This Inner Loop Header: Depth=2
	ds_read_b32 v7, v6
	v_add_u32_e32 v4, 1, v4
	v_cmp_ge_i32_e32 vcc, v4, v5
	s_or_b64 s[18:19], vcc, s[18:19]
	v_add_u32_e32 v6, 4, v6
	s_waitcnt lgkmcnt(0)
	v_cmp_gt_f32_e32 vcc, v7, v3
	v_cndmask_b32_e32 v3, v3, v7, vcc
	s_andn2_b64 exec, exec, s[18:19]
	s_cbranch_execnz .LBB69_16
; %bb.17:                               ;   in Loop: Header=BB69_14 Depth=1
	s_or_b64 exec, exec, s[18:19]
	s_branch .LBB69_13
.LBB69_18:
	s_or_b64 exec, exec, s[2:3]
	s_cmp_lt_i32 s10, 1
	s_waitcnt lgkmcnt(0)
	s_barrier
	s_cbranch_scc1 .LBB69_21
; %bb.19:
	v_mov_b32_e32 v1, s20
	s_mov_b32 s0, 0xff800000
	v_mov_b32_e32 v2, 0xff800000
.LBB69_20:                              ; =>This Inner Loop Header: Depth=1
	ds_read2_b32 v[4:5], v1 offset1:1
	s_add_i32 s10, s10, -1
	s_cmp_lg_u32 s10, 0
	s_waitcnt lgkmcnt(0)
	v_cmp_nlg_f32_e32 vcc, s0, v4
	v_cndmask_b32_e64 v3, 0, 1, vcc
	v_cmp_lg_f32_e32 vcc, s0, v4
	v_cndmask_b32_e32 v4, v2, v4, vcc
	v_lshlrev_b32_e32 v3, 1, v3
	v_cmp_ngt_f32_e32 vcc, v5, v4
	v_cndmask_b32_e32 v3, 1, v3, vcc
	v_lshlrev_b32_e32 v3, 2, v3
	v_add_u32_e32 v3, s20, v3
	ds_write_b32 v3, v2
	s_cbranch_scc1 .LBB69_20
.LBB69_21:
	s_ashr_i32 s0, s8, 31
	s_lshr_b32 s0, s0, 30
	s_add_i32 s0, s8, s0
	s_ashr_i32 s7, s0, 2
	v_cmp_gt_i32_e32 vcc, s7, v0
	v_lshlrev_b32_e32 v1, 2, v0
	v_lshl_add_u32 v6, v0, 4, 0
	s_and_saveexec_b64 s[2:3], vcc
	s_cbranch_execz .LBB69_26
; %bb.22:
	s_abs_i32 s8, s11
	v_cvt_f32_u32_e32 v2, s8
	s_load_dword s0, s[4:5], 0x4c
	s_sub_i32 s1, 0, s8
	s_ashr_i32 s18, s11, 31
	v_rcp_iflag_f32_e32 v2, v2
	v_lshlrev_b32_e32 v7, 2, v0
	s_waitcnt lgkmcnt(0)
	s_and_b32 s19, s0, 0xffff
	v_lshl_add_u32 v8, v0, 4, 0
	v_mul_f32_e32 v2, 0x4f7ffffe, v2
	v_cvt_u32_f32_e32 v2, v2
	s_mov_b64 s[10:11], 0
	s_lshl_b32 s21, s19, 2
	s_lshl_b32 s22, s19, 4
	v_mul_lo_u32 v3, s1, v2
	v_mul_hi_u32 v3, v2, v3
	v_add_u32_e32 v9, v2, v3
	s_mov_b32 s23, 0xff800000
	v_mov_b32_e32 v2, 0xff800000
	v_mov_b32_e32 v10, v0
	s_branch .LBB69_24
.LBB69_23:                              ;   in Loop: Header=BB69_24 Depth=1
	s_or_b64 exec, exec, s[16:17]
	v_add_u32_e32 v10, s19, v10
	v_cmp_le_i32_e64 s[0:1], s7, v10
	v_add_u32_e32 v7, s21, v7
	s_or_b64 s[10:11], s[0:1], s[10:11]
	v_add_u32_e32 v8, s22, v8
	s_andn2_b64 exec, exec, s[10:11]
	s_cbranch_execz .LBB69_26
.LBB69_24:                              ; =>This Inner Loop Header: Depth=1
	v_mul_hi_u32 v3, v7, v9
	v_mul_lo_u32 v4, v3, s8
	v_sub_u32_e32 v4, v7, v4
	v_add_u32_e32 v5, 1, v3
	v_cmp_le_u32_e64 s[0:1], s8, v4
	v_cndmask_b32_e64 v3, v3, v5, s[0:1]
	v_subrev_u32_e32 v5, s8, v4
	v_cndmask_b32_e64 v4, v4, v5, s[0:1]
	v_add_u32_e32 v5, 1, v3
	v_cmp_le_u32_e64 s[0:1], s8, v4
	v_cndmask_b32_e64 v3, v3, v5, s[0:1]
	v_xor_b32_e32 v3, s18, v3
	v_subrev_u32_e32 v3, s18, v3
	v_lshl_add_u32 v3, v3, 2, s20
	ds_read_b32 v3, v3
	s_waitcnt lgkmcnt(0)
	v_cmp_neq_f32_e64 s[0:1], s23, v3
	s_and_saveexec_b64 s[16:17], s[0:1]
	s_cbranch_execz .LBB69_23
; %bb.25:                               ;   in Loop: Header=BB69_24 Depth=1
	v_mov_b32_e32 v3, v2
	v_mov_b32_e32 v4, v2
	v_mov_b32_e32 v5, v2
	ds_write_b128 v8, v[2:5]
	s_branch .LBB69_23
.LBB69_26:
	s_or_b64 exec, exec, s[2:3]
	s_cmp_lt_i32 s9, 1
	s_waitcnt lgkmcnt(0)
	s_barrier
	s_cbranch_scc1 .LBB69_33
; %bb.27:
	s_add_u32 s2, s4, 64
	s_addc_u32 s3, s5, 0
	s_mov_b32 s8, 0
	v_mov_b32_e32 v4, 0xff800000
                                        ; implicit-def: $vgpr3
                                        ; implicit-def: $vgpr2
	s_branch .LBB69_29
.LBB69_28:                              ;   in Loop: Header=BB69_29 Depth=1
	s_or_b64 exec, exec, s[10:11]
	v_mov_b32_dpp v9, v7 quad_perm:[1,0,3,2] row_mask:0xf bank_mask:0xf
	v_cmp_lt_f32_e64 s[0:1], v7, v9
	v_cndmask_b32_e64 v7, v7, v9, s[0:1]
	v_mov_b32_dpp v8, v5 quad_perm:[1,0,3,2] row_mask:0xf bank_mask:0xf
	v_cndmask_b32_e64 v5, v5, v8, s[0:1]
	v_mov_b32_dpp v9, v7 quad_perm:[2,3,0,1] row_mask:0xf bank_mask:0xf
	v_cmp_gt_f32_e64 s[0:1], v9, v7
	v_cndmask_b32_e64 v7, v7, v9, s[0:1]
	v_mov_b32_dpp v8, v5 quad_perm:[2,3,0,1] row_mask:0xf bank_mask:0xf
	v_cndmask_b32_e64 v5, v5, v8, s[0:1]
	v_mov_b32_dpp v9, v7 row_half_mirror row_mask:0xf bank_mask:0xf
	v_cmp_gt_f32_e64 s[0:1], v9, v7
	v_cndmask_b32_e64 v7, v7, v9, s[0:1]
	v_mov_b32_dpp v8, v5 row_half_mirror row_mask:0xf bank_mask:0xf
	v_cndmask_b32_e64 v5, v5, v8, s[0:1]
	v_mov_b32_dpp v9, v7 row_mirror row_mask:0xf bank_mask:0xf
	v_cmp_gt_f32_e64 s[0:1], v9, v7
	v_cndmask_b32_e64 v7, v7, v9, s[0:1]
	v_mov_b32_dpp v8, v5 row_mirror row_mask:0xf bank_mask:0xf
	v_cndmask_b32_e64 v5, v5, v8, s[0:1]
	v_mov_b32_dpp v9, v7 row_bcast:15 row_mask:0xf bank_mask:0xf
	v_cmp_gt_f32_e64 s[0:1], v9, v7
	v_mov_b32_dpp v8, v5 row_bcast:15 row_mask:0xf bank_mask:0xf
	v_cndmask_b32_e64 v7, v7, v9, s[0:1]
	v_cndmask_b32_e64 v5, v5, v8, s[0:1]
	s_nop 0
	v_mov_b32_dpp v9, v7 row_bcast:31 row_mask:0xf bank_mask:0xf
	v_mov_b32_dpp v8, v5 row_bcast:31 row_mask:0xf bank_mask:0xf
	v_cmp_gt_f32_e64 s[0:1], v9, v7
	v_cndmask_b32_e64 v5, v5, v8, s[0:1]
	v_cndmask_b32_e64 v7, v7, v9, s[0:1]
	v_readlane_b32 s0, v5, 63
	s_lshl_b32 s1, s0, 2
	s_add_i32 s1, s1, 0
	v_mov_b32_e32 v5, s1
	v_readlane_b32 s10, v7, 63
	ds_write_b32 v5, v4
	v_mov_b32_e32 v5, s0
	v_cmp_eq_u32_e64 s[0:1], s8, v0
	v_cndmask_b32_e64 v2, v2, v5, s[0:1]
	v_mov_b32_e32 v5, s10
	s_add_i32 s8, s8, 1
	s_cmp_eq_u32 s8, s9
	v_cndmask_b32_e64 v3, v3, v5, s[0:1]
	s_cbranch_scc1 .LBB69_34
.LBB69_29:                              ; =>This Loop Header: Depth=1
                                        ;     Child Loop BB69_31 Depth 2
	v_mov_b32_e32 v5, s8
	v_mov_b32_e32 v7, 0xff800000
	s_and_saveexec_b64 s[10:11], vcc
	s_cbranch_execz .LBB69_28
; %bb.30:                               ;   in Loop: Header=BB69_29 Depth=1
	s_load_dword s0, s[2:3], 0xc
	s_mov_b64 s[16:17], 0
	v_mov_b32_e32 v5, s8
	v_mov_b32_e32 v7, 0xff800000
	;; [unrolled: 1-line block ×3, first 2 shown]
	s_waitcnt lgkmcnt(0)
	s_and_b32 s18, s0, 0xffff
	s_lshl_b32 s19, s18, 2
	s_lshl_b32 s20, s18, 4
	v_mov_b32_e32 v9, v1
	v_mov_b32_e32 v10, v0
.LBB69_31:                              ;   Parent Loop BB69_29 Depth=1
                                        ; =>  This Inner Loop Header: Depth=2
	ds_read_b128 v[12:15], v8
	v_add_u32_e32 v10, s18, v10
	v_cmp_le_i32_e64 s[0:1], s7, v10
	s_or_b64 s[16:17], s[0:1], s[16:17]
	v_add_u32_e32 v11, 1, v9
	s_waitcnt lgkmcnt(0)
	v_cmp_gt_f32_e64 s[0:1], v12, v7
	v_cndmask_b32_e64 v7, v7, v12, s[0:1]
	v_cndmask_b32_e64 v5, v5, v9, s[0:1]
	v_cmp_gt_f32_e64 s[0:1], v13, v7
	v_cndmask_b32_e64 v7, v7, v13, s[0:1]
	v_cndmask_b32_e64 v5, v5, v11, s[0:1]
	v_cmp_gt_f32_e64 s[0:1], v14, v7
	v_add_u32_e32 v16, 2, v9
	v_cndmask_b32_e64 v7, v7, v14, s[0:1]
	v_add_u32_e32 v17, 3, v9
	v_cndmask_b32_e64 v5, v5, v16, s[0:1]
	v_cmp_gt_f32_e64 s[0:1], v15, v7
	v_add_u32_e32 v8, s20, v8
	v_add_u32_e32 v9, s19, v9
	v_cndmask_b32_e64 v7, v7, v15, s[0:1]
	v_cndmask_b32_e64 v5, v5, v17, s[0:1]
	s_andn2_b64 exec, exec, s[16:17]
	s_cbranch_execnz .LBB69_31
; %bb.32:                               ;   in Loop: Header=BB69_29 Depth=1
	s_or_b64 exec, exec, s[16:17]
	s_branch .LBB69_28
.LBB69_33:
                                        ; implicit-def: $vgpr3
                                        ; implicit-def: $vgpr2
.LBB69_34:
	v_cmp_gt_i32_e32 vcc, s9, v0
	s_and_saveexec_b64 s[0:1], vcc
	s_cbranch_execz .LBB69_37
; %bb.35:
	s_load_dword s2, s[4:5], 0x38
	s_load_dwordx2 s[0:1], s[4:5], 0x20
	s_ashr_i32 s3, s6, 31
	s_load_dword s4, s[4:5], 0x4c
	v_mov_b32_e32 v4, s13
	s_waitcnt lgkmcnt(0)
	v_mul_f32_e32 v1, s2, v3
	s_mul_i32 s1, s6, s1
	s_mul_hi_u32 s2, s6, s0
	s_add_i32 s1, s2, s1
	s_mul_i32 s3, s3, s0
	s_add_i32 s5, s1, s3
	s_mul_i32 s2, s6, s0
	s_and_b32 s3, s4, 0xffff
	s_mov_b64 s[0:1], 0
	v_mov_b32_e32 v3, s5
	v_mov_b32_e32 v5, s15
.LBB69_36:                              ; =>This Inner Loop Header: Depth=1
	v_ashrrev_i32_e32 v7, 31, v0
	v_add_co_u32_e32 v6, vcc, s2, v0
	v_addc_co_u32_e32 v7, vcc, v3, v7, vcc
	v_add_u32_e32 v0, s3, v0
	v_cmp_le_i32_e32 vcc, s9, v0
	v_lshlrev_b64 v[6:7], 2, v[6:7]
	s_or_b64 s[0:1], vcc, s[0:1]
	v_add_co_u32_e32 v8, vcc, s12, v6
	v_addc_co_u32_e32 v9, vcc, v4, v7, vcc
	v_add_co_u32_e32 v6, vcc, s14, v6
	v_addc_co_u32_e32 v7, vcc, v5, v7, vcc
	global_store_dword v[8:9], v1, off
	global_store_dword v[6:7], v2, off
	s_andn2_b64 exec, exec, s[0:1]
	s_cbranch_execnz .LBB69_36
.LBB69_37:
	s_endpgm
	.section	.rodata,"a",@progbits
	.p2align	6, 0x0
	.amdhsa_kernel _ZN5aiter19grouped_topk_kernelIN3c108BFloat16EDv4_fLi2ELb0ELb0ELb1EEEvPT_PKS4_PfPimiiiif
		.amdhsa_group_segment_fixed_size 0
		.amdhsa_private_segment_fixed_size 0
		.amdhsa_kernarg_size 320
		.amdhsa_user_sgpr_count 6
		.amdhsa_user_sgpr_private_segment_buffer 1
		.amdhsa_user_sgpr_dispatch_ptr 0
		.amdhsa_user_sgpr_queue_ptr 0
		.amdhsa_user_sgpr_kernarg_segment_ptr 1
		.amdhsa_user_sgpr_dispatch_id 0
		.amdhsa_user_sgpr_flat_scratch_init 0
		.amdhsa_user_sgpr_kernarg_preload_length 0
		.amdhsa_user_sgpr_kernarg_preload_offset 0
		.amdhsa_user_sgpr_private_segment_size 0
		.amdhsa_uses_dynamic_stack 0
		.amdhsa_system_sgpr_private_segment_wavefront_offset 0
		.amdhsa_system_sgpr_workgroup_id_x 1
		.amdhsa_system_sgpr_workgroup_id_y 0
		.amdhsa_system_sgpr_workgroup_id_z 0
		.amdhsa_system_sgpr_workgroup_info 0
		.amdhsa_system_vgpr_workitem_id 0
		.amdhsa_next_free_vgpr 18
		.amdhsa_next_free_sgpr 24
		.amdhsa_accum_offset 20
		.amdhsa_reserve_vcc 1
		.amdhsa_reserve_flat_scratch 0
		.amdhsa_float_round_mode_32 0
		.amdhsa_float_round_mode_16_64 0
		.amdhsa_float_denorm_mode_32 3
		.amdhsa_float_denorm_mode_16_64 3
		.amdhsa_dx10_clamp 1
		.amdhsa_ieee_mode 1
		.amdhsa_fp16_overflow 0
		.amdhsa_tg_split 0
		.amdhsa_exception_fp_ieee_invalid_op 0
		.amdhsa_exception_fp_denorm_src 0
		.amdhsa_exception_fp_ieee_div_zero 0
		.amdhsa_exception_fp_ieee_overflow 0
		.amdhsa_exception_fp_ieee_underflow 0
		.amdhsa_exception_fp_ieee_inexact 0
		.amdhsa_exception_int_div_zero 0
	.end_amdhsa_kernel
	.section	.text._ZN5aiter19grouped_topk_kernelIN3c108BFloat16EDv4_fLi2ELb0ELb0ELb1EEEvPT_PKS4_PfPimiiiif,"axG",@progbits,_ZN5aiter19grouped_topk_kernelIN3c108BFloat16EDv4_fLi2ELb0ELb0ELb1EEEvPT_PKS4_PfPimiiiif,comdat
.Lfunc_end69:
	.size	_ZN5aiter19grouped_topk_kernelIN3c108BFloat16EDv4_fLi2ELb0ELb0ELb1EEEvPT_PKS4_PfPimiiiif, .Lfunc_end69-_ZN5aiter19grouped_topk_kernelIN3c108BFloat16EDv4_fLi2ELb0ELb0ELb1EEEvPT_PKS4_PfPimiiiif
                                        ; -- End function
	.section	.AMDGPU.csdata,"",@progbits
; Kernel info:
; codeLenInByte = 2432
; NumSgprs: 28
; NumVgprs: 18
; NumAgprs: 0
; TotalNumVgprs: 18
; ScratchSize: 0
; MemoryBound: 0
; FloatMode: 240
; IeeeMode: 1
; LDSByteSize: 0 bytes/workgroup (compile time only)
; SGPRBlocks: 3
; VGPRBlocks: 2
; NumSGPRsForWavesPerEU: 28
; NumVGPRsForWavesPerEU: 18
; AccumOffset: 20
; Occupancy: 8
; WaveLimiterHint : 0
; COMPUTE_PGM_RSRC2:SCRATCH_EN: 0
; COMPUTE_PGM_RSRC2:USER_SGPR: 6
; COMPUTE_PGM_RSRC2:TRAP_HANDLER: 0
; COMPUTE_PGM_RSRC2:TGID_X_EN: 1
; COMPUTE_PGM_RSRC2:TGID_Y_EN: 0
; COMPUTE_PGM_RSRC2:TGID_Z_EN: 0
; COMPUTE_PGM_RSRC2:TIDIG_COMP_CNT: 0
; COMPUTE_PGM_RSRC3_GFX90A:ACCUM_OFFSET: 4
; COMPUTE_PGM_RSRC3_GFX90A:TG_SPLIT: 0
	.section	.text._ZN5aiter19grouped_topk_kernelIfDv4_fLi2ELb0ELb0ELb0EEEvPT_PKS2_PfPimiiiif,"axG",@progbits,_ZN5aiter19grouped_topk_kernelIfDv4_fLi2ELb0ELb0ELb0EEEvPT_PKS2_PfPimiiiif,comdat
	.protected	_ZN5aiter19grouped_topk_kernelIfDv4_fLi2ELb0ELb0ELb0EEEvPT_PKS2_PfPimiiiif ; -- Begin function _ZN5aiter19grouped_topk_kernelIfDv4_fLi2ELb0ELb0ELb0EEEvPT_PKS2_PfPimiiiif
	.globl	_ZN5aiter19grouped_topk_kernelIfDv4_fLi2ELb0ELb0ELb0EEEvPT_PKS2_PfPimiiiif
	.p2align	8
	.type	_ZN5aiter19grouped_topk_kernelIfDv4_fLi2ELb0ELb0ELb0EEEvPT_PKS2_PfPimiiiif,@function
_ZN5aiter19grouped_topk_kernelIfDv4_fLi2ELb0ELb0ELb0EEEvPT_PKS2_PfPimiiiif: ; @_ZN5aiter19grouped_topk_kernelIfDv4_fLi2ELb0ELb0ELb0EEEvPT_PKS2_PfPimiiiif
; %bb.0:
	s_load_dwordx4 s[12:15], s[4:5], 0x28
	s_load_dwordx4 s[16:19], s[4:5], 0x10
	s_waitcnt lgkmcnt(0)
	s_ashr_i32 s0, s12, 31
	s_lshr_b32 s0, s0, 30
	s_add_i32 s0, s12, s0
	s_ashr_i32 s7, s0, 2
	v_cmp_gt_i32_e64 s[0:1], s7, v0
	s_and_saveexec_b64 s[20:21], s[0:1]
	s_cbranch_execz .LBB70_3
; %bb.1:
	s_load_dword s10, s[4:5], 0x4c
	s_load_dwordx2 s[2:3], s[4:5], 0x0
	s_mul_i32 s8, s6, s12
	s_ashr_i32 s9, s8, 31
	s_lshl_b64 s[8:9], s[8:9], 2
	s_waitcnt lgkmcnt(0)
	s_and_b32 s15, s10, 0xffff
	s_add_u32 s2, s2, s8
	v_lshlrev_b32_e32 v1, 4, v0
	s_addc_u32 s3, s3, s9
	s_mov_b32 s11, 0
	v_mov_b32_e32 v2, s3
	v_add_co_u32_e32 v6, vcc, s2, v1
	v_addc_co_u32_e32 v7, vcc, 0, v2, vcc
	s_lshl_b32 s24, s15, 4
	v_add_u32_e32 v1, 0, v1
	s_mov_b64 s[22:23], 0
	s_mov_b32 s25, 0xbfb8aa3b
	s_mov_b32 s26, 0x42ce8ed0
	;; [unrolled: 1-line block ×3, first 2 shown]
	v_mov_b32_e32 v8, 0x7f800000
	v_mov_b32_e32 v9, s11
	;; [unrolled: 1-line block ×3, first 2 shown]
.LBB70_2:                               ; =>This Inner Loop Header: Depth=1
	global_load_dwordx4 v[2:5], v[6:7], off
	v_add_co_u32_e32 v6, vcc, s24, v6
	v_add_u32_e32 v10, s15, v10
	v_addc_co_u32_e32 v7, vcc, v7, v9, vcc
	v_cmp_le_i32_e32 vcc, s7, v10
	s_or_b64 s[22:23], vcc, s[22:23]
	s_waitcnt vmcnt(0)
	v_mul_f32_e32 v11, 0xbfb8aa3b, v3
	v_mul_f32_e32 v12, 0xbfb8aa3b, v2
	v_rndne_f32_e32 v15, v11
	v_fma_f32 v16, v3, s25, -v11
	v_rndne_f32_e32 v17, v12
	v_fma_f32 v18, v2, s25, -v12
	v_mul_f32_e32 v13, 0xbfb8aa3b, v5
	v_mul_f32_e32 v14, 0xbfb8aa3b, v4
	v_sub_f32_e32 v11, v11, v15
	v_fmac_f32_e32 v16, 0xb2a5705f, v3
	v_sub_f32_e32 v12, v12, v17
	v_fmac_f32_e32 v18, 0xb2a5705f, v2
	v_rndne_f32_e32 v19, v13
	v_fma_f32 v20, v5, s25, -v13
	v_rndne_f32_e32 v21, v14
	v_fma_f32 v22, v4, s25, -v14
	v_add_f32_e32 v11, v11, v16
	v_add_f32_e32 v12, v12, v18
	v_cvt_i32_f32_e32 v15, v15
	v_cvt_i32_f32_e32 v17, v17
	v_sub_f32_e32 v13, v13, v19
	v_fmac_f32_e32 v20, 0xb2a5705f, v5
	v_sub_f32_e32 v14, v14, v21
	v_fmac_f32_e32 v22, 0xb2a5705f, v4
	v_exp_f32_e32 v11, v11
	v_exp_f32_e32 v12, v12
	v_add_f32_e32 v13, v13, v20
	v_add_f32_e32 v14, v14, v22
	v_cvt_i32_f32_e32 v19, v19
	v_cvt_i32_f32_e32 v21, v21
	v_exp_f32_e32 v13, v13
	v_exp_f32_e32 v14, v14
	v_ldexp_f32 v11, v11, v15
	v_ldexp_f32 v12, v12, v17
	v_cmp_nlt_f32_e32 vcc, s26, v2
	v_cmp_nlt_f32_e64 s[10:11], s26, v3
	v_cndmask_b32_e64 v11, 0, v11, s[10:11]
	v_cndmask_b32_e32 v12, 0, v12, vcc
	v_cmp_ngt_f32_e32 vcc, s27, v2
	v_cmp_ngt_f32_e64 s[10:11], s27, v3
	v_ldexp_f32 v13, v13, v19
	v_cmp_nlt_f32_e64 s[2:3], s26, v5
	v_ldexp_f32 v14, v14, v21
	v_cmp_nlt_f32_e64 s[8:9], s26, v4
	v_cndmask_b32_e64 v3, v8, v11, s[10:11]
	v_cndmask_b32_e32 v2, v8, v12, vcc
	v_cndmask_b32_e64 v13, 0, v13, s[2:3]
	v_cmp_ngt_f32_e64 s[2:3], s27, v5
	v_cndmask_b32_e64 v14, 0, v14, s[8:9]
	v_cmp_ngt_f32_e64 s[8:9], s27, v4
	v_pk_add_f32 v[2:3], v[2:3], 1.0 op_sel_hi:[1,0]
	v_cndmask_b32_e64 v5, v8, v13, s[2:3]
	v_cndmask_b32_e64 v4, v8, v14, s[8:9]
	v_div_scale_f32 v11, s[2:3], v3, v3, 1.0
	v_pk_add_f32 v[4:5], v[4:5], 1.0 op_sel_hi:[1,0]
	v_div_scale_f32 v13, s[2:3], v2, v2, 1.0
	v_rcp_f32_e32 v19, v11
	v_div_scale_f32 v15, s[8:9], v5, v5, 1.0
	v_rcp_f32_e32 v20, v13
	;; [unrolled: 2-line block ×3, first 2 shown]
	v_rcp_f32_e32 v22, v17
	v_fma_f32 v23, -v11, v19, 1.0
	v_div_scale_f32 v12, vcc, 1.0, v3, 1.0
	v_fma_f32 v24, -v13, v20, 1.0
	v_fmac_f32_e32 v19, v23, v19
	v_div_scale_f32 v14, s[2:3], 1.0, v2, 1.0
	v_fma_f32 v25, -v15, v21, 1.0
	v_fmac_f32_e32 v20, v24, v20
	v_mul_f32_e32 v23, v12, v19
	v_div_scale_f32 v16, s[8:9], 1.0, v5, 1.0
	v_fma_f32 v26, -v17, v22, 1.0
	v_fmac_f32_e32 v21, v25, v21
	v_mul_f32_e32 v24, v14, v20
	v_fma_f32 v27, -v11, v23, v12
	v_div_scale_f32 v18, s[10:11], 1.0, v4, 1.0
	v_fmac_f32_e32 v22, v26, v22
	v_mul_f32_e32 v25, v16, v21
	v_fma_f32 v28, -v13, v24, v14
	v_fmac_f32_e32 v23, v27, v19
	v_mul_f32_e32 v26, v18, v22
	v_fma_f32 v29, -v15, v25, v16
	v_fmac_f32_e32 v24, v28, v20
	v_fma_f32 v11, -v11, v23, v12
	v_fma_f32 v30, -v17, v26, v18
	v_fmac_f32_e32 v25, v29, v21
	v_fma_f32 v12, -v13, v24, v14
	v_div_fmas_f32 v11, v11, v19, v23
	s_mov_b64 vcc, s[2:3]
	v_fmac_f32_e32 v26, v30, v22
	v_fma_f32 v13, -v15, v25, v16
	v_div_fixup_f32 v3, v11, v3, 1.0
	v_div_fmas_f32 v11, v12, v20, v24
	s_mov_b64 vcc, s[8:9]
	v_fma_f32 v14, -v17, v26, v18
	v_div_fixup_f32 v2, v11, v2, 1.0
	v_div_fmas_f32 v11, v13, v21, v25
	s_mov_b64 vcc, s[10:11]
	v_div_fixup_f32 v5, v11, v5, 1.0
	v_div_fmas_f32 v11, v14, v22, v26
	v_div_fixup_f32 v4, v11, v4, 1.0
	ds_write_b128 v1, v[2:5]
	v_add_u32_e32 v1, s24, v1
	s_andn2_b64 exec, exec, s[22:23]
	s_cbranch_execnz .LBB70_2
.LBB70_3:
	s_or_b64 exec, exec, s[20:21]
	s_lshr_b32 s2, s12, 31
	s_add_i32 s2, s12, s2
	s_ashr_i32 s22, s2, 1
	s_lshl_b32 s2, s12, 2
	s_add_i32 s15, s2, 0
	v_cmp_gt_u32_e32 vcc, 2, v0
	s_waitcnt lgkmcnt(0)
	s_barrier
	s_and_saveexec_b64 s[8:9], vcc
	s_cbranch_execz .LBB70_10
; %bb.4:
	s_load_dword s2, s[4:5], 0x4c
	v_mul_lo_u32 v1, v0, s22
	v_lshl_add_u32 v1, v1, 2, 0
	s_waitcnt lgkmcnt(0)
	s_and_b32 s23, s2, 0xffff
	s_cmp_gt_i32 s12, 1
	s_cselect_b64 s[2:3], -1, 0
	s_mul_i32 s10, s22, s23
	v_cndmask_b32_e64 v2, 0, 1, s[2:3]
	s_lshl_b32 s12, s10, 2
	s_mov_b64 s[10:11], 0
	v_cmp_ne_u32_e64 s[2:3], 1, v2
	v_mov_b32_e32 v2, v0
	s_branch .LBB70_6
.LBB70_5:                               ;   in Loop: Header=BB70_6 Depth=1
	v_lshl_add_u32 v4, v2, 2, s15
	v_add_u32_e32 v2, s23, v2
	v_cmp_lt_u32_e32 vcc, 1, v2
	s_or_b64 s[10:11], vcc, s[10:11]
	v_add_u32_e32 v1, s12, v1
	ds_write_b32 v4, v3
	s_andn2_b64 exec, exec, s[10:11]
	s_cbranch_execz .LBB70_10
.LBB70_6:                               ; =>This Loop Header: Depth=1
                                        ;     Child Loop BB70_8 Depth 2
	s_and_b64 vcc, exec, s[2:3]
	v_mov_b32_e32 v3, 0xff800000
	s_cbranch_vccnz .LBB70_5
; %bb.7:                                ;   in Loop: Header=BB70_6 Depth=1
	v_mul_lo_u32 v4, v2, s22
	v_add_u32_e32 v5, s22, v4
	s_mov_b64 s[20:21], 0
	v_mov_b32_e32 v3, 0xff800000
	v_mov_b32_e32 v6, v1
.LBB70_8:                               ;   Parent Loop BB70_6 Depth=1
                                        ; =>  This Inner Loop Header: Depth=2
	ds_read_b32 v7, v6
	v_add_u32_e32 v4, 1, v4
	v_cmp_ge_i32_e32 vcc, v4, v5
	s_or_b64 s[20:21], vcc, s[20:21]
	v_add_u32_e32 v6, 4, v6
	s_waitcnt lgkmcnt(0)
	v_cmp_gt_f32_e32 vcc, v7, v3
	v_cndmask_b32_e32 v3, v3, v7, vcc
	s_andn2_b64 exec, exec, s[20:21]
	s_cbranch_execnz .LBB70_8
; %bb.9:                                ;   in Loop: Header=BB70_6 Depth=1
	s_or_b64 exec, exec, s[20:21]
	s_branch .LBB70_5
.LBB70_10:
	s_or_b64 exec, exec, s[8:9]
	s_cmp_lt_i32 s14, 1
	s_waitcnt lgkmcnt(0)
	s_barrier
	s_cbranch_scc1 .LBB70_13
; %bb.11:
	v_mov_b32_e32 v1, s15
	s_mov_b32 s2, 0xff800000
	v_mov_b32_e32 v2, 0xff800000
.LBB70_12:                              ; =>This Inner Loop Header: Depth=1
	ds_read2_b32 v[4:5], v1 offset1:1
	s_add_i32 s14, s14, -1
	s_cmp_lg_u32 s14, 0
	s_waitcnt lgkmcnt(0)
	v_cmp_nlg_f32_e32 vcc, s2, v4
	v_cndmask_b32_e64 v3, 0, 1, vcc
	v_cmp_lg_f32_e32 vcc, s2, v4
	v_cndmask_b32_e32 v4, v2, v4, vcc
	v_lshlrev_b32_e32 v3, 1, v3
	v_cmp_ngt_f32_e32 vcc, v5, v4
	v_cndmask_b32_e32 v3, 1, v3, vcc
	v_lshlrev_b32_e32 v3, 2, v3
	v_add_u32_e32 v3, s15, v3
	ds_write_b32 v3, v2
	s_cbranch_scc1 .LBB70_12
.LBB70_13:
	v_lshlrev_b32_e32 v1, 2, v0
	v_lshl_add_u32 v6, v0, 4, 0
	s_and_saveexec_b64 s[2:3], s[0:1]
	s_cbranch_execz .LBB70_18
; %bb.14:
	s_abs_i32 s12, s22
	v_cvt_f32_u32_e32 v2, s12
	s_load_dword s10, s[4:5], 0x4c
	s_sub_i32 s11, 0, s12
	s_ashr_i32 s14, s22, 31
	v_rcp_iflag_f32_e32 v2, v2
	v_lshlrev_b32_e32 v7, 2, v0
	s_waitcnt lgkmcnt(0)
	s_and_b32 s20, s10, 0xffff
	v_lshl_add_u32 v8, v0, 4, 0
	v_mul_f32_e32 v2, 0x4f7ffffe, v2
	v_cvt_u32_f32_e32 v2, v2
	s_mov_b64 s[8:9], 0
	s_lshl_b32 s21, s20, 2
	s_lshl_b32 s22, s20, 4
	v_mul_lo_u32 v3, s11, v2
	v_mul_hi_u32 v3, v2, v3
	v_add_u32_e32 v9, v2, v3
	s_mov_b32 s23, 0xff800000
	v_mov_b32_e32 v2, 0xff800000
	v_mov_b32_e32 v10, v0
	s_branch .LBB70_16
.LBB70_15:                              ;   in Loop: Header=BB70_16 Depth=1
	s_or_b64 exec, exec, s[10:11]
	v_add_u32_e32 v10, s20, v10
	v_cmp_le_i32_e32 vcc, s7, v10
	v_add_u32_e32 v7, s21, v7
	s_or_b64 s[8:9], vcc, s[8:9]
	v_add_u32_e32 v8, s22, v8
	s_andn2_b64 exec, exec, s[8:9]
	s_cbranch_execz .LBB70_18
.LBB70_16:                              ; =>This Inner Loop Header: Depth=1
	v_mul_hi_u32 v3, v7, v9
	v_mul_lo_u32 v4, v3, s12
	v_sub_u32_e32 v4, v7, v4
	v_add_u32_e32 v5, 1, v3
	v_cmp_le_u32_e32 vcc, s12, v4
	v_cndmask_b32_e32 v3, v3, v5, vcc
	v_subrev_u32_e32 v5, s12, v4
	v_cndmask_b32_e32 v4, v4, v5, vcc
	v_add_u32_e32 v5, 1, v3
	v_cmp_le_u32_e32 vcc, s12, v4
	v_cndmask_b32_e32 v3, v3, v5, vcc
	v_xor_b32_e32 v3, s14, v3
	v_subrev_u32_e32 v3, s14, v3
	v_lshl_add_u32 v3, v3, 2, s15
	ds_read_b32 v3, v3
	s_waitcnt lgkmcnt(0)
	v_cmp_neq_f32_e32 vcc, s23, v3
	s_and_saveexec_b64 s[10:11], vcc
	s_cbranch_execz .LBB70_15
; %bb.17:                               ;   in Loop: Header=BB70_16 Depth=1
	v_mov_b32_e32 v3, v2
	v_mov_b32_e32 v4, v2
	;; [unrolled: 1-line block ×3, first 2 shown]
	ds_write_b128 v8, v[2:5]
	s_branch .LBB70_15
.LBB70_18:
	s_or_b64 exec, exec, s[2:3]
	s_cmp_lt_i32 s13, 1
	s_waitcnt lgkmcnt(0)
	s_barrier
	s_cbranch_scc1 .LBB70_25
; %bb.19:
	s_add_u32 s2, s4, 64
	s_addc_u32 s3, s5, 0
	s_mov_b32 s12, 0
	v_mov_b32_e32 v4, 0xff800000
                                        ; implicit-def: $vgpr3
                                        ; implicit-def: $vgpr2
	s_branch .LBB70_21
.LBB70_20:                              ;   in Loop: Header=BB70_21 Depth=1
	s_or_b64 exec, exec, s[8:9]
	v_mov_b32_dpp v9, v7 quad_perm:[1,0,3,2] row_mask:0xf bank_mask:0xf
	v_cmp_lt_f32_e32 vcc, v7, v9
	v_cndmask_b32_e32 v7, v7, v9, vcc
	v_mov_b32_dpp v8, v5 quad_perm:[1,0,3,2] row_mask:0xf bank_mask:0xf
	v_cndmask_b32_e32 v5, v5, v8, vcc
	v_mov_b32_dpp v9, v7 quad_perm:[2,3,0,1] row_mask:0xf bank_mask:0xf
	v_cmp_gt_f32_e32 vcc, v9, v7
	v_cndmask_b32_e32 v7, v7, v9, vcc
	v_mov_b32_dpp v8, v5 quad_perm:[2,3,0,1] row_mask:0xf bank_mask:0xf
	v_cndmask_b32_e32 v5, v5, v8, vcc
	v_mov_b32_dpp v9, v7 row_half_mirror row_mask:0xf bank_mask:0xf
	v_cmp_gt_f32_e32 vcc, v9, v7
	v_cndmask_b32_e32 v7, v7, v9, vcc
	v_mov_b32_dpp v8, v5 row_half_mirror row_mask:0xf bank_mask:0xf
	v_cndmask_b32_e32 v5, v5, v8, vcc
	v_mov_b32_dpp v9, v7 row_mirror row_mask:0xf bank_mask:0xf
	v_cmp_gt_f32_e32 vcc, v9, v7
	v_cndmask_b32_e32 v7, v7, v9, vcc
	v_mov_b32_dpp v8, v5 row_mirror row_mask:0xf bank_mask:0xf
	v_cndmask_b32_e32 v5, v5, v8, vcc
	v_mov_b32_dpp v9, v7 row_bcast:15 row_mask:0xf bank_mask:0xf
	v_cmp_gt_f32_e32 vcc, v9, v7
	v_mov_b32_dpp v8, v5 row_bcast:15 row_mask:0xf bank_mask:0xf
	v_cndmask_b32_e32 v7, v7, v9, vcc
	v_cndmask_b32_e32 v5, v5, v8, vcc
	s_nop 0
	v_mov_b32_dpp v9, v7 row_bcast:31 row_mask:0xf bank_mask:0xf
	v_mov_b32_dpp v8, v5 row_bcast:31 row_mask:0xf bank_mask:0xf
	v_cmp_gt_f32_e32 vcc, v9, v7
	v_cndmask_b32_e32 v5, v5, v8, vcc
	v_readlane_b32 s9, v5, 63
	s_lshl_b32 s10, s9, 2
	s_add_i32 s10, s10, 0
	v_cndmask_b32_e32 v7, v7, v9, vcc
	v_mov_b32_e32 v5, s10
	v_readlane_b32 s8, v7, 63
	ds_write_b32 v5, v4
	v_mov_b32_e32 v5, s9
	v_cmp_eq_u32_e32 vcc, s12, v0
	v_cndmask_b32_e32 v2, v2, v5, vcc
	v_mov_b32_e32 v5, s8
	s_add_i32 s12, s12, 1
	s_cmp_eq_u32 s12, s13
	v_cndmask_b32_e32 v3, v3, v5, vcc
	s_cbranch_scc1 .LBB70_26
.LBB70_21:                              ; =>This Loop Header: Depth=1
                                        ;     Child Loop BB70_23 Depth 2
	v_mov_b32_e32 v5, s12
	v_mov_b32_e32 v7, 0xff800000
	s_and_saveexec_b64 s[8:9], s[0:1]
	s_cbranch_execz .LBB70_20
; %bb.22:                               ;   in Loop: Header=BB70_21 Depth=1
	s_load_dword s14, s[2:3], 0xc
	s_mov_b64 s[10:11], 0
	v_mov_b32_e32 v5, s12
	v_mov_b32_e32 v7, 0xff800000
	;; [unrolled: 1-line block ×3, first 2 shown]
	s_waitcnt lgkmcnt(0)
	s_and_b32 s14, s14, 0xffff
	s_lshl_b32 s15, s14, 2
	s_lshl_b32 s20, s14, 4
	v_mov_b32_e32 v9, v1
	v_mov_b32_e32 v10, v0
.LBB70_23:                              ;   Parent Loop BB70_21 Depth=1
                                        ; =>  This Inner Loop Header: Depth=2
	ds_read_b128 v[12:15], v8
	v_add_u32_e32 v10, s14, v10
	v_cmp_le_i32_e32 vcc, s7, v10
	s_or_b64 s[10:11], vcc, s[10:11]
	v_add_u32_e32 v11, 1, v9
	s_waitcnt lgkmcnt(0)
	v_cmp_gt_f32_e32 vcc, v12, v7
	v_cndmask_b32_e32 v7, v7, v12, vcc
	v_cndmask_b32_e32 v5, v5, v9, vcc
	v_cmp_gt_f32_e32 vcc, v13, v7
	v_cndmask_b32_e32 v7, v7, v13, vcc
	v_cndmask_b32_e32 v5, v5, v11, vcc
	v_cmp_gt_f32_e32 vcc, v14, v7
	v_add_u32_e32 v16, 2, v9
	v_cndmask_b32_e32 v7, v7, v14, vcc
	v_add_u32_e32 v17, 3, v9
	v_cndmask_b32_e32 v5, v5, v16, vcc
	v_cmp_gt_f32_e32 vcc, v15, v7
	v_add_u32_e32 v8, s20, v8
	v_add_u32_e32 v9, s15, v9
	v_cndmask_b32_e32 v7, v7, v15, vcc
	v_cndmask_b32_e32 v5, v5, v17, vcc
	s_andn2_b64 exec, exec, s[10:11]
	s_cbranch_execnz .LBB70_23
; %bb.24:                               ;   in Loop: Header=BB70_21 Depth=1
	s_or_b64 exec, exec, s[10:11]
	s_branch .LBB70_20
.LBB70_25:
                                        ; implicit-def: $vgpr3
                                        ; implicit-def: $vgpr2
.LBB70_26:
	v_cmp_gt_i32_e32 vcc, s13, v0
	s_and_saveexec_b64 s[0:1], vcc
	s_cbranch_execz .LBB70_29
; %bb.27:
	s_load_dword s2, s[4:5], 0x38
	s_load_dwordx2 s[0:1], s[4:5], 0x20
	s_ashr_i32 s3, s6, 31
	s_load_dword s4, s[4:5], 0x4c
	v_mov_b32_e32 v4, s17
	s_waitcnt lgkmcnt(0)
	v_mul_f32_e32 v1, s2, v3
	s_mul_i32 s1, s6, s1
	s_mul_hi_u32 s2, s6, s0
	s_add_i32 s1, s2, s1
	s_mul_i32 s3, s3, s0
	s_add_i32 s5, s1, s3
	s_mul_i32 s2, s6, s0
	s_and_b32 s3, s4, 0xffff
	s_mov_b64 s[0:1], 0
	v_mov_b32_e32 v3, s5
	v_mov_b32_e32 v5, s19
.LBB70_28:                              ; =>This Inner Loop Header: Depth=1
	v_ashrrev_i32_e32 v7, 31, v0
	v_add_co_u32_e32 v6, vcc, s2, v0
	v_addc_co_u32_e32 v7, vcc, v3, v7, vcc
	v_add_u32_e32 v0, s3, v0
	v_cmp_le_i32_e32 vcc, s13, v0
	v_lshlrev_b64 v[6:7], 2, v[6:7]
	s_or_b64 s[0:1], vcc, s[0:1]
	v_add_co_u32_e32 v8, vcc, s16, v6
	v_addc_co_u32_e32 v9, vcc, v4, v7, vcc
	v_add_co_u32_e32 v6, vcc, s18, v6
	v_addc_co_u32_e32 v7, vcc, v5, v7, vcc
	global_store_dword v[8:9], v1, off
	global_store_dword v[6:7], v2, off
	s_andn2_b64 exec, exec, s[0:1]
	s_cbranch_execnz .LBB70_28
.LBB70_29:
	s_endpgm
	.section	.rodata,"a",@progbits
	.p2align	6, 0x0
	.amdhsa_kernel _ZN5aiter19grouped_topk_kernelIfDv4_fLi2ELb0ELb0ELb0EEEvPT_PKS2_PfPimiiiif
		.amdhsa_group_segment_fixed_size 0
		.amdhsa_private_segment_fixed_size 0
		.amdhsa_kernarg_size 320
		.amdhsa_user_sgpr_count 6
		.amdhsa_user_sgpr_private_segment_buffer 1
		.amdhsa_user_sgpr_dispatch_ptr 0
		.amdhsa_user_sgpr_queue_ptr 0
		.amdhsa_user_sgpr_kernarg_segment_ptr 1
		.amdhsa_user_sgpr_dispatch_id 0
		.amdhsa_user_sgpr_flat_scratch_init 0
		.amdhsa_user_sgpr_kernarg_preload_length 0
		.amdhsa_user_sgpr_kernarg_preload_offset 0
		.amdhsa_user_sgpr_private_segment_size 0
		.amdhsa_uses_dynamic_stack 0
		.amdhsa_system_sgpr_private_segment_wavefront_offset 0
		.amdhsa_system_sgpr_workgroup_id_x 1
		.amdhsa_system_sgpr_workgroup_id_y 0
		.amdhsa_system_sgpr_workgroup_id_z 0
		.amdhsa_system_sgpr_workgroup_info 0
		.amdhsa_system_vgpr_workitem_id 0
		.amdhsa_next_free_vgpr 31
		.amdhsa_next_free_sgpr 28
		.amdhsa_accum_offset 32
		.amdhsa_reserve_vcc 1
		.amdhsa_reserve_flat_scratch 0
		.amdhsa_float_round_mode_32 0
		.amdhsa_float_round_mode_16_64 0
		.amdhsa_float_denorm_mode_32 3
		.amdhsa_float_denorm_mode_16_64 3
		.amdhsa_dx10_clamp 1
		.amdhsa_ieee_mode 1
		.amdhsa_fp16_overflow 0
		.amdhsa_tg_split 0
		.amdhsa_exception_fp_ieee_invalid_op 0
		.amdhsa_exception_fp_denorm_src 0
		.amdhsa_exception_fp_ieee_div_zero 0
		.amdhsa_exception_fp_ieee_overflow 0
		.amdhsa_exception_fp_ieee_underflow 0
		.amdhsa_exception_fp_ieee_inexact 0
		.amdhsa_exception_int_div_zero 0
	.end_amdhsa_kernel
	.section	.text._ZN5aiter19grouped_topk_kernelIfDv4_fLi2ELb0ELb0ELb0EEEvPT_PKS2_PfPimiiiif,"axG",@progbits,_ZN5aiter19grouped_topk_kernelIfDv4_fLi2ELb0ELb0ELb0EEEvPT_PKS2_PfPimiiiif,comdat
.Lfunc_end70:
	.size	_ZN5aiter19grouped_topk_kernelIfDv4_fLi2ELb0ELb0ELb0EEEvPT_PKS2_PfPimiiiif, .Lfunc_end70-_ZN5aiter19grouped_topk_kernelIfDv4_fLi2ELb0ELb0ELb0EEEvPT_PKS2_PfPimiiiif
                                        ; -- End function
	.section	.AMDGPU.csdata,"",@progbits
; Kernel info:
; codeLenInByte = 2164
; NumSgprs: 32
; NumVgprs: 31
; NumAgprs: 0
; TotalNumVgprs: 31
; ScratchSize: 0
; MemoryBound: 0
; FloatMode: 240
; IeeeMode: 1
; LDSByteSize: 0 bytes/workgroup (compile time only)
; SGPRBlocks: 3
; VGPRBlocks: 3
; NumSGPRsForWavesPerEU: 32
; NumVGPRsForWavesPerEU: 31
; AccumOffset: 32
; Occupancy: 8
; WaveLimiterHint : 0
; COMPUTE_PGM_RSRC2:SCRATCH_EN: 0
; COMPUTE_PGM_RSRC2:USER_SGPR: 6
; COMPUTE_PGM_RSRC2:TRAP_HANDLER: 0
; COMPUTE_PGM_RSRC2:TGID_X_EN: 1
; COMPUTE_PGM_RSRC2:TGID_Y_EN: 0
; COMPUTE_PGM_RSRC2:TGID_Z_EN: 0
; COMPUTE_PGM_RSRC2:TIDIG_COMP_CNT: 0
; COMPUTE_PGM_RSRC3_GFX90A:ACCUM_OFFSET: 7
; COMPUTE_PGM_RSRC3_GFX90A:TG_SPLIT: 0
	.section	.text._ZN5aiter19grouped_topk_kernelIN3c104HalfEDv4_fLi2ELb0ELb0ELb0EEEvPT_PKS4_PfPimiiiif,"axG",@progbits,_ZN5aiter19grouped_topk_kernelIN3c104HalfEDv4_fLi2ELb0ELb0ELb0EEEvPT_PKS4_PfPimiiiif,comdat
	.protected	_ZN5aiter19grouped_topk_kernelIN3c104HalfEDv4_fLi2ELb0ELb0ELb0EEEvPT_PKS4_PfPimiiiif ; -- Begin function _ZN5aiter19grouped_topk_kernelIN3c104HalfEDv4_fLi2ELb0ELb0ELb0EEEvPT_PKS4_PfPimiiiif
	.globl	_ZN5aiter19grouped_topk_kernelIN3c104HalfEDv4_fLi2ELb0ELb0ELb0EEEvPT_PKS4_PfPimiiiif
	.p2align	8
	.type	_ZN5aiter19grouped_topk_kernelIN3c104HalfEDv4_fLi2ELb0ELb0ELb0EEEvPT_PKS4_PfPimiiiif,@function
_ZN5aiter19grouped_topk_kernelIN3c104HalfEDv4_fLi2ELb0ELb0ELb0EEEvPT_PKS4_PfPimiiiif: ; @_ZN5aiter19grouped_topk_kernelIN3c104HalfEDv4_fLi2ELb0ELb0ELb0EEEvPT_PKS4_PfPimiiiif
; %bb.0:
	s_load_dwordx4 s[12:15], s[4:5], 0x28
	s_load_dwordx4 s[16:19], s[4:5], 0x10
	v_lshl_add_u32 v1, v0, 4, 0
	s_waitcnt lgkmcnt(0)
	s_ashr_i32 s0, s12, 31
	s_lshr_b32 s0, s0, 30
	s_add_i32 s0, s12, s0
	s_ashr_i32 s7, s0, 2
	v_cmp_gt_i32_e64 s[0:1], s7, v0
	s_and_saveexec_b64 s[20:21], s[0:1]
	s_cbranch_execz .LBB71_3
; %bb.1:
	s_load_dword s10, s[4:5], 0x4c
	s_load_dwordx2 s[2:3], s[4:5], 0x0
	s_mul_i32 s8, s6, s12
	s_ashr_i32 s9, s8, 31
	s_lshl_b64 s[8:9], s[8:9], 1
	s_waitcnt lgkmcnt(0)
	s_and_b32 s15, s10, 0xffff
	s_add_u32 s2, s2, s8
	v_lshlrev_b32_e32 v2, 3, v0
	s_addc_u32 s3, s3, s9
	s_mov_b32 s10, 0
	v_mov_b32_e32 v3, s3
	v_add_co_u32_e32 v2, vcc, s2, v2
	v_addc_co_u32_e32 v3, vcc, 0, v3, vcc
	s_lshl_b32 s24, s15, 3
	v_lshl_add_u32 v6, v0, 4, 0
	s_lshl_b32 s25, s15, 4
	s_mov_b64 s[22:23], 0
	s_mov_b32 s26, 0x3fb8aa3b
	s_mov_b32 s27, 0x32a5705f
	s_mov_b32 s28, 0xc2ce8ed0
	s_mov_b32 s29, 0x42b17218
	v_mov_b32_e32 v7, 0x7f800000
	v_mov_b32_e32 v8, s10
	v_mov_b32_e32 v9, v0
.LBB71_2:                               ; =>This Inner Loop Header: Depth=1
	global_load_dwordx2 v[4:5], v[2:3], off
	v_add_co_u32_e32 v2, vcc, s24, v2
	v_add_u32_e32 v9, s15, v9
	v_addc_co_u32_e32 v3, vcc, v3, v8, vcc
	v_cmp_le_i32_e32 vcc, s7, v9
	s_or_b64 s[22:23], vcc, s[22:23]
	s_waitcnt vmcnt(0)
	v_cvt_f32_f16_e64 v10, -v5
	v_cvt_f32_f16_sdwa v11, -v5 dst_sel:DWORD dst_unused:UNUSED_PAD src0_sel:WORD_1
	v_cvt_f32_f16_e64 v12, -v4
	v_cvt_f32_f16_sdwa v13, -v4 dst_sel:DWORD dst_unused:UNUSED_PAD src0_sel:WORD_1
	v_mul_f32_e32 v14, 0x3fb8aa3b, v10
	v_mul_f32_e32 v15, 0x3fb8aa3b, v11
	;; [unrolled: 1-line block ×4, first 2 shown]
	v_rndne_f32_e32 v18, v14
	v_fma_mix_f32 v19, -v5, s26, -v14 op_sel_hi:[1,0,0]
	v_rndne_f32_e32 v20, v15
	v_fma_mix_f32 v21, -v5, s26, -v15 op_sel:[1,0,0] op_sel_hi:[1,0,0]
	v_rndne_f32_e32 v22, v16
	v_fma_mix_f32 v23, -v4, s26, -v16 op_sel_hi:[1,0,0]
	v_rndne_f32_e32 v24, v17
	v_fma_mix_f32 v25, -v4, s26, -v17 op_sel:[1,0,0] op_sel_hi:[1,0,0]
	v_sub_f32_e32 v14, v14, v18
	v_fma_mix_f32 v19, -v5, s27, v19 op_sel_hi:[1,0,0]
	v_sub_f32_e32 v15, v15, v20
	v_fma_mix_f32 v5, -v5, s27, v21 op_sel:[1,0,0] op_sel_hi:[1,0,0]
	v_sub_f32_e32 v16, v16, v22
	v_fma_mix_f32 v21, -v4, s27, v23 op_sel_hi:[1,0,0]
	v_sub_f32_e32 v17, v17, v24
	v_fma_mix_f32 v4, -v4, s27, v25 op_sel:[1,0,0] op_sel_hi:[1,0,0]
	v_add_f32_e32 v14, v14, v19
	v_add_f32_e32 v5, v15, v5
	v_cvt_i32_f32_e32 v18, v18
	v_cvt_i32_f32_e32 v20, v20
	v_add_f32_e32 v15, v16, v21
	v_add_f32_e32 v4, v17, v4
	v_exp_f32_e32 v14, v14
	v_exp_f32_e32 v5, v5
	v_cvt_i32_f32_e32 v22, v22
	v_cvt_i32_f32_e32 v23, v24
	v_exp_f32_e32 v15, v15
	v_exp_f32_e32 v4, v4
	v_ldexp_f32 v14, v14, v18
	v_ldexp_f32 v5, v5, v20
	v_cmp_ngt_f32_e32 vcc, s28, v11
	v_cmp_ngt_f32_e64 s[10:11], s28, v10
	v_ldexp_f32 v15, v15, v22
	v_cmp_ngt_f32_e64 s[2:3], s28, v12
	v_ldexp_f32 v4, v4, v23
	v_cmp_ngt_f32_e64 s[8:9], s28, v13
	v_cndmask_b32_e64 v14, 0, v14, s[10:11]
	v_cndmask_b32_e32 v5, 0, v5, vcc
	v_cmp_nlt_f32_e32 vcc, s29, v11
	v_cmp_nlt_f32_e64 s[10:11], s29, v10
	v_cndmask_b32_e64 v11, 0, v15, s[2:3]
	v_cmp_nlt_f32_e64 s[2:3], s29, v12
	v_cndmask_b32_e64 v12, 0, v4, s[8:9]
	v_cndmask_b32_e64 v4, v7, v14, s[10:11]
	v_cndmask_b32_e32 v5, v7, v5, vcc
	v_cmp_nlt_f32_e64 s[8:9], s29, v13
	v_pk_add_f32 v[4:5], v[4:5], 1.0 op_sel_hi:[1,0]
	v_cndmask_b32_e64 v10, v7, v11, s[2:3]
	v_cndmask_b32_e64 v11, v7, v12, s[8:9]
	v_div_scale_f32 v12, s[2:3], v5, v5, 1.0
	v_pk_add_f32 v[10:11], v[10:11], 1.0 op_sel_hi:[1,0]
	v_div_scale_f32 v14, s[2:3], v4, v4, 1.0
	v_rcp_f32_e32 v20, v12
	v_div_scale_f32 v16, s[8:9], v11, v11, 1.0
	v_rcp_f32_e32 v21, v14
	;; [unrolled: 2-line block ×3, first 2 shown]
	v_rcp_f32_e32 v23, v18
	v_fma_f32 v24, -v12, v20, 1.0
	v_div_scale_f32 v13, vcc, 1.0, v5, 1.0
	v_fma_f32 v25, -v14, v21, 1.0
	v_fmac_f32_e32 v20, v24, v20
	v_div_scale_f32 v15, s[2:3], 1.0, v4, 1.0
	v_fma_f32 v26, -v16, v22, 1.0
	v_fmac_f32_e32 v21, v25, v21
	v_mul_f32_e32 v24, v13, v20
	v_div_scale_f32 v17, s[8:9], 1.0, v11, 1.0
	v_fma_f32 v27, -v18, v23, 1.0
	v_fmac_f32_e32 v22, v26, v22
	v_mul_f32_e32 v25, v15, v21
	v_fma_f32 v28, -v12, v24, v13
	v_div_scale_f32 v19, s[10:11], 1.0, v10, 1.0
	v_fmac_f32_e32 v23, v27, v23
	v_mul_f32_e32 v26, v17, v22
	v_fma_f32 v29, -v14, v25, v15
	v_fmac_f32_e32 v24, v28, v20
	v_mul_f32_e32 v27, v19, v23
	v_fma_f32 v30, -v16, v26, v17
	v_fmac_f32_e32 v25, v29, v21
	v_fma_f32 v12, -v12, v24, v13
	v_fma_f32 v31, -v18, v27, v19
	v_fmac_f32_e32 v26, v30, v22
	v_fma_f32 v14, -v14, v25, v15
	v_div_fmas_f32 v12, v12, v20, v24
	s_mov_b64 vcc, s[2:3]
	v_fmac_f32_e32 v27, v31, v23
	v_fma_f32 v15, -v16, v26, v17
	v_div_fixup_f32 v13, v12, v5, 1.0
	v_div_fmas_f32 v5, v14, v21, v25
	s_mov_b64 vcc, s[8:9]
	v_fma_f32 v16, -v18, v27, v19
	v_div_fixup_f32 v12, v5, v4, 1.0
	v_div_fmas_f32 v4, v15, v22, v26
	s_mov_b64 vcc, s[10:11]
	v_div_fixup_f32 v11, v4, v11, 1.0
	v_div_fmas_f32 v4, v16, v23, v27
	v_div_fixup_f32 v10, v4, v10, 1.0
	ds_write_b128 v6, v[10:13]
	v_add_u32_e32 v6, s25, v6
	s_andn2_b64 exec, exec, s[22:23]
	s_cbranch_execnz .LBB71_2
.LBB71_3:
	s_or_b64 exec, exec, s[20:21]
	s_lshr_b32 s2, s12, 31
	s_add_i32 s2, s12, s2
	s_ashr_i32 s22, s2, 1
	s_lshl_b32 s2, s12, 2
	s_add_i32 s15, s2, 0
	v_cmp_gt_u32_e32 vcc, 2, v0
	s_waitcnt lgkmcnt(0)
	s_barrier
	s_and_saveexec_b64 s[8:9], vcc
	s_cbranch_execz .LBB71_10
; %bb.4:
	s_load_dword s2, s[4:5], 0x4c
	v_mul_lo_u32 v2, v0, s22
	v_lshl_add_u32 v2, v2, 2, 0
	s_waitcnt lgkmcnt(0)
	s_and_b32 s23, s2, 0xffff
	s_cmp_gt_i32 s12, 1
	s_cselect_b64 s[2:3], -1, 0
	s_mul_i32 s10, s22, s23
	v_cndmask_b32_e64 v3, 0, 1, s[2:3]
	s_lshl_b32 s12, s10, 2
	s_mov_b64 s[10:11], 0
	v_cmp_ne_u32_e64 s[2:3], 1, v3
	v_mov_b32_e32 v3, v0
	s_branch .LBB71_6
.LBB71_5:                               ;   in Loop: Header=BB71_6 Depth=1
	v_lshl_add_u32 v5, v3, 2, s15
	v_add_u32_e32 v3, s23, v3
	v_cmp_lt_u32_e32 vcc, 1, v3
	s_or_b64 s[10:11], vcc, s[10:11]
	v_add_u32_e32 v2, s12, v2
	ds_write_b32 v5, v4
	s_andn2_b64 exec, exec, s[10:11]
	s_cbranch_execz .LBB71_10
.LBB71_6:                               ; =>This Loop Header: Depth=1
                                        ;     Child Loop BB71_8 Depth 2
	s_and_b64 vcc, exec, s[2:3]
	v_mov_b32_e32 v4, 0xff800000
	s_cbranch_vccnz .LBB71_5
; %bb.7:                                ;   in Loop: Header=BB71_6 Depth=1
	v_mul_lo_u32 v5, v3, s22
	v_add_u32_e32 v6, s22, v5
	s_mov_b64 s[20:21], 0
	v_mov_b32_e32 v4, 0xff800000
	v_mov_b32_e32 v7, v2
.LBB71_8:                               ;   Parent Loop BB71_6 Depth=1
                                        ; =>  This Inner Loop Header: Depth=2
	ds_read_b32 v8, v7
	v_add_u32_e32 v5, 1, v5
	v_cmp_ge_i32_e32 vcc, v5, v6
	s_or_b64 s[20:21], vcc, s[20:21]
	v_add_u32_e32 v7, 4, v7
	s_waitcnt lgkmcnt(0)
	v_cmp_gt_f32_e32 vcc, v8, v4
	v_cndmask_b32_e32 v4, v4, v8, vcc
	s_andn2_b64 exec, exec, s[20:21]
	s_cbranch_execnz .LBB71_8
; %bb.9:                                ;   in Loop: Header=BB71_6 Depth=1
	s_or_b64 exec, exec, s[20:21]
	s_branch .LBB71_5
.LBB71_10:
	s_or_b64 exec, exec, s[8:9]
	s_cmp_lt_i32 s14, 1
	s_waitcnt lgkmcnt(0)
	s_barrier
	s_cbranch_scc1 .LBB71_13
; %bb.11:
	v_mov_b32_e32 v2, s15
	s_mov_b32 s2, 0xff800000
	v_mov_b32_e32 v3, 0xff800000
.LBB71_12:                              ; =>This Inner Loop Header: Depth=1
	ds_read2_b32 v[4:5], v2 offset1:1
	s_add_i32 s14, s14, -1
	s_cmp_lg_u32 s14, 0
	s_waitcnt lgkmcnt(0)
	v_cmp_nlg_f32_e32 vcc, s2, v4
	v_cndmask_b32_e64 v6, 0, 1, vcc
	v_cmp_lg_f32_e32 vcc, s2, v4
	v_cndmask_b32_e32 v4, v3, v4, vcc
	v_lshlrev_b32_e32 v6, 1, v6
	v_cmp_ngt_f32_e32 vcc, v5, v4
	v_cndmask_b32_e32 v4, 1, v6, vcc
	v_lshlrev_b32_e32 v4, 2, v4
	v_add_u32_e32 v4, s15, v4
	ds_write_b32 v4, v3
	s_cbranch_scc1 .LBB71_12
.LBB71_13:
	v_lshlrev_b32_e32 v6, 2, v0
	s_and_saveexec_b64 s[2:3], s[0:1]
	s_cbranch_execz .LBB71_18
; %bb.14:
	s_abs_i32 s12, s22
	v_cvt_f32_u32_e32 v2, s12
	s_load_dword s10, s[4:5], 0x4c
	s_sub_i32 s11, 0, s12
	s_ashr_i32 s14, s22, 31
	v_rcp_iflag_f32_e32 v2, v2
	v_lshlrev_b32_e32 v7, 2, v0
	s_waitcnt lgkmcnt(0)
	s_and_b32 s20, s10, 0xffff
	v_lshl_add_u32 v8, v0, 4, 0
	v_mul_f32_e32 v2, 0x4f7ffffe, v2
	v_cvt_u32_f32_e32 v2, v2
	s_mov_b64 s[8:9], 0
	s_lshl_b32 s21, s20, 2
	s_lshl_b32 s22, s20, 4
	v_mul_lo_u32 v3, s11, v2
	v_mul_hi_u32 v3, v2, v3
	v_add_u32_e32 v9, v2, v3
	s_mov_b32 s23, 0xff800000
	v_mov_b32_e32 v2, 0xff800000
	v_mov_b32_e32 v10, v0
	s_branch .LBB71_16
.LBB71_15:                              ;   in Loop: Header=BB71_16 Depth=1
	s_or_b64 exec, exec, s[10:11]
	v_add_u32_e32 v10, s20, v10
	v_cmp_le_i32_e32 vcc, s7, v10
	v_add_u32_e32 v7, s21, v7
	s_or_b64 s[8:9], vcc, s[8:9]
	v_add_u32_e32 v8, s22, v8
	s_andn2_b64 exec, exec, s[8:9]
	s_cbranch_execz .LBB71_18
.LBB71_16:                              ; =>This Inner Loop Header: Depth=1
	v_mul_hi_u32 v3, v7, v9
	v_mul_lo_u32 v4, v3, s12
	v_sub_u32_e32 v4, v7, v4
	v_add_u32_e32 v5, 1, v3
	v_cmp_le_u32_e32 vcc, s12, v4
	v_cndmask_b32_e32 v3, v3, v5, vcc
	v_subrev_u32_e32 v5, s12, v4
	v_cndmask_b32_e32 v4, v4, v5, vcc
	v_add_u32_e32 v5, 1, v3
	v_cmp_le_u32_e32 vcc, s12, v4
	v_cndmask_b32_e32 v3, v3, v5, vcc
	v_xor_b32_e32 v3, s14, v3
	v_subrev_u32_e32 v3, s14, v3
	v_lshl_add_u32 v3, v3, 2, s15
	ds_read_b32 v3, v3
	s_waitcnt lgkmcnt(0)
	v_cmp_neq_f32_e32 vcc, s23, v3
	s_and_saveexec_b64 s[10:11], vcc
	s_cbranch_execz .LBB71_15
; %bb.17:                               ;   in Loop: Header=BB71_16 Depth=1
	v_mov_b32_e32 v3, v2
	v_mov_b32_e32 v4, v2
	;; [unrolled: 1-line block ×3, first 2 shown]
	ds_write_b128 v8, v[2:5]
	s_branch .LBB71_15
.LBB71_18:
	s_or_b64 exec, exec, s[2:3]
	s_cmp_lt_i32 s13, 1
	s_waitcnt lgkmcnt(0)
	s_barrier
	s_cbranch_scc1 .LBB71_25
; %bb.19:
	s_add_u32 s2, s4, 64
	s_addc_u32 s3, s5, 0
	s_mov_b32 s12, 0
	v_mov_b32_e32 v4, 0xff800000
                                        ; implicit-def: $vgpr3
                                        ; implicit-def: $vgpr2
	s_branch .LBB71_21
.LBB71_20:                              ;   in Loop: Header=BB71_21 Depth=1
	s_or_b64 exec, exec, s[8:9]
	v_mov_b32_dpp v9, v7 quad_perm:[1,0,3,2] row_mask:0xf bank_mask:0xf
	v_cmp_lt_f32_e32 vcc, v7, v9
	v_cndmask_b32_e32 v7, v7, v9, vcc
	v_mov_b32_dpp v8, v5 quad_perm:[1,0,3,2] row_mask:0xf bank_mask:0xf
	v_cndmask_b32_e32 v5, v5, v8, vcc
	v_mov_b32_dpp v9, v7 quad_perm:[2,3,0,1] row_mask:0xf bank_mask:0xf
	v_cmp_gt_f32_e32 vcc, v9, v7
	v_cndmask_b32_e32 v7, v7, v9, vcc
	v_mov_b32_dpp v8, v5 quad_perm:[2,3,0,1] row_mask:0xf bank_mask:0xf
	v_cndmask_b32_e32 v5, v5, v8, vcc
	v_mov_b32_dpp v9, v7 row_half_mirror row_mask:0xf bank_mask:0xf
	v_cmp_gt_f32_e32 vcc, v9, v7
	v_cndmask_b32_e32 v7, v7, v9, vcc
	v_mov_b32_dpp v8, v5 row_half_mirror row_mask:0xf bank_mask:0xf
	v_cndmask_b32_e32 v5, v5, v8, vcc
	v_mov_b32_dpp v9, v7 row_mirror row_mask:0xf bank_mask:0xf
	v_cmp_gt_f32_e32 vcc, v9, v7
	v_cndmask_b32_e32 v7, v7, v9, vcc
	v_mov_b32_dpp v8, v5 row_mirror row_mask:0xf bank_mask:0xf
	v_cndmask_b32_e32 v5, v5, v8, vcc
	v_mov_b32_dpp v9, v7 row_bcast:15 row_mask:0xf bank_mask:0xf
	v_cmp_gt_f32_e32 vcc, v9, v7
	v_mov_b32_dpp v8, v5 row_bcast:15 row_mask:0xf bank_mask:0xf
	v_cndmask_b32_e32 v7, v7, v9, vcc
	v_cndmask_b32_e32 v5, v5, v8, vcc
	s_nop 0
	v_mov_b32_dpp v9, v7 row_bcast:31 row_mask:0xf bank_mask:0xf
	v_mov_b32_dpp v8, v5 row_bcast:31 row_mask:0xf bank_mask:0xf
	v_cmp_gt_f32_e32 vcc, v9, v7
	v_cndmask_b32_e32 v5, v5, v8, vcc
	v_readlane_b32 s9, v5, 63
	s_lshl_b32 s10, s9, 2
	s_add_i32 s10, s10, 0
	v_cndmask_b32_e32 v7, v7, v9, vcc
	v_mov_b32_e32 v5, s10
	v_readlane_b32 s8, v7, 63
	ds_write_b32 v5, v4
	v_mov_b32_e32 v5, s9
	v_cmp_eq_u32_e32 vcc, s12, v0
	v_cndmask_b32_e32 v2, v2, v5, vcc
	v_mov_b32_e32 v5, s8
	s_add_i32 s12, s12, 1
	s_cmp_eq_u32 s12, s13
	v_cndmask_b32_e32 v3, v3, v5, vcc
	s_cbranch_scc1 .LBB71_26
.LBB71_21:                              ; =>This Loop Header: Depth=1
                                        ;     Child Loop BB71_23 Depth 2
	v_mov_b32_e32 v5, s12
	v_mov_b32_e32 v7, 0xff800000
	s_and_saveexec_b64 s[8:9], s[0:1]
	s_cbranch_execz .LBB71_20
; %bb.22:                               ;   in Loop: Header=BB71_21 Depth=1
	s_load_dword s14, s[2:3], 0xc
	s_mov_b64 s[10:11], 0
	v_mov_b32_e32 v5, s12
	v_mov_b32_e32 v7, 0xff800000
	;; [unrolled: 1-line block ×3, first 2 shown]
	s_waitcnt lgkmcnt(0)
	s_and_b32 s14, s14, 0xffff
	s_lshl_b32 s15, s14, 2
	s_lshl_b32 s20, s14, 4
	v_mov_b32_e32 v9, v6
	v_mov_b32_e32 v10, v0
.LBB71_23:                              ;   Parent Loop BB71_21 Depth=1
                                        ; =>  This Inner Loop Header: Depth=2
	ds_read_b128 v[12:15], v8
	v_add_u32_e32 v10, s14, v10
	v_cmp_le_i32_e32 vcc, s7, v10
	s_or_b64 s[10:11], vcc, s[10:11]
	v_add_u32_e32 v11, 1, v9
	s_waitcnt lgkmcnt(0)
	v_cmp_gt_f32_e32 vcc, v12, v7
	v_cndmask_b32_e32 v7, v7, v12, vcc
	v_cndmask_b32_e32 v5, v5, v9, vcc
	v_cmp_gt_f32_e32 vcc, v13, v7
	v_cndmask_b32_e32 v7, v7, v13, vcc
	v_cndmask_b32_e32 v5, v5, v11, vcc
	v_cmp_gt_f32_e32 vcc, v14, v7
	v_add_u32_e32 v16, 2, v9
	v_cndmask_b32_e32 v7, v7, v14, vcc
	v_add_u32_e32 v17, 3, v9
	v_cndmask_b32_e32 v5, v5, v16, vcc
	v_cmp_gt_f32_e32 vcc, v15, v7
	v_add_u32_e32 v8, s20, v8
	v_add_u32_e32 v9, s15, v9
	v_cndmask_b32_e32 v7, v7, v15, vcc
	v_cndmask_b32_e32 v5, v5, v17, vcc
	s_andn2_b64 exec, exec, s[10:11]
	s_cbranch_execnz .LBB71_23
; %bb.24:                               ;   in Loop: Header=BB71_21 Depth=1
	s_or_b64 exec, exec, s[10:11]
	s_branch .LBB71_20
.LBB71_25:
                                        ; implicit-def: $vgpr3
                                        ; implicit-def: $vgpr2
.LBB71_26:
	v_cmp_gt_i32_e32 vcc, s13, v0
	s_and_saveexec_b64 s[0:1], vcc
	s_cbranch_execz .LBB71_29
; %bb.27:
	s_load_dword s2, s[4:5], 0x38
	s_load_dwordx2 s[0:1], s[4:5], 0x20
	s_ashr_i32 s3, s6, 31
	s_load_dword s4, s[4:5], 0x4c
	v_mov_b32_e32 v4, s17
	s_waitcnt lgkmcnt(0)
	v_mul_f32_e32 v1, s2, v3
	s_mul_i32 s1, s6, s1
	s_mul_hi_u32 s2, s6, s0
	s_add_i32 s1, s2, s1
	s_mul_i32 s3, s3, s0
	s_add_i32 s5, s1, s3
	s_mul_i32 s2, s6, s0
	s_and_b32 s3, s4, 0xffff
	s_mov_b64 s[0:1], 0
	v_mov_b32_e32 v3, s5
	v_mov_b32_e32 v5, s19
.LBB71_28:                              ; =>This Inner Loop Header: Depth=1
	v_ashrrev_i32_e32 v7, 31, v0
	v_add_co_u32_e32 v6, vcc, s2, v0
	v_addc_co_u32_e32 v7, vcc, v3, v7, vcc
	v_add_u32_e32 v0, s3, v0
	v_cmp_le_i32_e32 vcc, s13, v0
	v_lshlrev_b64 v[6:7], 2, v[6:7]
	s_or_b64 s[0:1], vcc, s[0:1]
	v_add_co_u32_e32 v8, vcc, s16, v6
	v_addc_co_u32_e32 v9, vcc, v4, v7, vcc
	v_add_co_u32_e32 v6, vcc, s18, v6
	v_addc_co_u32_e32 v7, vcc, v5, v7, vcc
	global_store_dword v[8:9], v1, off
	global_store_dword v[6:7], v2, off
	s_andn2_b64 exec, exec, s[0:1]
	s_cbranch_execnz .LBB71_28
.LBB71_29:
	s_endpgm
	.section	.rodata,"a",@progbits
	.p2align	6, 0x0
	.amdhsa_kernel _ZN5aiter19grouped_topk_kernelIN3c104HalfEDv4_fLi2ELb0ELb0ELb0EEEvPT_PKS4_PfPimiiiif
		.amdhsa_group_segment_fixed_size 0
		.amdhsa_private_segment_fixed_size 0
		.amdhsa_kernarg_size 320
		.amdhsa_user_sgpr_count 6
		.amdhsa_user_sgpr_private_segment_buffer 1
		.amdhsa_user_sgpr_dispatch_ptr 0
		.amdhsa_user_sgpr_queue_ptr 0
		.amdhsa_user_sgpr_kernarg_segment_ptr 1
		.amdhsa_user_sgpr_dispatch_id 0
		.amdhsa_user_sgpr_flat_scratch_init 0
		.amdhsa_user_sgpr_kernarg_preload_length 0
		.amdhsa_user_sgpr_kernarg_preload_offset 0
		.amdhsa_user_sgpr_private_segment_size 0
		.amdhsa_uses_dynamic_stack 0
		.amdhsa_system_sgpr_private_segment_wavefront_offset 0
		.amdhsa_system_sgpr_workgroup_id_x 1
		.amdhsa_system_sgpr_workgroup_id_y 0
		.amdhsa_system_sgpr_workgroup_id_z 0
		.amdhsa_system_sgpr_workgroup_info 0
		.amdhsa_system_vgpr_workitem_id 0
		.amdhsa_next_free_vgpr 32
		.amdhsa_next_free_sgpr 30
		.amdhsa_accum_offset 32
		.amdhsa_reserve_vcc 1
		.amdhsa_reserve_flat_scratch 0
		.amdhsa_float_round_mode_32 0
		.amdhsa_float_round_mode_16_64 0
		.amdhsa_float_denorm_mode_32 3
		.amdhsa_float_denorm_mode_16_64 3
		.amdhsa_dx10_clamp 1
		.amdhsa_ieee_mode 1
		.amdhsa_fp16_overflow 0
		.amdhsa_tg_split 0
		.amdhsa_exception_fp_ieee_invalid_op 0
		.amdhsa_exception_fp_denorm_src 0
		.amdhsa_exception_fp_ieee_div_zero 0
		.amdhsa_exception_fp_ieee_overflow 0
		.amdhsa_exception_fp_ieee_underflow 0
		.amdhsa_exception_fp_ieee_inexact 0
		.amdhsa_exception_int_div_zero 0
	.end_amdhsa_kernel
	.section	.text._ZN5aiter19grouped_topk_kernelIN3c104HalfEDv4_fLi2ELb0ELb0ELb0EEEvPT_PKS4_PfPimiiiif,"axG",@progbits,_ZN5aiter19grouped_topk_kernelIN3c104HalfEDv4_fLi2ELb0ELb0ELb0EEEvPT_PKS4_PfPimiiiif,comdat
.Lfunc_end71:
	.size	_ZN5aiter19grouped_topk_kernelIN3c104HalfEDv4_fLi2ELb0ELb0ELb0EEEvPT_PKS4_PfPimiiiif, .Lfunc_end71-_ZN5aiter19grouped_topk_kernelIN3c104HalfEDv4_fLi2ELb0ELb0ELb0EEEvPT_PKS4_PfPimiiiif
                                        ; -- End function
	.section	.AMDGPU.csdata,"",@progbits
; Kernel info:
; codeLenInByte = 2212
; NumSgprs: 34
; NumVgprs: 32
; NumAgprs: 0
; TotalNumVgprs: 32
; ScratchSize: 0
; MemoryBound: 0
; FloatMode: 240
; IeeeMode: 1
; LDSByteSize: 0 bytes/workgroup (compile time only)
; SGPRBlocks: 4
; VGPRBlocks: 3
; NumSGPRsForWavesPerEU: 34
; NumVGPRsForWavesPerEU: 32
; AccumOffset: 32
; Occupancy: 8
; WaveLimiterHint : 0
; COMPUTE_PGM_RSRC2:SCRATCH_EN: 0
; COMPUTE_PGM_RSRC2:USER_SGPR: 6
; COMPUTE_PGM_RSRC2:TRAP_HANDLER: 0
; COMPUTE_PGM_RSRC2:TGID_X_EN: 1
; COMPUTE_PGM_RSRC2:TGID_Y_EN: 0
; COMPUTE_PGM_RSRC2:TGID_Z_EN: 0
; COMPUTE_PGM_RSRC2:TIDIG_COMP_CNT: 0
; COMPUTE_PGM_RSRC3_GFX90A:ACCUM_OFFSET: 7
; COMPUTE_PGM_RSRC3_GFX90A:TG_SPLIT: 0
	.section	.text._ZN5aiter19grouped_topk_kernelIN3c108BFloat16EDv4_fLi2ELb0ELb0ELb0EEEvPT_PKS4_PfPimiiiif,"axG",@progbits,_ZN5aiter19grouped_topk_kernelIN3c108BFloat16EDv4_fLi2ELb0ELb0ELb0EEEvPT_PKS4_PfPimiiiif,comdat
	.protected	_ZN5aiter19grouped_topk_kernelIN3c108BFloat16EDv4_fLi2ELb0ELb0ELb0EEEvPT_PKS4_PfPimiiiif ; -- Begin function _ZN5aiter19grouped_topk_kernelIN3c108BFloat16EDv4_fLi2ELb0ELb0ELb0EEEvPT_PKS4_PfPimiiiif
	.globl	_ZN5aiter19grouped_topk_kernelIN3c108BFloat16EDv4_fLi2ELb0ELb0ELb0EEEvPT_PKS4_PfPimiiiif
	.p2align	8
	.type	_ZN5aiter19grouped_topk_kernelIN3c108BFloat16EDv4_fLi2ELb0ELb0ELb0EEEvPT_PKS4_PfPimiiiif,@function
_ZN5aiter19grouped_topk_kernelIN3c108BFloat16EDv4_fLi2ELb0ELb0ELb0EEEvPT_PKS4_PfPimiiiif: ; @_ZN5aiter19grouped_topk_kernelIN3c108BFloat16EDv4_fLi2ELb0ELb0ELb0EEEvPT_PKS4_PfPimiiiif
; %bb.0:
	s_load_dwordx4 s[12:15], s[4:5], 0x28
	s_load_dwordx4 s[16:19], s[4:5], 0x10
	v_lshl_add_u32 v1, v0, 4, 0
	s_waitcnt lgkmcnt(0)
	s_ashr_i32 s0, s12, 31
	s_lshr_b32 s0, s0, 30
	s_add_i32 s0, s12, s0
	s_ashr_i32 s7, s0, 2
	v_cmp_gt_i32_e64 s[0:1], s7, v0
	s_and_saveexec_b64 s[20:21], s[0:1]
	s_cbranch_execz .LBB72_3
; %bb.1:
	s_load_dword s10, s[4:5], 0x4c
	s_load_dwordx2 s[2:3], s[4:5], 0x0
	s_mul_i32 s8, s6, s12
	s_ashr_i32 s9, s8, 31
	s_lshl_b64 s[8:9], s[8:9], 1
	s_waitcnt lgkmcnt(0)
	s_and_b32 s15, s10, 0xffff
	s_add_u32 s2, s2, s8
	v_lshlrev_b32_e32 v2, 3, v0
	s_addc_u32 s3, s3, s9
	s_mov_b32 s10, 0
	v_mov_b32_e32 v3, s3
	v_add_co_u32_e32 v2, vcc, s2, v2
	v_addc_co_u32_e32 v3, vcc, 0, v3, vcc
	s_lshl_b32 s24, s15, 3
	v_lshl_add_u32 v6, v0, 4, 0
	s_lshl_b32 s25, s15, 4
	s_mov_b64 s[22:23], 0
	s_mov_b32 s26, 0xbfb8aa3b
	s_mov_b32 s27, 0x42ce8ed0
	;; [unrolled: 1-line block ×3, first 2 shown]
	v_mov_b32_e32 v7, 0x7f800000
	v_mov_b32_e32 v8, s10
	v_mov_b32_e32 v9, v0
.LBB72_2:                               ; =>This Inner Loop Header: Depth=1
	global_load_dwordx2 v[4:5], v[2:3], off
	v_add_co_u32_e32 v2, vcc, s24, v2
	v_add_u32_e32 v9, s15, v9
	v_addc_co_u32_e32 v3, vcc, v3, v8, vcc
	v_cmp_le_i32_e32 vcc, s7, v9
	s_or_b64 s[22:23], vcc, s[22:23]
	s_waitcnt vmcnt(0)
	v_cvt_f32_u32_sdwa v10, v5 dst_sel:DWORD dst_unused:UNUSED_PAD src0_sel:WORD_1
	v_cvt_f32_u32_sdwa v5, v5 dst_sel:DWORD dst_unused:UNUSED_PAD src0_sel:WORD_0
	v_cvt_f32_u32_sdwa v11, v4 dst_sel:DWORD dst_unused:UNUSED_PAD src0_sel:WORD_1
	v_cvt_f32_u32_sdwa v4, v4 dst_sel:DWORD dst_unused:UNUSED_PAD src0_sel:WORD_0
	v_mul_f32_e32 v12, 0xbfb8aa3b, v10
	v_mul_f32_e32 v13, 0xbfb8aa3b, v5
	v_fma_f32 v16, v10, s26, -v12
	v_mul_f32_e32 v15, 0xbfb8aa3b, v4
	v_rndne_f32_e32 v17, v12
	v_fma_f32 v18, v5, s26, -v13
	v_rndne_f32_e32 v19, v13
	v_mul_f32_e32 v14, 0xbfb8aa3b, v11
	v_fma_f32 v22, v4, s26, -v15
	v_rndne_f32_e32 v23, v15
	v_fmac_f32_e32 v16, 0xb2a5705f, v10
	v_sub_f32_e32 v12, v12, v17
	v_fmac_f32_e32 v18, 0xb2a5705f, v5
	v_sub_f32_e32 v13, v13, v19
	v_fma_f32 v20, v11, s26, -v14
	v_rndne_f32_e32 v21, v14
	v_fmac_f32_e32 v22, 0xb2a5705f, v4
	v_sub_f32_e32 v15, v15, v23
	v_add_f32_e32 v12, v12, v16
	v_add_f32_e32 v13, v13, v18
	v_cvt_i32_f32_e32 v17, v17
	v_cvt_i32_f32_e32 v19, v19
	v_fmac_f32_e32 v20, 0xb2a5705f, v11
	v_sub_f32_e32 v14, v14, v21
	v_add_f32_e32 v15, v15, v22
	v_exp_f32_e32 v12, v12
	v_exp_f32_e32 v13, v13
	v_cvt_i32_f32_e32 v23, v23
	v_add_f32_e32 v14, v14, v20
	v_exp_f32_e32 v15, v15
	v_cvt_i32_f32_e32 v21, v21
	v_exp_f32_e32 v14, v14
	v_ldexp_f32 v12, v12, v17
	v_ldexp_f32 v13, v13, v19
	v_cmp_nlt_f32_e32 vcc, s27, v5
	v_cmp_nlt_f32_e64 s[10:11], s27, v10
	v_ldexp_f32 v15, v15, v23
	v_cmp_nlt_f32_e64 s[8:9], s27, v4
	v_cndmask_b32_e64 v12, 0, v12, s[10:11]
	v_cndmask_b32_e32 v13, 0, v13, vcc
	v_cmp_ngt_f32_e32 vcc, s28, v5
	v_cmp_ngt_f32_e64 s[10:11], s28, v10
	v_ldexp_f32 v14, v14, v21
	v_cmp_nlt_f32_e64 s[2:3], s27, v11
	v_cndmask_b32_e64 v15, 0, v15, s[8:9]
	v_cmp_ngt_f32_e64 s[8:9], s28, v4
	v_cndmask_b32_e64 v5, v7, v12, s[10:11]
	v_cndmask_b32_e32 v4, v7, v13, vcc
	v_cndmask_b32_e64 v14, 0, v14, s[2:3]
	v_cmp_ngt_f32_e64 s[2:3], s28, v11
	v_pk_add_f32 v[4:5], v[4:5], 1.0 op_sel_hi:[1,0]
	v_cndmask_b32_e64 v11, v7, v14, s[2:3]
	v_cndmask_b32_e64 v10, v7, v15, s[8:9]
	v_div_scale_f32 v12, s[2:3], v5, v5, 1.0
	v_pk_add_f32 v[10:11], v[10:11], 1.0 op_sel_hi:[1,0]
	v_div_scale_f32 v14, s[2:3], v4, v4, 1.0
	v_rcp_f32_e32 v20, v12
	v_div_scale_f32 v16, s[8:9], v11, v11, 1.0
	v_rcp_f32_e32 v21, v14
	;; [unrolled: 2-line block ×3, first 2 shown]
	v_rcp_f32_e32 v23, v18
	v_fma_f32 v24, -v12, v20, 1.0
	v_div_scale_f32 v13, vcc, 1.0, v5, 1.0
	v_fma_f32 v25, -v14, v21, 1.0
	v_fmac_f32_e32 v20, v24, v20
	v_div_scale_f32 v15, s[2:3], 1.0, v4, 1.0
	v_fma_f32 v26, -v16, v22, 1.0
	v_fmac_f32_e32 v21, v25, v21
	v_mul_f32_e32 v24, v13, v20
	v_div_scale_f32 v17, s[8:9], 1.0, v11, 1.0
	v_fma_f32 v27, -v18, v23, 1.0
	v_fmac_f32_e32 v22, v26, v22
	v_mul_f32_e32 v25, v15, v21
	v_fma_f32 v28, -v12, v24, v13
	v_div_scale_f32 v19, s[10:11], 1.0, v10, 1.0
	v_fmac_f32_e32 v23, v27, v23
	v_mul_f32_e32 v26, v17, v22
	v_fma_f32 v29, -v14, v25, v15
	v_fmac_f32_e32 v24, v28, v20
	v_mul_f32_e32 v27, v19, v23
	v_fma_f32 v30, -v16, v26, v17
	v_fmac_f32_e32 v25, v29, v21
	v_fma_f32 v12, -v12, v24, v13
	v_fma_f32 v31, -v18, v27, v19
	v_fmac_f32_e32 v26, v30, v22
	v_fma_f32 v14, -v14, v25, v15
	v_div_fmas_f32 v12, v12, v20, v24
	s_mov_b64 vcc, s[2:3]
	v_fmac_f32_e32 v27, v31, v23
	v_fma_f32 v15, -v16, v26, v17
	v_div_fixup_f32 v13, v12, v5, 1.0
	v_div_fmas_f32 v5, v14, v21, v25
	s_mov_b64 vcc, s[8:9]
	v_fma_f32 v16, -v18, v27, v19
	v_div_fixup_f32 v12, v5, v4, 1.0
	v_div_fmas_f32 v4, v15, v22, v26
	s_mov_b64 vcc, s[10:11]
	v_div_fixup_f32 v11, v4, v11, 1.0
	v_div_fmas_f32 v4, v16, v23, v27
	v_div_fixup_f32 v10, v4, v10, 1.0
	ds_write_b128 v6, v[10:13]
	v_add_u32_e32 v6, s25, v6
	s_andn2_b64 exec, exec, s[22:23]
	s_cbranch_execnz .LBB72_2
.LBB72_3:
	s_or_b64 exec, exec, s[20:21]
	s_lshr_b32 s2, s12, 31
	s_add_i32 s2, s12, s2
	s_ashr_i32 s22, s2, 1
	s_lshl_b32 s2, s12, 2
	s_add_i32 s15, s2, 0
	v_cmp_gt_u32_e32 vcc, 2, v0
	s_waitcnt lgkmcnt(0)
	s_barrier
	s_and_saveexec_b64 s[8:9], vcc
	s_cbranch_execz .LBB72_10
; %bb.4:
	s_load_dword s2, s[4:5], 0x4c
	v_mul_lo_u32 v2, v0, s22
	v_lshl_add_u32 v2, v2, 2, 0
	s_waitcnt lgkmcnt(0)
	s_and_b32 s23, s2, 0xffff
	s_cmp_gt_i32 s12, 1
	s_cselect_b64 s[2:3], -1, 0
	s_mul_i32 s10, s22, s23
	v_cndmask_b32_e64 v3, 0, 1, s[2:3]
	s_lshl_b32 s12, s10, 2
	s_mov_b64 s[10:11], 0
	v_cmp_ne_u32_e64 s[2:3], 1, v3
	v_mov_b32_e32 v3, v0
	s_branch .LBB72_6
.LBB72_5:                               ;   in Loop: Header=BB72_6 Depth=1
	v_lshl_add_u32 v5, v3, 2, s15
	v_add_u32_e32 v3, s23, v3
	v_cmp_lt_u32_e32 vcc, 1, v3
	s_or_b64 s[10:11], vcc, s[10:11]
	v_add_u32_e32 v2, s12, v2
	ds_write_b32 v5, v4
	s_andn2_b64 exec, exec, s[10:11]
	s_cbranch_execz .LBB72_10
.LBB72_6:                               ; =>This Loop Header: Depth=1
                                        ;     Child Loop BB72_8 Depth 2
	s_and_b64 vcc, exec, s[2:3]
	v_mov_b32_e32 v4, 0xff800000
	s_cbranch_vccnz .LBB72_5
; %bb.7:                                ;   in Loop: Header=BB72_6 Depth=1
	v_mul_lo_u32 v5, v3, s22
	v_add_u32_e32 v6, s22, v5
	s_mov_b64 s[20:21], 0
	v_mov_b32_e32 v4, 0xff800000
	v_mov_b32_e32 v7, v2
.LBB72_8:                               ;   Parent Loop BB72_6 Depth=1
                                        ; =>  This Inner Loop Header: Depth=2
	ds_read_b32 v8, v7
	v_add_u32_e32 v5, 1, v5
	v_cmp_ge_i32_e32 vcc, v5, v6
	s_or_b64 s[20:21], vcc, s[20:21]
	v_add_u32_e32 v7, 4, v7
	s_waitcnt lgkmcnt(0)
	v_cmp_gt_f32_e32 vcc, v8, v4
	v_cndmask_b32_e32 v4, v4, v8, vcc
	s_andn2_b64 exec, exec, s[20:21]
	s_cbranch_execnz .LBB72_8
; %bb.9:                                ;   in Loop: Header=BB72_6 Depth=1
	s_or_b64 exec, exec, s[20:21]
	s_branch .LBB72_5
.LBB72_10:
	s_or_b64 exec, exec, s[8:9]
	s_cmp_lt_i32 s14, 1
	s_waitcnt lgkmcnt(0)
	s_barrier
	s_cbranch_scc1 .LBB72_13
; %bb.11:
	v_mov_b32_e32 v2, s15
	s_mov_b32 s2, 0xff800000
	v_mov_b32_e32 v3, 0xff800000
.LBB72_12:                              ; =>This Inner Loop Header: Depth=1
	ds_read2_b32 v[4:5], v2 offset1:1
	s_add_i32 s14, s14, -1
	s_cmp_lg_u32 s14, 0
	s_waitcnt lgkmcnt(0)
	v_cmp_nlg_f32_e32 vcc, s2, v4
	v_cndmask_b32_e64 v6, 0, 1, vcc
	v_cmp_lg_f32_e32 vcc, s2, v4
	v_cndmask_b32_e32 v4, v3, v4, vcc
	v_lshlrev_b32_e32 v6, 1, v6
	v_cmp_ngt_f32_e32 vcc, v5, v4
	v_cndmask_b32_e32 v4, 1, v6, vcc
	v_lshlrev_b32_e32 v4, 2, v4
	v_add_u32_e32 v4, s15, v4
	ds_write_b32 v4, v3
	s_cbranch_scc1 .LBB72_12
.LBB72_13:
	v_lshlrev_b32_e32 v6, 2, v0
	s_and_saveexec_b64 s[2:3], s[0:1]
	s_cbranch_execz .LBB72_18
; %bb.14:
	s_abs_i32 s12, s22
	v_cvt_f32_u32_e32 v2, s12
	s_load_dword s10, s[4:5], 0x4c
	s_sub_i32 s11, 0, s12
	s_ashr_i32 s14, s22, 31
	v_rcp_iflag_f32_e32 v2, v2
	v_lshlrev_b32_e32 v7, 2, v0
	s_waitcnt lgkmcnt(0)
	s_and_b32 s20, s10, 0xffff
	v_lshl_add_u32 v8, v0, 4, 0
	v_mul_f32_e32 v2, 0x4f7ffffe, v2
	v_cvt_u32_f32_e32 v2, v2
	s_mov_b64 s[8:9], 0
	s_lshl_b32 s21, s20, 2
	s_lshl_b32 s22, s20, 4
	v_mul_lo_u32 v3, s11, v2
	v_mul_hi_u32 v3, v2, v3
	v_add_u32_e32 v9, v2, v3
	s_mov_b32 s23, 0xff800000
	v_mov_b32_e32 v2, 0xff800000
	v_mov_b32_e32 v10, v0
	s_branch .LBB72_16
.LBB72_15:                              ;   in Loop: Header=BB72_16 Depth=1
	s_or_b64 exec, exec, s[10:11]
	v_add_u32_e32 v10, s20, v10
	v_cmp_le_i32_e32 vcc, s7, v10
	v_add_u32_e32 v7, s21, v7
	s_or_b64 s[8:9], vcc, s[8:9]
	v_add_u32_e32 v8, s22, v8
	s_andn2_b64 exec, exec, s[8:9]
	s_cbranch_execz .LBB72_18
.LBB72_16:                              ; =>This Inner Loop Header: Depth=1
	v_mul_hi_u32 v3, v7, v9
	v_mul_lo_u32 v4, v3, s12
	v_sub_u32_e32 v4, v7, v4
	v_add_u32_e32 v5, 1, v3
	v_cmp_le_u32_e32 vcc, s12, v4
	v_cndmask_b32_e32 v3, v3, v5, vcc
	v_subrev_u32_e32 v5, s12, v4
	v_cndmask_b32_e32 v4, v4, v5, vcc
	v_add_u32_e32 v5, 1, v3
	v_cmp_le_u32_e32 vcc, s12, v4
	v_cndmask_b32_e32 v3, v3, v5, vcc
	v_xor_b32_e32 v3, s14, v3
	v_subrev_u32_e32 v3, s14, v3
	v_lshl_add_u32 v3, v3, 2, s15
	ds_read_b32 v3, v3
	s_waitcnt lgkmcnt(0)
	v_cmp_neq_f32_e32 vcc, s23, v3
	s_and_saveexec_b64 s[10:11], vcc
	s_cbranch_execz .LBB72_15
; %bb.17:                               ;   in Loop: Header=BB72_16 Depth=1
	v_mov_b32_e32 v3, v2
	v_mov_b32_e32 v4, v2
	;; [unrolled: 1-line block ×3, first 2 shown]
	ds_write_b128 v8, v[2:5]
	s_branch .LBB72_15
.LBB72_18:
	s_or_b64 exec, exec, s[2:3]
	s_cmp_lt_i32 s13, 1
	s_waitcnt lgkmcnt(0)
	s_barrier
	s_cbranch_scc1 .LBB72_25
; %bb.19:
	s_add_u32 s2, s4, 64
	s_addc_u32 s3, s5, 0
	s_mov_b32 s12, 0
	v_mov_b32_e32 v4, 0xff800000
                                        ; implicit-def: $vgpr3
                                        ; implicit-def: $vgpr2
	s_branch .LBB72_21
.LBB72_20:                              ;   in Loop: Header=BB72_21 Depth=1
	s_or_b64 exec, exec, s[8:9]
	v_mov_b32_dpp v9, v7 quad_perm:[1,0,3,2] row_mask:0xf bank_mask:0xf
	v_cmp_lt_f32_e32 vcc, v7, v9
	v_cndmask_b32_e32 v7, v7, v9, vcc
	v_mov_b32_dpp v8, v5 quad_perm:[1,0,3,2] row_mask:0xf bank_mask:0xf
	v_cndmask_b32_e32 v5, v5, v8, vcc
	v_mov_b32_dpp v9, v7 quad_perm:[2,3,0,1] row_mask:0xf bank_mask:0xf
	v_cmp_gt_f32_e32 vcc, v9, v7
	v_cndmask_b32_e32 v7, v7, v9, vcc
	v_mov_b32_dpp v8, v5 quad_perm:[2,3,0,1] row_mask:0xf bank_mask:0xf
	v_cndmask_b32_e32 v5, v5, v8, vcc
	v_mov_b32_dpp v9, v7 row_half_mirror row_mask:0xf bank_mask:0xf
	v_cmp_gt_f32_e32 vcc, v9, v7
	v_cndmask_b32_e32 v7, v7, v9, vcc
	v_mov_b32_dpp v8, v5 row_half_mirror row_mask:0xf bank_mask:0xf
	v_cndmask_b32_e32 v5, v5, v8, vcc
	v_mov_b32_dpp v9, v7 row_mirror row_mask:0xf bank_mask:0xf
	v_cmp_gt_f32_e32 vcc, v9, v7
	v_cndmask_b32_e32 v7, v7, v9, vcc
	v_mov_b32_dpp v8, v5 row_mirror row_mask:0xf bank_mask:0xf
	v_cndmask_b32_e32 v5, v5, v8, vcc
	v_mov_b32_dpp v9, v7 row_bcast:15 row_mask:0xf bank_mask:0xf
	v_cmp_gt_f32_e32 vcc, v9, v7
	v_mov_b32_dpp v8, v5 row_bcast:15 row_mask:0xf bank_mask:0xf
	v_cndmask_b32_e32 v7, v7, v9, vcc
	v_cndmask_b32_e32 v5, v5, v8, vcc
	s_nop 0
	v_mov_b32_dpp v9, v7 row_bcast:31 row_mask:0xf bank_mask:0xf
	v_mov_b32_dpp v8, v5 row_bcast:31 row_mask:0xf bank_mask:0xf
	v_cmp_gt_f32_e32 vcc, v9, v7
	v_cndmask_b32_e32 v5, v5, v8, vcc
	v_readlane_b32 s9, v5, 63
	s_lshl_b32 s10, s9, 2
	s_add_i32 s10, s10, 0
	v_cndmask_b32_e32 v7, v7, v9, vcc
	v_mov_b32_e32 v5, s10
	v_readlane_b32 s8, v7, 63
	ds_write_b32 v5, v4
	v_mov_b32_e32 v5, s9
	v_cmp_eq_u32_e32 vcc, s12, v0
	v_cndmask_b32_e32 v2, v2, v5, vcc
	v_mov_b32_e32 v5, s8
	s_add_i32 s12, s12, 1
	s_cmp_eq_u32 s12, s13
	v_cndmask_b32_e32 v3, v3, v5, vcc
	s_cbranch_scc1 .LBB72_26
.LBB72_21:                              ; =>This Loop Header: Depth=1
                                        ;     Child Loop BB72_23 Depth 2
	v_mov_b32_e32 v5, s12
	v_mov_b32_e32 v7, 0xff800000
	s_and_saveexec_b64 s[8:9], s[0:1]
	s_cbranch_execz .LBB72_20
; %bb.22:                               ;   in Loop: Header=BB72_21 Depth=1
	s_load_dword s14, s[2:3], 0xc
	s_mov_b64 s[10:11], 0
	v_mov_b32_e32 v5, s12
	v_mov_b32_e32 v7, 0xff800000
	;; [unrolled: 1-line block ×3, first 2 shown]
	s_waitcnt lgkmcnt(0)
	s_and_b32 s14, s14, 0xffff
	s_lshl_b32 s15, s14, 2
	s_lshl_b32 s20, s14, 4
	v_mov_b32_e32 v9, v6
	v_mov_b32_e32 v10, v0
.LBB72_23:                              ;   Parent Loop BB72_21 Depth=1
                                        ; =>  This Inner Loop Header: Depth=2
	ds_read_b128 v[12:15], v8
	v_add_u32_e32 v10, s14, v10
	v_cmp_le_i32_e32 vcc, s7, v10
	s_or_b64 s[10:11], vcc, s[10:11]
	v_add_u32_e32 v11, 1, v9
	s_waitcnt lgkmcnt(0)
	v_cmp_gt_f32_e32 vcc, v12, v7
	v_cndmask_b32_e32 v7, v7, v12, vcc
	v_cndmask_b32_e32 v5, v5, v9, vcc
	v_cmp_gt_f32_e32 vcc, v13, v7
	v_cndmask_b32_e32 v7, v7, v13, vcc
	v_cndmask_b32_e32 v5, v5, v11, vcc
	v_cmp_gt_f32_e32 vcc, v14, v7
	v_add_u32_e32 v16, 2, v9
	v_cndmask_b32_e32 v7, v7, v14, vcc
	v_add_u32_e32 v17, 3, v9
	v_cndmask_b32_e32 v5, v5, v16, vcc
	v_cmp_gt_f32_e32 vcc, v15, v7
	v_add_u32_e32 v8, s20, v8
	v_add_u32_e32 v9, s15, v9
	v_cndmask_b32_e32 v7, v7, v15, vcc
	v_cndmask_b32_e32 v5, v5, v17, vcc
	s_andn2_b64 exec, exec, s[10:11]
	s_cbranch_execnz .LBB72_23
; %bb.24:                               ;   in Loop: Header=BB72_21 Depth=1
	s_or_b64 exec, exec, s[10:11]
	s_branch .LBB72_20
.LBB72_25:
                                        ; implicit-def: $vgpr3
                                        ; implicit-def: $vgpr2
.LBB72_26:
	v_cmp_gt_i32_e32 vcc, s13, v0
	s_and_saveexec_b64 s[0:1], vcc
	s_cbranch_execz .LBB72_29
; %bb.27:
	s_load_dword s2, s[4:5], 0x38
	s_load_dwordx2 s[0:1], s[4:5], 0x20
	s_ashr_i32 s3, s6, 31
	s_load_dword s4, s[4:5], 0x4c
	v_mov_b32_e32 v4, s17
	s_waitcnt lgkmcnt(0)
	v_mul_f32_e32 v1, s2, v3
	s_mul_i32 s1, s6, s1
	s_mul_hi_u32 s2, s6, s0
	s_add_i32 s1, s2, s1
	s_mul_i32 s3, s3, s0
	s_add_i32 s5, s1, s3
	s_mul_i32 s2, s6, s0
	s_and_b32 s3, s4, 0xffff
	s_mov_b64 s[0:1], 0
	v_mov_b32_e32 v3, s5
	v_mov_b32_e32 v5, s19
.LBB72_28:                              ; =>This Inner Loop Header: Depth=1
	v_ashrrev_i32_e32 v7, 31, v0
	v_add_co_u32_e32 v6, vcc, s2, v0
	v_addc_co_u32_e32 v7, vcc, v3, v7, vcc
	v_add_u32_e32 v0, s3, v0
	v_cmp_le_i32_e32 vcc, s13, v0
	v_lshlrev_b64 v[6:7], 2, v[6:7]
	s_or_b64 s[0:1], vcc, s[0:1]
	v_add_co_u32_e32 v8, vcc, s16, v6
	v_addc_co_u32_e32 v9, vcc, v4, v7, vcc
	v_add_co_u32_e32 v6, vcc, s18, v6
	v_addc_co_u32_e32 v7, vcc, v5, v7, vcc
	global_store_dword v[8:9], v1, off
	global_store_dword v[6:7], v2, off
	s_andn2_b64 exec, exec, s[0:1]
	s_cbranch_execnz .LBB72_28
.LBB72_29:
	s_endpgm
	.section	.rodata,"a",@progbits
	.p2align	6, 0x0
	.amdhsa_kernel _ZN5aiter19grouped_topk_kernelIN3c108BFloat16EDv4_fLi2ELb0ELb0ELb0EEEvPT_PKS4_PfPimiiiif
		.amdhsa_group_segment_fixed_size 0
		.amdhsa_private_segment_fixed_size 0
		.amdhsa_kernarg_size 320
		.amdhsa_user_sgpr_count 6
		.amdhsa_user_sgpr_private_segment_buffer 1
		.amdhsa_user_sgpr_dispatch_ptr 0
		.amdhsa_user_sgpr_queue_ptr 0
		.amdhsa_user_sgpr_kernarg_segment_ptr 1
		.amdhsa_user_sgpr_dispatch_id 0
		.amdhsa_user_sgpr_flat_scratch_init 0
		.amdhsa_user_sgpr_kernarg_preload_length 0
		.amdhsa_user_sgpr_kernarg_preload_offset 0
		.amdhsa_user_sgpr_private_segment_size 0
		.amdhsa_uses_dynamic_stack 0
		.amdhsa_system_sgpr_private_segment_wavefront_offset 0
		.amdhsa_system_sgpr_workgroup_id_x 1
		.amdhsa_system_sgpr_workgroup_id_y 0
		.amdhsa_system_sgpr_workgroup_id_z 0
		.amdhsa_system_sgpr_workgroup_info 0
		.amdhsa_system_vgpr_workitem_id 0
		.amdhsa_next_free_vgpr 32
		.amdhsa_next_free_sgpr 29
		.amdhsa_accum_offset 32
		.amdhsa_reserve_vcc 1
		.amdhsa_reserve_flat_scratch 0
		.amdhsa_float_round_mode_32 0
		.amdhsa_float_round_mode_16_64 0
		.amdhsa_float_denorm_mode_32 3
		.amdhsa_float_denorm_mode_16_64 3
		.amdhsa_dx10_clamp 1
		.amdhsa_ieee_mode 1
		.amdhsa_fp16_overflow 0
		.amdhsa_tg_split 0
		.amdhsa_exception_fp_ieee_invalid_op 0
		.amdhsa_exception_fp_denorm_src 0
		.amdhsa_exception_fp_ieee_div_zero 0
		.amdhsa_exception_fp_ieee_overflow 0
		.amdhsa_exception_fp_ieee_underflow 0
		.amdhsa_exception_fp_ieee_inexact 0
		.amdhsa_exception_int_div_zero 0
	.end_amdhsa_kernel
	.section	.text._ZN5aiter19grouped_topk_kernelIN3c108BFloat16EDv4_fLi2ELb0ELb0ELb0EEEvPT_PKS4_PfPimiiiif,"axG",@progbits,_ZN5aiter19grouped_topk_kernelIN3c108BFloat16EDv4_fLi2ELb0ELb0ELb0EEEvPT_PKS4_PfPimiiiif,comdat
.Lfunc_end72:
	.size	_ZN5aiter19grouped_topk_kernelIN3c108BFloat16EDv4_fLi2ELb0ELb0ELb0EEEvPT_PKS4_PfPimiiiif, .Lfunc_end72-_ZN5aiter19grouped_topk_kernelIN3c108BFloat16EDv4_fLi2ELb0ELb0ELb0EEEvPT_PKS4_PfPimiiiif
                                        ; -- End function
	.section	.AMDGPU.csdata,"",@progbits
; Kernel info:
; codeLenInByte = 2204
; NumSgprs: 33
; NumVgprs: 32
; NumAgprs: 0
; TotalNumVgprs: 32
; ScratchSize: 0
; MemoryBound: 0
; FloatMode: 240
; IeeeMode: 1
; LDSByteSize: 0 bytes/workgroup (compile time only)
; SGPRBlocks: 4
; VGPRBlocks: 3
; NumSGPRsForWavesPerEU: 33
; NumVGPRsForWavesPerEU: 32
; AccumOffset: 32
; Occupancy: 8
; WaveLimiterHint : 0
; COMPUTE_PGM_RSRC2:SCRATCH_EN: 0
; COMPUTE_PGM_RSRC2:USER_SGPR: 6
; COMPUTE_PGM_RSRC2:TRAP_HANDLER: 0
; COMPUTE_PGM_RSRC2:TGID_X_EN: 1
; COMPUTE_PGM_RSRC2:TGID_Y_EN: 0
; COMPUTE_PGM_RSRC2:TGID_Z_EN: 0
; COMPUTE_PGM_RSRC2:TIDIG_COMP_CNT: 0
; COMPUTE_PGM_RSRC3_GFX90A:ACCUM_OFFSET: 7
; COMPUTE_PGM_RSRC3_GFX90A:TG_SPLIT: 0
	.section	.text._ZN5aiter28grouped_topk_opt_sort_kernelIfDv4_fLi1ELb1ELb1ELb0EEEvPT_PKS2_PfPimiiiif,"axG",@progbits,_ZN5aiter28grouped_topk_opt_sort_kernelIfDv4_fLi1ELb1ELb1ELb0EEEvPT_PKS2_PfPimiiiif,comdat
	.protected	_ZN5aiter28grouped_topk_opt_sort_kernelIfDv4_fLi1ELb1ELb1ELb0EEEvPT_PKS2_PfPimiiiif ; -- Begin function _ZN5aiter28grouped_topk_opt_sort_kernelIfDv4_fLi1ELb1ELb1ELb0EEEvPT_PKS2_PfPimiiiif
	.globl	_ZN5aiter28grouped_topk_opt_sort_kernelIfDv4_fLi1ELb1ELb1ELb0EEEvPT_PKS2_PfPimiiiif
	.p2align	8
	.type	_ZN5aiter28grouped_topk_opt_sort_kernelIfDv4_fLi1ELb1ELb1ELb0EEEvPT_PKS2_PfPimiiiif,@function
_ZN5aiter28grouped_topk_opt_sort_kernelIfDv4_fLi1ELb1ELb1ELb0EEEvPT_PKS2_PfPimiiiif: ; @_ZN5aiter28grouped_topk_opt_sort_kernelIfDv4_fLi1ELb1ELb1ELb0EEEvPT_PKS2_PfPimiiiif
; %bb.0:
	s_load_dword s8, s[4:5], 0x28
	s_load_dwordx4 s[0:3], s[4:5], 0x0
	s_load_dword s7, s[4:5], 0x30
	v_lshlrev_b32_e32 v12, 4, v0
	v_mov_b32_e32 v13, 0x42800000
	s_waitcnt lgkmcnt(0)
	s_mul_i32 s4, s6, s8
	s_ashr_i32 s5, s4, 31
	s_lshl_b64 s[4:5], s[4:5], 2
	s_add_u32 s0, s0, s4
	s_addc_u32 s1, s1, s5
	global_load_dwordx4 v[0:3], v12, s[0:1]
	global_load_dwordx4 v[4:7], v12, s[2:3]
	s_mov_b32 s0, 0x652b82fe
	s_mov_b32 s1, 0xbff71547
	;; [unrolled: 1-line block ×3, first 2 shown]
	v_mov_b32_e32 v14, 0x1f800000
	s_cmp_lt_i32 s7, 1
	s_waitcnt vmcnt(1)
	v_cvt_f64_f32_e32 v[8:9], v0
	v_cvt_f64_f32_e32 v[0:1], v1
	;; [unrolled: 1-line block ×4, first 2 shown]
	v_mul_f64 v[8:9], v[8:9], s[0:1]
	v_mul_f64 v[0:1], v[0:1], s[0:1]
	;; [unrolled: 1-line block ×4, first 2 shown]
	v_cvt_f32_f64_e32 v8, v[8:9]
	v_cvt_f32_f64_e32 v0, v[0:1]
	;; [unrolled: 1-line block ×4, first 2 shown]
	v_cmp_gt_f32_e32 vcc, s4, v8
	v_cmp_gt_f32_e64 s[0:1], s4, v0
	v_cmp_gt_f32_e64 s[2:3], s4, v1
	v_cmp_gt_f32_e64 s[4:5], s4, v2
	v_cndmask_b32_e32 v3, 0, v13, vcc
	v_cndmask_b32_e64 v9, 0, v13, s[0:1]
	v_cndmask_b32_e64 v10, 0, v13, s[2:3]
	;; [unrolled: 1-line block ×3, first 2 shown]
	v_add_f32_e32 v3, v8, v3
	v_add_f32_e32 v0, v0, v9
	;; [unrolled: 1-line block ×4, first 2 shown]
	v_exp_f32_e32 v3, v3
	v_exp_f32_e32 v0, v0
	;; [unrolled: 1-line block ×4, first 2 shown]
	v_cndmask_b32_e32 v8, 1.0, v14, vcc
	v_cndmask_b32_e64 v9, 1.0, v14, s[0:1]
	v_cndmask_b32_e64 v10, 1.0, v14, s[2:3]
	;; [unrolled: 1-line block ×3, first 2 shown]
	v_fma_f32 v3, v3, v8, 1.0
	v_fma_f32 v8, v0, v9, 1.0
	;; [unrolled: 1-line block ×4, first 2 shown]
	v_rcp_f32_e32 v0, v3
	v_rcp_f32_e32 v2, v9
	;; [unrolled: 1-line block ×4, first 2 shown]
	v_mov_b32_e32 v8, 0xff800000
	v_add_u32_e32 v9, 0, v12
	s_waitcnt vmcnt(0)
	v_pk_add_f32 v[2:3], v[6:7], v[2:3]
	v_cmp_o_f32_e32 vcc, v3, v3
	v_pk_add_f32 v[0:1], v[4:5], v[0:1]
	v_cndmask_b32_e32 v3, v8, v3, vcc
	v_cmp_o_f32_e32 vcc, v2, v2
	v_cndmask_b32_e32 v2, v8, v2, vcc
	v_cmp_o_f32_e32 vcc, v1, v1
	;; [unrolled: 2-line block ×3, first 2 shown]
	v_cndmask_b32_e32 v0, v8, v0, vcc
	ds_write_b128 v9, v[0:3]
	s_cbranch_scc1 .LBB73_7
; %bb.1:
	s_lshl_b32 s0, s8, 2
	s_add_i32 s0, s0, 0
	s_cmp_lt_u32 s7, 8
	s_cbranch_scc1 .LBB73_4
; %bb.2:
	s_and_b32 s1, s7, 0x7ffffff8
	v_mov_b32_e32 v0, s0
	s_mov_b32 s2, 0xff800000
	v_mov_b32_e32 v1, 0xff800000
.LBB73_3:                               ; =>This Inner Loop Header: Depth=1
	ds_read_b32 v2, v0
	s_add_i32 s1, s1, -8
	s_cmp_lg_u32 s1, 0
	s_waitcnt lgkmcnt(0)
	v_cmp_nlg_f32_e32 vcc, s2, v2
	v_cndmask_b32_e64 v2, 0, 1, vcc
	v_lshlrev_b32_e32 v2, 2, v2
	v_add_u32_e32 v2, s0, v2
	ds_write_b32 v2, v1
	ds_read_b32 v2, v0
	s_waitcnt lgkmcnt(0)
	v_cmp_nlg_f32_e32 vcc, s2, v2
	v_cndmask_b32_e64 v2, 0, 1, vcc
	v_lshlrev_b32_e32 v2, 2, v2
	v_add_u32_e32 v2, s0, v2
	ds_write_b32 v2, v1
	ds_read_b32 v2, v0
	;; [unrolled: 7-line block ×7, first 2 shown]
	s_waitcnt lgkmcnt(0)
	v_cmp_nlg_f32_e32 vcc, s2, v2
	v_cndmask_b32_e64 v2, 0, 1, vcc
	v_lshlrev_b32_e32 v2, 2, v2
	v_add_u32_e32 v2, s0, v2
	ds_write_b32 v2, v1
	s_cbranch_scc1 .LBB73_3
.LBB73_4:
	s_and_b32 s1, s7, 7
	s_cmp_eq_u32 s1, 0
	s_cbranch_scc1 .LBB73_7
; %bb.5:
	v_mov_b32_e32 v0, s0
	s_mov_b32 s2, 0xff800000
	v_mov_b32_e32 v1, 0xff800000
.LBB73_6:                               ; =>This Inner Loop Header: Depth=1
	ds_read_b32 v2, v0
	s_add_i32 s1, s1, -1
	s_cmp_lg_u32 s1, 0
	s_waitcnt lgkmcnt(0)
	v_cmp_nlg_f32_e32 vcc, s2, v2
	v_cndmask_b32_e64 v2, 0, 1, vcc
	v_lshlrev_b32_e32 v2, 2, v2
	v_add_u32_e32 v2, s0, v2
	ds_write_b32 v2, v1
	s_cbranch_scc1 .LBB73_6
.LBB73_7:
	s_endpgm
	.section	.rodata,"a",@progbits
	.p2align	6, 0x0
	.amdhsa_kernel _ZN5aiter28grouped_topk_opt_sort_kernelIfDv4_fLi1ELb1ELb1ELb0EEEvPT_PKS2_PfPimiiiif
		.amdhsa_group_segment_fixed_size 0
		.amdhsa_private_segment_fixed_size 0
		.amdhsa_kernarg_size 60
		.amdhsa_user_sgpr_count 6
		.amdhsa_user_sgpr_private_segment_buffer 1
		.amdhsa_user_sgpr_dispatch_ptr 0
		.amdhsa_user_sgpr_queue_ptr 0
		.amdhsa_user_sgpr_kernarg_segment_ptr 1
		.amdhsa_user_sgpr_dispatch_id 0
		.amdhsa_user_sgpr_flat_scratch_init 0
		.amdhsa_user_sgpr_kernarg_preload_length 0
		.amdhsa_user_sgpr_kernarg_preload_offset 0
		.amdhsa_user_sgpr_private_segment_size 0
		.amdhsa_uses_dynamic_stack 0
		.amdhsa_system_sgpr_private_segment_wavefront_offset 0
		.amdhsa_system_sgpr_workgroup_id_x 1
		.amdhsa_system_sgpr_workgroup_id_y 0
		.amdhsa_system_sgpr_workgroup_id_z 0
		.amdhsa_system_sgpr_workgroup_info 0
		.amdhsa_system_vgpr_workitem_id 0
		.amdhsa_next_free_vgpr 15
		.amdhsa_next_free_sgpr 9
		.amdhsa_accum_offset 16
		.amdhsa_reserve_vcc 1
		.amdhsa_reserve_flat_scratch 0
		.amdhsa_float_round_mode_32 0
		.amdhsa_float_round_mode_16_64 0
		.amdhsa_float_denorm_mode_32 3
		.amdhsa_float_denorm_mode_16_64 3
		.amdhsa_dx10_clamp 1
		.amdhsa_ieee_mode 1
		.amdhsa_fp16_overflow 0
		.amdhsa_tg_split 0
		.amdhsa_exception_fp_ieee_invalid_op 0
		.amdhsa_exception_fp_denorm_src 0
		.amdhsa_exception_fp_ieee_div_zero 0
		.amdhsa_exception_fp_ieee_overflow 0
		.amdhsa_exception_fp_ieee_underflow 0
		.amdhsa_exception_fp_ieee_inexact 0
		.amdhsa_exception_int_div_zero 0
	.end_amdhsa_kernel
	.section	.text._ZN5aiter28grouped_topk_opt_sort_kernelIfDv4_fLi1ELb1ELb1ELb0EEEvPT_PKS2_PfPimiiiif,"axG",@progbits,_ZN5aiter28grouped_topk_opt_sort_kernelIfDv4_fLi1ELb1ELb1ELb0EEEvPT_PKS2_PfPimiiiif,comdat
.Lfunc_end73:
	.size	_ZN5aiter28grouped_topk_opt_sort_kernelIfDv4_fLi1ELb1ELb1ELb0EEEvPT_PKS2_PfPimiiiif, .Lfunc_end73-_ZN5aiter28grouped_topk_opt_sort_kernelIfDv4_fLi1ELb1ELb1ELb0EEEvPT_PKS2_PfPimiiiif
                                        ; -- End function
	.section	.AMDGPU.csdata,"",@progbits
; Kernel info:
; codeLenInByte = 884
; NumSgprs: 13
; NumVgprs: 15
; NumAgprs: 0
; TotalNumVgprs: 15
; ScratchSize: 0
; MemoryBound: 0
; FloatMode: 240
; IeeeMode: 1
; LDSByteSize: 0 bytes/workgroup (compile time only)
; SGPRBlocks: 1
; VGPRBlocks: 1
; NumSGPRsForWavesPerEU: 13
; NumVGPRsForWavesPerEU: 15
; AccumOffset: 16
; Occupancy: 8
; WaveLimiterHint : 0
; COMPUTE_PGM_RSRC2:SCRATCH_EN: 0
; COMPUTE_PGM_RSRC2:USER_SGPR: 6
; COMPUTE_PGM_RSRC2:TRAP_HANDLER: 0
; COMPUTE_PGM_RSRC2:TGID_X_EN: 1
; COMPUTE_PGM_RSRC2:TGID_Y_EN: 0
; COMPUTE_PGM_RSRC2:TGID_Z_EN: 0
; COMPUTE_PGM_RSRC2:TIDIG_COMP_CNT: 0
; COMPUTE_PGM_RSRC3_GFX90A:ACCUM_OFFSET: 3
; COMPUTE_PGM_RSRC3_GFX90A:TG_SPLIT: 0
	.section	.text._ZN5aiter28grouped_topk_opt_sort_kernelIN3c104HalfEDv4_fLi1ELb1ELb1ELb0EEEvPT_PKS4_PfPimiiiif,"axG",@progbits,_ZN5aiter28grouped_topk_opt_sort_kernelIN3c104HalfEDv4_fLi1ELb1ELb1ELb0EEEvPT_PKS4_PfPimiiiif,comdat
	.protected	_ZN5aiter28grouped_topk_opt_sort_kernelIN3c104HalfEDv4_fLi1ELb1ELb1ELb0EEEvPT_PKS4_PfPimiiiif ; -- Begin function _ZN5aiter28grouped_topk_opt_sort_kernelIN3c104HalfEDv4_fLi1ELb1ELb1ELb0EEEvPT_PKS4_PfPimiiiif
	.globl	_ZN5aiter28grouped_topk_opt_sort_kernelIN3c104HalfEDv4_fLi1ELb1ELb1ELb0EEEvPT_PKS4_PfPimiiiif
	.p2align	8
	.type	_ZN5aiter28grouped_topk_opt_sort_kernelIN3c104HalfEDv4_fLi1ELb1ELb1ELb0EEEvPT_PKS4_PfPimiiiif,@function
_ZN5aiter28grouped_topk_opt_sort_kernelIN3c104HalfEDv4_fLi1ELb1ELb1ELb0EEEvPT_PKS4_PfPimiiiif: ; @_ZN5aiter28grouped_topk_opt_sort_kernelIN3c104HalfEDv4_fLi1ELb1ELb1ELb0EEEvPT_PKS4_PfPimiiiif
; %bb.0:
	s_load_dword s8, s[4:5], 0x28
	s_load_dwordx4 s[0:3], s[4:5], 0x0
	s_load_dword s7, s[4:5], 0x30
	v_lshlrev_b32_e32 v1, 3, v0
	v_mov_b32_e32 v14, 0x1f800000
	s_waitcnt lgkmcnt(0)
	s_mul_i32 s4, s6, s8
	s_ashr_i32 s5, s4, 31
	global_load_dwordx2 v[2:3], v1, s[2:3]
	s_lshl_b64 s[2:3], s[4:5], 1
	s_add_u32 s0, s0, s2
	s_addc_u32 s1, s1, s3
	global_load_dwordx2 v[4:5], v1, s[0:1]
	s_mov_b32 s0, 0x652b82fe
	s_mov_b32 s1, 0xbff71547
	;; [unrolled: 1-line block ×3, first 2 shown]
	v_mov_b32_e32 v1, 0x42800000
	s_cmp_lt_i32 s7, 1
	s_waitcnt vmcnt(1)
	v_cvt_f32_f16_e32 v6, v2
	v_cvt_f32_f16_sdwa v7, v2 dst_sel:DWORD dst_unused:UNUSED_PAD src0_sel:WORD_1
	v_cvt_f32_f16_e32 v2, v3
	v_cvt_f32_f16_sdwa v3, v3 dst_sel:DWORD dst_unused:UNUSED_PAD src0_sel:WORD_1
	s_waitcnt vmcnt(0)
	v_cvt_f32_f16_e32 v8, v4
	v_cvt_f32_f16_sdwa v9, v4 dst_sel:DWORD dst_unused:UNUSED_PAD src0_sel:WORD_1
	v_cvt_f32_f16_e32 v10, v5
	v_cvt_f32_f16_sdwa v12, v5 dst_sel:DWORD dst_unused:UNUSED_PAD src0_sel:WORD_1
	v_cvt_f64_f32_e32 v[4:5], v8
	v_cvt_f64_f32_e32 v[8:9], v9
	v_cvt_f64_f32_e32 v[10:11], v10
	v_cvt_f64_f32_e32 v[12:13], v12
	v_mul_f64 v[4:5], v[4:5], s[0:1]
	v_mul_f64 v[8:9], v[8:9], s[0:1]
	;; [unrolled: 1-line block ×4, first 2 shown]
	v_cvt_f32_f64_e32 v4, v[4:5]
	v_cvt_f32_f64_e32 v5, v[8:9]
	;; [unrolled: 1-line block ×4, first 2 shown]
	v_cmp_gt_f32_e32 vcc, s4, v4
	v_cmp_gt_f32_e64 s[0:1], s4, v5
	v_cmp_gt_f32_e64 s[2:3], s4, v8
	;; [unrolled: 1-line block ×3, first 2 shown]
	v_cndmask_b32_e32 v10, 0, v1, vcc
	v_cndmask_b32_e64 v11, 0, v1, s[0:1]
	v_cndmask_b32_e64 v12, 0, v1, s[2:3]
	;; [unrolled: 1-line block ×3, first 2 shown]
	v_add_f32_e32 v8, v8, v12
	v_add_f32_e32 v1, v9, v1
	v_exp_f32_e32 v8, v8
	v_exp_f32_e32 v1, v1
	v_add_f32_e32 v4, v4, v10
	v_add_f32_e32 v5, v5, v11
	v_exp_f32_e32 v4, v4
	v_exp_f32_e32 v5, v5
	v_cndmask_b32_e64 v12, 1.0, v14, s[2:3]
	v_cndmask_b32_e64 v9, 1.0, v14, s[4:5]
	v_fma_f32 v8, v8, v12, 1.0
	v_fma_f32 v1, v1, v9, 1.0
	v_cndmask_b32_e32 v10, 1.0, v14, vcc
	v_cndmask_b32_e64 v11, 1.0, v14, s[0:1]
	v_rcp_f32_e32 v8, v8
	v_rcp_f32_e32 v9, v1
	v_fma_f32 v4, v4, v10, 1.0
	v_fma_f32 v5, v5, v11, 1.0
	v_rcp_f32_e32 v4, v4
	v_rcp_f32_e32 v5, v5
	v_pk_add_f32 v[2:3], v[8:9], v[2:3]
	v_mov_b32_e32 v10, 0xff800000
	v_cmp_o_f32_e32 vcc, v3, v3
	v_lshl_add_u32 v11, v0, 4, 0
	v_pk_add_f32 v[0:1], v[4:5], v[6:7]
	v_cndmask_b32_e32 v3, v10, v3, vcc
	v_cmp_o_f32_e32 vcc, v2, v2
	v_cndmask_b32_e32 v2, v10, v2, vcc
	v_cmp_o_f32_e32 vcc, v1, v1
	;; [unrolled: 2-line block ×3, first 2 shown]
	v_cndmask_b32_e32 v0, v10, v0, vcc
	ds_write_b128 v11, v[0:3]
	s_cbranch_scc1 .LBB74_7
; %bb.1:
	s_lshl_b32 s0, s8, 2
	s_add_i32 s0, s0, 0
	s_cmp_lt_u32 s7, 8
	s_cbranch_scc1 .LBB74_4
; %bb.2:
	s_and_b32 s1, s7, 0x7ffffff8
	v_mov_b32_e32 v0, s0
	s_mov_b32 s2, 0xff800000
	v_mov_b32_e32 v1, 0xff800000
.LBB74_3:                               ; =>This Inner Loop Header: Depth=1
	ds_read_b32 v2, v0
	s_add_i32 s1, s1, -8
	s_cmp_lg_u32 s1, 0
	s_waitcnt lgkmcnt(0)
	v_cmp_nlg_f32_e32 vcc, s2, v2
	v_cndmask_b32_e64 v2, 0, 1, vcc
	v_lshlrev_b32_e32 v2, 2, v2
	v_add_u32_e32 v2, s0, v2
	ds_write_b32 v2, v1
	ds_read_b32 v2, v0
	s_waitcnt lgkmcnt(0)
	v_cmp_nlg_f32_e32 vcc, s2, v2
	v_cndmask_b32_e64 v2, 0, 1, vcc
	v_lshlrev_b32_e32 v2, 2, v2
	v_add_u32_e32 v2, s0, v2
	ds_write_b32 v2, v1
	ds_read_b32 v2, v0
	;; [unrolled: 7-line block ×7, first 2 shown]
	s_waitcnt lgkmcnt(0)
	v_cmp_nlg_f32_e32 vcc, s2, v2
	v_cndmask_b32_e64 v2, 0, 1, vcc
	v_lshlrev_b32_e32 v2, 2, v2
	v_add_u32_e32 v2, s0, v2
	ds_write_b32 v2, v1
	s_cbranch_scc1 .LBB74_3
.LBB74_4:
	s_and_b32 s1, s7, 7
	s_cmp_eq_u32 s1, 0
	s_cbranch_scc1 .LBB74_7
; %bb.5:
	v_mov_b32_e32 v0, s0
	s_mov_b32 s2, 0xff800000
	v_mov_b32_e32 v1, 0xff800000
.LBB74_6:                               ; =>This Inner Loop Header: Depth=1
	ds_read_b32 v2, v0
	s_add_i32 s1, s1, -1
	s_cmp_lg_u32 s1, 0
	s_waitcnt lgkmcnt(0)
	v_cmp_nlg_f32_e32 vcc, s2, v2
	v_cndmask_b32_e64 v2, 0, 1, vcc
	v_lshlrev_b32_e32 v2, 2, v2
	v_add_u32_e32 v2, s0, v2
	ds_write_b32 v2, v1
	s_cbranch_scc1 .LBB74_6
.LBB74_7:
	s_endpgm
	.section	.rodata,"a",@progbits
	.p2align	6, 0x0
	.amdhsa_kernel _ZN5aiter28grouped_topk_opt_sort_kernelIN3c104HalfEDv4_fLi1ELb1ELb1ELb0EEEvPT_PKS4_PfPimiiiif
		.amdhsa_group_segment_fixed_size 0
		.amdhsa_private_segment_fixed_size 0
		.amdhsa_kernarg_size 60
		.amdhsa_user_sgpr_count 6
		.amdhsa_user_sgpr_private_segment_buffer 1
		.amdhsa_user_sgpr_dispatch_ptr 0
		.amdhsa_user_sgpr_queue_ptr 0
		.amdhsa_user_sgpr_kernarg_segment_ptr 1
		.amdhsa_user_sgpr_dispatch_id 0
		.amdhsa_user_sgpr_flat_scratch_init 0
		.amdhsa_user_sgpr_kernarg_preload_length 0
		.amdhsa_user_sgpr_kernarg_preload_offset 0
		.amdhsa_user_sgpr_private_segment_size 0
		.amdhsa_uses_dynamic_stack 0
		.amdhsa_system_sgpr_private_segment_wavefront_offset 0
		.amdhsa_system_sgpr_workgroup_id_x 1
		.amdhsa_system_sgpr_workgroup_id_y 0
		.amdhsa_system_sgpr_workgroup_id_z 0
		.amdhsa_system_sgpr_workgroup_info 0
		.amdhsa_system_vgpr_workitem_id 0
		.amdhsa_next_free_vgpr 15
		.amdhsa_next_free_sgpr 9
		.amdhsa_accum_offset 16
		.amdhsa_reserve_vcc 1
		.amdhsa_reserve_flat_scratch 0
		.amdhsa_float_round_mode_32 0
		.amdhsa_float_round_mode_16_64 0
		.amdhsa_float_denorm_mode_32 3
		.amdhsa_float_denorm_mode_16_64 3
		.amdhsa_dx10_clamp 1
		.amdhsa_ieee_mode 1
		.amdhsa_fp16_overflow 0
		.amdhsa_tg_split 0
		.amdhsa_exception_fp_ieee_invalid_op 0
		.amdhsa_exception_fp_denorm_src 0
		.amdhsa_exception_fp_ieee_div_zero 0
		.amdhsa_exception_fp_ieee_overflow 0
		.amdhsa_exception_fp_ieee_underflow 0
		.amdhsa_exception_fp_ieee_inexact 0
		.amdhsa_exception_int_div_zero 0
	.end_amdhsa_kernel
	.section	.text._ZN5aiter28grouped_topk_opt_sort_kernelIN3c104HalfEDv4_fLi1ELb1ELb1ELb0EEEvPT_PKS4_PfPimiiiif,"axG",@progbits,_ZN5aiter28grouped_topk_opt_sort_kernelIN3c104HalfEDv4_fLi1ELb1ELb1ELb0EEEvPT_PKS4_PfPimiiiif,comdat
.Lfunc_end74:
	.size	_ZN5aiter28grouped_topk_opt_sort_kernelIN3c104HalfEDv4_fLi1ELb1ELb1ELb0EEEvPT_PKS4_PfPimiiiif, .Lfunc_end74-_ZN5aiter28grouped_topk_opt_sort_kernelIN3c104HalfEDv4_fLi1ELb1ELb1ELb0EEEvPT_PKS4_PfPimiiiif
                                        ; -- End function
	.section	.AMDGPU.csdata,"",@progbits
; Kernel info:
; codeLenInByte = 936
; NumSgprs: 13
; NumVgprs: 15
; NumAgprs: 0
; TotalNumVgprs: 15
; ScratchSize: 0
; MemoryBound: 0
; FloatMode: 240
; IeeeMode: 1
; LDSByteSize: 0 bytes/workgroup (compile time only)
; SGPRBlocks: 1
; VGPRBlocks: 1
; NumSGPRsForWavesPerEU: 13
; NumVGPRsForWavesPerEU: 15
; AccumOffset: 16
; Occupancy: 8
; WaveLimiterHint : 0
; COMPUTE_PGM_RSRC2:SCRATCH_EN: 0
; COMPUTE_PGM_RSRC2:USER_SGPR: 6
; COMPUTE_PGM_RSRC2:TRAP_HANDLER: 0
; COMPUTE_PGM_RSRC2:TGID_X_EN: 1
; COMPUTE_PGM_RSRC2:TGID_Y_EN: 0
; COMPUTE_PGM_RSRC2:TGID_Z_EN: 0
; COMPUTE_PGM_RSRC2:TIDIG_COMP_CNT: 0
; COMPUTE_PGM_RSRC3_GFX90A:ACCUM_OFFSET: 3
; COMPUTE_PGM_RSRC3_GFX90A:TG_SPLIT: 0
	.section	.text._ZN5aiter28grouped_topk_opt_sort_kernelIN3c108BFloat16EDv4_fLi1ELb1ELb1ELb0EEEvPT_PKS4_PfPimiiiif,"axG",@progbits,_ZN5aiter28grouped_topk_opt_sort_kernelIN3c108BFloat16EDv4_fLi1ELb1ELb1ELb0EEEvPT_PKS4_PfPimiiiif,comdat
	.protected	_ZN5aiter28grouped_topk_opt_sort_kernelIN3c108BFloat16EDv4_fLi1ELb1ELb1ELb0EEEvPT_PKS4_PfPimiiiif ; -- Begin function _ZN5aiter28grouped_topk_opt_sort_kernelIN3c108BFloat16EDv4_fLi1ELb1ELb1ELb0EEEvPT_PKS4_PfPimiiiif
	.globl	_ZN5aiter28grouped_topk_opt_sort_kernelIN3c108BFloat16EDv4_fLi1ELb1ELb1ELb0EEEvPT_PKS4_PfPimiiiif
	.p2align	8
	.type	_ZN5aiter28grouped_topk_opt_sort_kernelIN3c108BFloat16EDv4_fLi1ELb1ELb1ELb0EEEvPT_PKS4_PfPimiiiif,@function
_ZN5aiter28grouped_topk_opt_sort_kernelIN3c108BFloat16EDv4_fLi1ELb1ELb1ELb0EEEvPT_PKS4_PfPimiiiif: ; @_ZN5aiter28grouped_topk_opt_sort_kernelIN3c108BFloat16EDv4_fLi1ELb1ELb1ELb0EEEvPT_PKS4_PfPimiiiif
; %bb.0:
	s_load_dword s8, s[4:5], 0x28
	s_load_dwordx4 s[0:3], s[4:5], 0x0
	s_load_dword s7, s[4:5], 0x30
	v_lshlrev_b32_e32 v1, 3, v0
	v_mov_b32_e32 v14, 0x1f800000
	s_waitcnt lgkmcnt(0)
	s_mul_i32 s4, s6, s8
	s_ashr_i32 s5, s4, 31
	global_load_dwordx2 v[2:3], v1, s[2:3]
	s_lshl_b64 s[2:3], s[4:5], 1
	s_add_u32 s0, s0, s2
	s_addc_u32 s1, s1, s3
	global_load_dwordx2 v[4:5], v1, s[0:1]
	s_mov_b32 s0, 0x652b82fe
	s_mov_b32 s1, 0xbff71547
	s_mov_b32 s4, 0xc2fc0000
	v_mov_b32_e32 v1, 0x42800000
	s_cmp_lt_i32 s7, 1
	s_waitcnt vmcnt(1)
	v_cvt_f32_u32_sdwa v7, v2 dst_sel:DWORD dst_unused:UNUSED_PAD src0_sel:WORD_1
	v_cvt_f32_u32_sdwa v6, v2 dst_sel:DWORD dst_unused:UNUSED_PAD src0_sel:WORD_0
	v_cvt_f32_u32_sdwa v9, v3 dst_sel:DWORD dst_unused:UNUSED_PAD src0_sel:WORD_1
	v_cvt_f32_u32_sdwa v8, v3 dst_sel:DWORD dst_unused:UNUSED_PAD src0_sel:WORD_0
	s_waitcnt vmcnt(0)
	v_and_b32_e32 v2, 0xffff, v4
	v_lshrrev_b32_e32 v4, 16, v4
	v_and_b32_e32 v10, 0xffff, v5
	v_lshrrev_b32_e32 v12, 16, v5
	v_cvt_f64_u32_e32 v[2:3], v2
	v_cvt_f64_u32_e32 v[4:5], v4
	;; [unrolled: 1-line block ×4, first 2 shown]
	v_mul_f64 v[2:3], v[2:3], s[0:1]
	v_mul_f64 v[4:5], v[4:5], s[0:1]
	;; [unrolled: 1-line block ×4, first 2 shown]
	v_cvt_f32_f64_e32 v2, v[2:3]
	v_cvt_f32_f64_e32 v3, v[4:5]
	;; [unrolled: 1-line block ×4, first 2 shown]
	v_cmp_gt_f32_e32 vcc, s4, v2
	v_cmp_gt_f32_e64 s[0:1], s4, v3
	v_cmp_gt_f32_e64 s[2:3], s4, v4
	;; [unrolled: 1-line block ×3, first 2 shown]
	v_cndmask_b32_e32 v10, 0, v1, vcc
	v_cndmask_b32_e64 v11, 0, v1, s[0:1]
	v_cndmask_b32_e64 v12, 0, v1, s[2:3]
	;; [unrolled: 1-line block ×3, first 2 shown]
	v_add_f32_e32 v2, v2, v10
	v_add_f32_e32 v3, v3, v11
	;; [unrolled: 1-line block ×4, first 2 shown]
	v_exp_f32_e32 v2, v2
	v_exp_f32_e32 v3, v3
	;; [unrolled: 1-line block ×4, first 2 shown]
	v_cndmask_b32_e32 v10, 1.0, v14, vcc
	v_cndmask_b32_e64 v11, 1.0, v14, s[0:1]
	v_cndmask_b32_e64 v12, 1.0, v14, s[2:3]
	;; [unrolled: 1-line block ×3, first 2 shown]
	v_fma_f32 v2, v2, v10, 1.0
	v_fma_f32 v3, v3, v11, 1.0
	v_fma_f32 v4, v4, v12, 1.0
	v_fma_f32 v1, v1, v5, 1.0
	v_rcp_f32_e32 v2, v2
	v_rcp_f32_e32 v3, v3
	;; [unrolled: 1-line block ×4, first 2 shown]
	v_lshl_add_u32 v11, v0, 4, 0
	v_pk_add_f32 v[0:1], v[2:3], v[6:7]
	v_mov_b32_e32 v10, 0xff800000
	v_pk_add_f32 v[2:3], v[4:5], v[8:9]
	v_cmp_o_f32_e32 vcc, v3, v3
	v_cndmask_b32_e32 v3, v10, v3, vcc
	v_cmp_o_f32_e32 vcc, v2, v2
	v_cndmask_b32_e32 v2, v10, v2, vcc
	;; [unrolled: 2-line block ×4, first 2 shown]
	ds_write_b128 v11, v[0:3]
	s_cbranch_scc1 .LBB75_7
; %bb.1:
	s_lshl_b32 s0, s8, 2
	s_add_i32 s0, s0, 0
	s_cmp_lt_u32 s7, 8
	s_cbranch_scc1 .LBB75_4
; %bb.2:
	s_and_b32 s1, s7, 0x7ffffff8
	v_mov_b32_e32 v0, s0
	s_mov_b32 s2, 0xff800000
	v_mov_b32_e32 v1, 0xff800000
.LBB75_3:                               ; =>This Inner Loop Header: Depth=1
	ds_read_b32 v2, v0
	s_add_i32 s1, s1, -8
	s_cmp_lg_u32 s1, 0
	s_waitcnt lgkmcnt(0)
	v_cmp_nlg_f32_e32 vcc, s2, v2
	v_cndmask_b32_e64 v2, 0, 1, vcc
	v_lshlrev_b32_e32 v2, 2, v2
	v_add_u32_e32 v2, s0, v2
	ds_write_b32 v2, v1
	ds_read_b32 v2, v0
	s_waitcnt lgkmcnt(0)
	v_cmp_nlg_f32_e32 vcc, s2, v2
	v_cndmask_b32_e64 v2, 0, 1, vcc
	v_lshlrev_b32_e32 v2, 2, v2
	v_add_u32_e32 v2, s0, v2
	ds_write_b32 v2, v1
	ds_read_b32 v2, v0
	;; [unrolled: 7-line block ×7, first 2 shown]
	s_waitcnt lgkmcnt(0)
	v_cmp_nlg_f32_e32 vcc, s2, v2
	v_cndmask_b32_e64 v2, 0, 1, vcc
	v_lshlrev_b32_e32 v2, 2, v2
	v_add_u32_e32 v2, s0, v2
	ds_write_b32 v2, v1
	s_cbranch_scc1 .LBB75_3
.LBB75_4:
	s_and_b32 s1, s7, 7
	s_cmp_eq_u32 s1, 0
	s_cbranch_scc1 .LBB75_7
; %bb.5:
	v_mov_b32_e32 v0, s0
	s_mov_b32 s2, 0xff800000
	v_mov_b32_e32 v1, 0xff800000
.LBB75_6:                               ; =>This Inner Loop Header: Depth=1
	ds_read_b32 v2, v0
	s_add_i32 s1, s1, -1
	s_cmp_lg_u32 s1, 0
	s_waitcnt lgkmcnt(0)
	v_cmp_nlg_f32_e32 vcc, s2, v2
	v_cndmask_b32_e64 v2, 0, 1, vcc
	v_lshlrev_b32_e32 v2, 2, v2
	v_add_u32_e32 v2, s0, v2
	ds_write_b32 v2, v1
	s_cbranch_scc1 .LBB75_6
.LBB75_7:
	s_endpgm
	.section	.rodata,"a",@progbits
	.p2align	6, 0x0
	.amdhsa_kernel _ZN5aiter28grouped_topk_opt_sort_kernelIN3c108BFloat16EDv4_fLi1ELb1ELb1ELb0EEEvPT_PKS4_PfPimiiiif
		.amdhsa_group_segment_fixed_size 0
		.amdhsa_private_segment_fixed_size 0
		.amdhsa_kernarg_size 60
		.amdhsa_user_sgpr_count 6
		.amdhsa_user_sgpr_private_segment_buffer 1
		.amdhsa_user_sgpr_dispatch_ptr 0
		.amdhsa_user_sgpr_queue_ptr 0
		.amdhsa_user_sgpr_kernarg_segment_ptr 1
		.amdhsa_user_sgpr_dispatch_id 0
		.amdhsa_user_sgpr_flat_scratch_init 0
		.amdhsa_user_sgpr_kernarg_preload_length 0
		.amdhsa_user_sgpr_kernarg_preload_offset 0
		.amdhsa_user_sgpr_private_segment_size 0
		.amdhsa_uses_dynamic_stack 0
		.amdhsa_system_sgpr_private_segment_wavefront_offset 0
		.amdhsa_system_sgpr_workgroup_id_x 1
		.amdhsa_system_sgpr_workgroup_id_y 0
		.amdhsa_system_sgpr_workgroup_id_z 0
		.amdhsa_system_sgpr_workgroup_info 0
		.amdhsa_system_vgpr_workitem_id 0
		.amdhsa_next_free_vgpr 15
		.amdhsa_next_free_sgpr 9
		.amdhsa_accum_offset 16
		.amdhsa_reserve_vcc 1
		.amdhsa_reserve_flat_scratch 0
		.amdhsa_float_round_mode_32 0
		.amdhsa_float_round_mode_16_64 0
		.amdhsa_float_denorm_mode_32 3
		.amdhsa_float_denorm_mode_16_64 3
		.amdhsa_dx10_clamp 1
		.amdhsa_ieee_mode 1
		.amdhsa_fp16_overflow 0
		.amdhsa_tg_split 0
		.amdhsa_exception_fp_ieee_invalid_op 0
		.amdhsa_exception_fp_denorm_src 0
		.amdhsa_exception_fp_ieee_div_zero 0
		.amdhsa_exception_fp_ieee_overflow 0
		.amdhsa_exception_fp_ieee_underflow 0
		.amdhsa_exception_fp_ieee_inexact 0
		.amdhsa_exception_int_div_zero 0
	.end_amdhsa_kernel
	.section	.text._ZN5aiter28grouped_topk_opt_sort_kernelIN3c108BFloat16EDv4_fLi1ELb1ELb1ELb0EEEvPT_PKS4_PfPimiiiif,"axG",@progbits,_ZN5aiter28grouped_topk_opt_sort_kernelIN3c108BFloat16EDv4_fLi1ELb1ELb1ELb0EEEvPT_PKS4_PfPimiiiif,comdat
.Lfunc_end75:
	.size	_ZN5aiter28grouped_topk_opt_sort_kernelIN3c108BFloat16EDv4_fLi1ELb1ELb1ELb0EEEvPT_PKS4_PfPimiiiif, .Lfunc_end75-_ZN5aiter28grouped_topk_opt_sort_kernelIN3c108BFloat16EDv4_fLi1ELb1ELb1ELb0EEEvPT_PKS4_PfPimiiiif
                                        ; -- End function
	.section	.AMDGPU.csdata,"",@progbits
; Kernel info:
; codeLenInByte = 944
; NumSgprs: 13
; NumVgprs: 15
; NumAgprs: 0
; TotalNumVgprs: 15
; ScratchSize: 0
; MemoryBound: 0
; FloatMode: 240
; IeeeMode: 1
; LDSByteSize: 0 bytes/workgroup (compile time only)
; SGPRBlocks: 1
; VGPRBlocks: 1
; NumSGPRsForWavesPerEU: 13
; NumVGPRsForWavesPerEU: 15
; AccumOffset: 16
; Occupancy: 8
; WaveLimiterHint : 0
; COMPUTE_PGM_RSRC2:SCRATCH_EN: 0
; COMPUTE_PGM_RSRC2:USER_SGPR: 6
; COMPUTE_PGM_RSRC2:TRAP_HANDLER: 0
; COMPUTE_PGM_RSRC2:TGID_X_EN: 1
; COMPUTE_PGM_RSRC2:TGID_Y_EN: 0
; COMPUTE_PGM_RSRC2:TGID_Z_EN: 0
; COMPUTE_PGM_RSRC2:TIDIG_COMP_CNT: 0
; COMPUTE_PGM_RSRC3_GFX90A:ACCUM_OFFSET: 3
; COMPUTE_PGM_RSRC3_GFX90A:TG_SPLIT: 0
	.section	.text._ZN5aiter19grouped_topk_kernelIfDv4_fLi1ELb1ELb1ELb0EEEvPT_PKS2_PfPimiiiif,"axG",@progbits,_ZN5aiter19grouped_topk_kernelIfDv4_fLi1ELb1ELb1ELb0EEEvPT_PKS2_PfPimiiiif,comdat
	.protected	_ZN5aiter19grouped_topk_kernelIfDv4_fLi1ELb1ELb1ELb0EEEvPT_PKS2_PfPimiiiif ; -- Begin function _ZN5aiter19grouped_topk_kernelIfDv4_fLi1ELb1ELb1ELb0EEEvPT_PKS2_PfPimiiiif
	.globl	_ZN5aiter19grouped_topk_kernelIfDv4_fLi1ELb1ELb1ELb0EEEvPT_PKS2_PfPimiiiif
	.p2align	8
	.type	_ZN5aiter19grouped_topk_kernelIfDv4_fLi1ELb1ELb1ELb0EEEvPT_PKS2_PfPimiiiif,@function
_ZN5aiter19grouped_topk_kernelIfDv4_fLi1ELb1ELb1ELb0EEEvPT_PKS2_PfPimiiiif: ; @_ZN5aiter19grouped_topk_kernelIfDv4_fLi1ELb1ELb1ELb0EEEvPT_PKS2_PfPimiiiif
; %bb.0:
	s_load_dwordx2 s[16:17], s[4:5], 0x28
	s_load_dwordx4 s[12:15], s[4:5], 0x8
	s_load_dwordx2 s[18:19], s[4:5], 0x18
	s_waitcnt lgkmcnt(0)
	s_ashr_i32 s0, s16, 31
	s_lshr_b32 s0, s0, 30
	s_add_i32 s0, s16, s0
	s_ashr_i32 s7, s0, 2
	v_cmp_gt_i32_e64 s[0:1], s7, v0
	s_and_saveexec_b64 s[20:21], s[0:1]
	s_cbranch_execz .LBB76_3
; %bb.1:
	s_load_dwordx2 s[2:3], s[4:5], 0x0
	s_load_dword s10, s[4:5], 0x4c
	s_mul_i32 s8, s6, s16
	s_ashr_i32 s9, s8, 31
	s_lshl_b64 s[8:9], s[8:9], 2
	s_waitcnt lgkmcnt(0)
	s_add_u32 s16, s2, s8
	s_addc_u32 s2, s3, s9
	s_and_b32 s24, s10, 0xffff
	s_mov_b32 s3, 0
	v_lshlrev_b32_e32 v2, 4, v0
	v_mov_b32_e32 v1, 0
	s_lshl_b32 s25, s24, 4
	v_add_u32_e32 v3, 0, v2
	s_mov_b64 s[22:23], 0
	v_mov_b32_e32 v8, s2
	v_mov_b32_e32 v9, s13
	s_mov_b32 s26, 0xbfb8aa3b
	s_mov_b32 s27, 0x42ce8ed0
	s_mov_b32 s28, 0xc2b17218
	v_mov_b32_e32 v10, 0x7f800000
	v_mov_b32_e32 v11, s3
	;; [unrolled: 1-line block ×3, first 2 shown]
.LBB76_2:                               ; =>This Inner Loop Header: Depth=1
	v_add_co_u32_e32 v4, vcc, s16, v2
	v_addc_co_u32_e32 v5, vcc, v8, v1, vcc
	v_add_co_u32_e32 v6, vcc, s12, v2
	v_addc_co_u32_e32 v7, vcc, v9, v1, vcc
	global_load_dwordx4 v[14:17], v[4:5], off
	global_load_dwordx4 v[18:21], v[6:7], off
	v_add_co_u32_e32 v2, vcc, s25, v2
	v_add_u32_e32 v12, s24, v12
	v_addc_co_u32_e32 v1, vcc, v1, v11, vcc
	v_cmp_le_i32_e32 vcc, s7, v12
	s_or_b64 s[22:23], vcc, s[22:23]
	s_waitcnt vmcnt(1)
	v_mul_f32_e32 v4, 0xbfb8aa3b, v15
	v_mul_f32_e32 v5, 0xbfb8aa3b, v14
	v_fma_f32 v13, v15, s26, -v4
	v_rndne_f32_e32 v22, v4
	v_fma_f32 v23, v14, s26, -v5
	v_rndne_f32_e32 v24, v5
	v_mul_f32_e32 v6, 0xbfb8aa3b, v17
	v_mul_f32_e32 v7, 0xbfb8aa3b, v16
	v_fmac_f32_e32 v13, 0xb2a5705f, v15
	v_sub_f32_e32 v4, v4, v22
	v_fmac_f32_e32 v23, 0xb2a5705f, v14
	v_sub_f32_e32 v5, v5, v24
	v_fma_f32 v25, v17, s26, -v6
	v_rndne_f32_e32 v26, v6
	v_fma_f32 v27, v16, s26, -v7
	v_rndne_f32_e32 v28, v7
	v_add_f32_e32 v4, v4, v13
	v_add_f32_e32 v5, v5, v23
	v_cvt_i32_f32_e32 v22, v22
	v_cvt_i32_f32_e32 v24, v24
	v_fmac_f32_e32 v25, 0xb2a5705f, v17
	v_sub_f32_e32 v6, v6, v26
	v_fmac_f32_e32 v27, 0xb2a5705f, v16
	v_sub_f32_e32 v7, v7, v28
	v_exp_f32_e32 v4, v4
	v_exp_f32_e32 v5, v5
	v_add_f32_e32 v6, v6, v25
	v_add_f32_e32 v7, v7, v27
	v_cvt_i32_f32_e32 v26, v26
	v_cvt_i32_f32_e32 v28, v28
	v_exp_f32_e32 v6, v6
	v_exp_f32_e32 v7, v7
	v_ldexp_f32 v4, v4, v22
	v_ldexp_f32 v5, v5, v24
	v_cmp_nlt_f32_e32 vcc, s27, v14
	v_cmp_nlt_f32_e64 s[10:11], s27, v15
	v_cndmask_b32_e64 v4, 0, v4, s[10:11]
	v_cndmask_b32_e32 v13, 0, v5, vcc
	v_cmp_ngt_f32_e32 vcc, s28, v14
	v_cmp_ngt_f32_e64 s[10:11], s28, v15
	v_ldexp_f32 v6, v6, v26
	v_cmp_nlt_f32_e64 s[2:3], s27, v17
	v_ldexp_f32 v7, v7, v28
	v_cmp_nlt_f32_e64 s[8:9], s27, v16
	v_cndmask_b32_e64 v5, v10, v4, s[10:11]
	v_cndmask_b32_e32 v4, v10, v13, vcc
	v_cndmask_b32_e64 v6, 0, v6, s[2:3]
	v_cmp_ngt_f32_e64 s[2:3], s28, v17
	v_cndmask_b32_e64 v14, 0, v7, s[8:9]
	v_cmp_ngt_f32_e64 s[8:9], s28, v16
	v_pk_add_f32 v[4:5], v[4:5], 1.0 op_sel_hi:[1,0]
	v_cndmask_b32_e64 v7, v10, v6, s[2:3]
	v_cndmask_b32_e64 v6, v10, v14, s[8:9]
	v_div_scale_f32 v13, s[2:3], v5, v5, 1.0
	v_pk_add_f32 v[6:7], v[6:7], 1.0 op_sel_hi:[1,0]
	v_div_scale_f32 v15, s[2:3], v4, v4, 1.0
	v_rcp_f32_e32 v25, v13
	v_div_scale_f32 v17, s[8:9], v7, v7, 1.0
	v_rcp_f32_e32 v26, v15
	v_div_scale_f32 v23, s[10:11], v6, v6, 1.0
	v_rcp_f32_e32 v27, v17
	v_rcp_f32_e32 v28, v23
	v_fma_f32 v29, -v13, v25, 1.0
	v_div_scale_f32 v14, vcc, 1.0, v5, 1.0
	v_fma_f32 v30, -v15, v26, 1.0
	v_fmac_f32_e32 v25, v29, v25
	v_div_scale_f32 v16, s[2:3], 1.0, v4, 1.0
	v_fma_f32 v31, -v17, v27, 1.0
	v_fmac_f32_e32 v26, v30, v26
	v_mul_f32_e32 v29, v14, v25
	v_div_scale_f32 v22, s[8:9], 1.0, v7, 1.0
	v_fma_f32 v32, -v23, v28, 1.0
	v_fmac_f32_e32 v27, v31, v27
	v_mul_f32_e32 v30, v16, v26
	v_fma_f32 v33, -v13, v29, v14
	v_div_scale_f32 v24, s[10:11], 1.0, v6, 1.0
	v_fmac_f32_e32 v28, v32, v28
	v_mul_f32_e32 v31, v22, v27
	v_fma_f32 v34, -v15, v30, v16
	v_fmac_f32_e32 v29, v33, v25
	v_mul_f32_e32 v32, v24, v28
	v_fma_f32 v35, -v17, v31, v22
	v_fmac_f32_e32 v30, v34, v26
	v_fma_f32 v13, -v13, v29, v14
	v_fma_f32 v36, -v23, v32, v24
	v_fmac_f32_e32 v31, v35, v27
	v_fma_f32 v14, -v15, v30, v16
	v_div_fmas_f32 v13, v13, v25, v29
	s_mov_b64 vcc, s[2:3]
	v_fmac_f32_e32 v32, v36, v28
	v_fma_f32 v15, -v17, v31, v22
	v_div_fixup_f32 v5, v13, v5, 1.0
	v_div_fmas_f32 v13, v14, v26, v30
	s_mov_b64 vcc, s[8:9]
	v_fma_f32 v16, -v23, v32, v24
	v_div_fixup_f32 v4, v13, v4, 1.0
	v_div_fmas_f32 v13, v15, v27, v31
	s_mov_b64 vcc, s[10:11]
	v_div_fixup_f32 v7, v13, v7, 1.0
	v_div_fmas_f32 v13, v16, v28, v32
	v_div_fixup_f32 v6, v13, v6, 1.0
	s_waitcnt vmcnt(0)
	v_pk_add_f32 v[4:5], v[18:19], v[4:5]
	v_pk_add_f32 v[6:7], v[20:21], v[6:7]
	ds_write_b128 v3, v[4:7]
	v_add_u32_e32 v3, s25, v3
	s_andn2_b64 exec, exec, s[22:23]
	s_cbranch_execnz .LBB76_2
.LBB76_3:
	s_or_b64 exec, exec, s[20:21]
	s_cmp_lt_i32 s17, 1
	s_waitcnt lgkmcnt(0)
	s_barrier
	s_cbranch_scc1 .LBB76_10
; %bb.4:
	s_add_u32 s2, s4, 64
	s_addc_u32 s3, s5, 0
	v_lshlrev_b32_e32 v4, 2, v0
	s_mov_b32 s16, 0
	v_lshl_add_u32 v5, v0, 4, 0
	v_mov_b32_e32 v2, 0
	v_mov_b32_e32 v6, 0xff800000
                                        ; implicit-def: $vgpr3
                                        ; implicit-def: $vgpr1
	s_branch .LBB76_6
.LBB76_5:                               ;   in Loop: Header=BB76_6 Depth=1
	s_or_b64 exec, exec, s[8:9]
	v_mov_b32_dpp v10, v8 quad_perm:[1,0,3,2] row_mask:0xf bank_mask:0xf
	v_cmp_lt_f32_e32 vcc, v8, v10
	v_cndmask_b32_e32 v8, v8, v10, vcc
	v_mov_b32_dpp v9, v7 quad_perm:[1,0,3,2] row_mask:0xf bank_mask:0xf
	v_cndmask_b32_e32 v7, v7, v9, vcc
	v_mov_b32_dpp v10, v8 quad_perm:[2,3,0,1] row_mask:0xf bank_mask:0xf
	v_cmp_gt_f32_e32 vcc, v10, v8
	v_cndmask_b32_e32 v8, v8, v10, vcc
	v_mov_b32_dpp v9, v7 quad_perm:[2,3,0,1] row_mask:0xf bank_mask:0xf
	v_cndmask_b32_e32 v7, v7, v9, vcc
	v_mov_b32_dpp v10, v8 row_half_mirror row_mask:0xf bank_mask:0xf
	v_cmp_gt_f32_e32 vcc, v10, v8
	v_cndmask_b32_e32 v8, v8, v10, vcc
	v_mov_b32_dpp v9, v7 row_half_mirror row_mask:0xf bank_mask:0xf
	v_cndmask_b32_e32 v7, v7, v9, vcc
	v_mov_b32_dpp v10, v8 row_mirror row_mask:0xf bank_mask:0xf
	v_cmp_gt_f32_e32 vcc, v10, v8
	v_cndmask_b32_e32 v8, v8, v10, vcc
	v_mov_b32_dpp v9, v7 row_mirror row_mask:0xf bank_mask:0xf
	v_cndmask_b32_e32 v7, v7, v9, vcc
	v_mov_b32_dpp v10, v8 row_bcast:15 row_mask:0xf bank_mask:0xf
	v_cmp_gt_f32_e32 vcc, v10, v8
	v_mov_b32_dpp v9, v7 row_bcast:15 row_mask:0xf bank_mask:0xf
	v_cndmask_b32_e32 v8, v8, v10, vcc
	v_cndmask_b32_e32 v7, v7, v9, vcc
	s_nop 0
	v_mov_b32_dpp v10, v8 row_bcast:31 row_mask:0xf bank_mask:0xf
	v_mov_b32_dpp v9, v7 row_bcast:31 row_mask:0xf bank_mask:0xf
	v_cmp_gt_f32_e32 vcc, v10, v8
	v_cndmask_b32_e32 v7, v7, v9, vcc
	v_readlane_b32 s8, v7, 63
	s_ashr_i32 s9, s8, 31
	s_lshl_b64 s[10:11], s[8:9], 2
	s_add_u32 s10, s12, s10
	s_addc_u32 s11, s13, s11
	s_load_dword s9, s[10:11], 0x0
	v_cndmask_b32_e32 v7, v8, v10, vcc
	v_readlane_b32 s10, v7, 63
	v_cmp_eq_u32_e32 vcc, s16, v0
	s_add_i32 s16, s16, 1
	s_waitcnt lgkmcnt(0)
	v_mov_b32_e32 v7, s9
	s_lshl_b32 s9, s8, 2
	s_add_i32 s9, s9, 0
	v_mov_b32_e32 v8, s9
	v_sub_f32_e32 v7, s10, v7
	ds_write_b32 v8, v6
	v_mov_b32_e32 v8, s8
	v_cndmask_b32_e32 v1, v1, v8, vcc
	v_cndmask_b32_e32 v3, v3, v7, vcc
	s_cmp_eq_u32 s16, s17
	v_add_f32_e32 v2, v2, v7
	s_cbranch_scc1 .LBB76_11
.LBB76_6:                               ; =>This Loop Header: Depth=1
                                        ;     Child Loop BB76_8 Depth 2
	v_mov_b32_e32 v7, s16
	v_mov_b32_e32 v8, 0xff800000
	s_and_saveexec_b64 s[8:9], s[0:1]
	s_cbranch_execz .LBB76_5
; %bb.7:                                ;   in Loop: Header=BB76_6 Depth=1
	s_load_dword s20, s[2:3], 0xc
	s_mov_b64 s[10:11], 0
	v_mov_b32_e32 v7, s16
	v_mov_b32_e32 v8, 0xff800000
	;; [unrolled: 1-line block ×3, first 2 shown]
	s_waitcnt lgkmcnt(0)
	s_and_b32 s20, s20, 0xffff
	s_lshl_b32 s21, s20, 2
	s_lshl_b32 s22, s20, 4
	v_mov_b32_e32 v10, v4
	v_mov_b32_e32 v11, v0
.LBB76_8:                               ;   Parent Loop BB76_6 Depth=1
                                        ; =>  This Inner Loop Header: Depth=2
	ds_read_b128 v[12:15], v9
	v_add_u32_e32 v11, s20, v11
	v_cmp_le_i32_e32 vcc, s7, v11
	s_or_b64 s[10:11], vcc, s[10:11]
	v_add_u32_e32 v16, 1, v10
	s_waitcnt lgkmcnt(0)
	v_cmp_gt_f32_e32 vcc, v12, v8
	v_cndmask_b32_e32 v8, v8, v12, vcc
	v_cndmask_b32_e32 v7, v7, v10, vcc
	v_cmp_gt_f32_e32 vcc, v13, v8
	v_cndmask_b32_e32 v8, v8, v13, vcc
	v_cndmask_b32_e32 v7, v7, v16, vcc
	v_cmp_gt_f32_e32 vcc, v14, v8
	v_add_u32_e32 v17, 2, v10
	v_cndmask_b32_e32 v8, v8, v14, vcc
	v_add_u32_e32 v18, 3, v10
	v_cndmask_b32_e32 v7, v7, v17, vcc
	v_cmp_gt_f32_e32 vcc, v15, v8
	v_add_u32_e32 v9, s22, v9
	v_add_u32_e32 v10, s21, v10
	v_cndmask_b32_e32 v8, v8, v15, vcc
	v_cndmask_b32_e32 v7, v7, v18, vcc
	s_andn2_b64 exec, exec, s[10:11]
	s_cbranch_execnz .LBB76_8
; %bb.9:                                ;   in Loop: Header=BB76_6 Depth=1
	s_or_b64 exec, exec, s[10:11]
	s_branch .LBB76_5
.LBB76_10:
	v_mov_b32_e32 v2, 0
                                        ; implicit-def: $vgpr3
                                        ; implicit-def: $vgpr1
.LBB76_11:
	v_cmp_gt_i32_e32 vcc, s17, v0
	s_and_saveexec_b64 s[0:1], vcc
	s_cbranch_execz .LBB76_14
; %bb.12:
	s_load_dword s7, s[4:5], 0x38
	s_load_dwordx2 s[0:1], s[4:5], 0x20
	s_load_dword s8, s[4:5], 0x4c
	s_waitcnt lgkmcnt(0)
	v_div_scale_f32 v4, s[2:3], v2, v2, s7
	v_rcp_f32_e32 v5, v4
	v_div_scale_f32 v6, vcc, s7, v2, s7
	s_ashr_i32 s2, s6, 31
	v_fma_f32 v7, -v4, v5, 1.0
	v_fmac_f32_e32 v5, v7, v5
	v_mul_f32_e32 v7, v6, v5
	v_fma_f32 v8, -v4, v7, v6
	v_fmac_f32_e32 v7, v8, v5
	v_fma_f32 v4, -v4, v7, v6
	s_mul_i32 s1, s6, s1
	s_mul_hi_u32 s3, s6, s0
	v_div_fmas_f32 v4, v4, v5, v7
	s_add_i32 s1, s3, s1
	s_mul_i32 s2, s2, s0
	v_div_fixup_f32 v2, v4, v2, s7
	s_add_i32 s4, s1, s2
	v_mul_f32_e32 v2, v2, v3
	s_mul_i32 s2, s6, s0
	s_and_b32 s3, s8, 0xffff
	s_mov_b64 s[0:1], 0
	v_mov_b32_e32 v3, s4
	v_mov_b32_e32 v4, s15
	;; [unrolled: 1-line block ×3, first 2 shown]
.LBB76_13:                              ; =>This Inner Loop Header: Depth=1
	v_ashrrev_i32_e32 v7, 31, v0
	v_add_co_u32_e32 v6, vcc, s2, v0
	v_addc_co_u32_e32 v7, vcc, v3, v7, vcc
	v_add_u32_e32 v0, s3, v0
	v_cmp_le_i32_e32 vcc, s17, v0
	v_lshlrev_b64 v[6:7], 2, v[6:7]
	s_or_b64 s[0:1], vcc, s[0:1]
	v_add_co_u32_e32 v8, vcc, s14, v6
	v_addc_co_u32_e32 v9, vcc, v4, v7, vcc
	v_add_co_u32_e32 v6, vcc, s18, v6
	v_addc_co_u32_e32 v7, vcc, v5, v7, vcc
	global_store_dword v[8:9], v2, off
	global_store_dword v[6:7], v1, off
	s_andn2_b64 exec, exec, s[0:1]
	s_cbranch_execnz .LBB76_13
.LBB76_14:
	s_endpgm
	.section	.rodata,"a",@progbits
	.p2align	6, 0x0
	.amdhsa_kernel _ZN5aiter19grouped_topk_kernelIfDv4_fLi1ELb1ELb1ELb0EEEvPT_PKS2_PfPimiiiif
		.amdhsa_group_segment_fixed_size 0
		.amdhsa_private_segment_fixed_size 0
		.amdhsa_kernarg_size 320
		.amdhsa_user_sgpr_count 6
		.amdhsa_user_sgpr_private_segment_buffer 1
		.amdhsa_user_sgpr_dispatch_ptr 0
		.amdhsa_user_sgpr_queue_ptr 0
		.amdhsa_user_sgpr_kernarg_segment_ptr 1
		.amdhsa_user_sgpr_dispatch_id 0
		.amdhsa_user_sgpr_flat_scratch_init 0
		.amdhsa_user_sgpr_kernarg_preload_length 0
		.amdhsa_user_sgpr_kernarg_preload_offset 0
		.amdhsa_user_sgpr_private_segment_size 0
		.amdhsa_uses_dynamic_stack 0
		.amdhsa_system_sgpr_private_segment_wavefront_offset 0
		.amdhsa_system_sgpr_workgroup_id_x 1
		.amdhsa_system_sgpr_workgroup_id_y 0
		.amdhsa_system_sgpr_workgroup_id_z 0
		.amdhsa_system_sgpr_workgroup_info 0
		.amdhsa_system_vgpr_workitem_id 0
		.amdhsa_next_free_vgpr 37
		.amdhsa_next_free_sgpr 29
		.amdhsa_accum_offset 40
		.amdhsa_reserve_vcc 1
		.amdhsa_reserve_flat_scratch 0
		.amdhsa_float_round_mode_32 0
		.amdhsa_float_round_mode_16_64 0
		.amdhsa_float_denorm_mode_32 3
		.amdhsa_float_denorm_mode_16_64 3
		.amdhsa_dx10_clamp 1
		.amdhsa_ieee_mode 1
		.amdhsa_fp16_overflow 0
		.amdhsa_tg_split 0
		.amdhsa_exception_fp_ieee_invalid_op 0
		.amdhsa_exception_fp_denorm_src 0
		.amdhsa_exception_fp_ieee_div_zero 0
		.amdhsa_exception_fp_ieee_overflow 0
		.amdhsa_exception_fp_ieee_underflow 0
		.amdhsa_exception_fp_ieee_inexact 0
		.amdhsa_exception_int_div_zero 0
	.end_amdhsa_kernel
	.section	.text._ZN5aiter19grouped_topk_kernelIfDv4_fLi1ELb1ELb1ELb0EEEvPT_PKS2_PfPimiiiif,"axG",@progbits,_ZN5aiter19grouped_topk_kernelIfDv4_fLi1ELb1ELb1ELb0EEEvPT_PKS2_PfPimiiiif,comdat
.Lfunc_end76:
	.size	_ZN5aiter19grouped_topk_kernelIfDv4_fLi1ELb1ELb1ELb0EEEvPT_PKS2_PfPimiiiif, .Lfunc_end76-_ZN5aiter19grouped_topk_kernelIfDv4_fLi1ELb1ELb1ELb0EEEvPT_PKS2_PfPimiiiif
                                        ; -- End function
	.section	.AMDGPU.csdata,"",@progbits
; Kernel info:
; codeLenInByte = 1684
; NumSgprs: 33
; NumVgprs: 37
; NumAgprs: 0
; TotalNumVgprs: 37
; ScratchSize: 0
; MemoryBound: 0
; FloatMode: 240
; IeeeMode: 1
; LDSByteSize: 0 bytes/workgroup (compile time only)
; SGPRBlocks: 4
; VGPRBlocks: 4
; NumSGPRsForWavesPerEU: 33
; NumVGPRsForWavesPerEU: 37
; AccumOffset: 40
; Occupancy: 8
; WaveLimiterHint : 0
; COMPUTE_PGM_RSRC2:SCRATCH_EN: 0
; COMPUTE_PGM_RSRC2:USER_SGPR: 6
; COMPUTE_PGM_RSRC2:TRAP_HANDLER: 0
; COMPUTE_PGM_RSRC2:TGID_X_EN: 1
; COMPUTE_PGM_RSRC2:TGID_Y_EN: 0
; COMPUTE_PGM_RSRC2:TGID_Z_EN: 0
; COMPUTE_PGM_RSRC2:TIDIG_COMP_CNT: 0
; COMPUTE_PGM_RSRC3_GFX90A:ACCUM_OFFSET: 9
; COMPUTE_PGM_RSRC3_GFX90A:TG_SPLIT: 0
	.section	.text._ZN5aiter19grouped_topk_kernelIN3c104HalfEDv4_fLi1ELb1ELb1ELb0EEEvPT_PKS4_PfPimiiiif,"axG",@progbits,_ZN5aiter19grouped_topk_kernelIN3c104HalfEDv4_fLi1ELb1ELb1ELb0EEEvPT_PKS4_PfPimiiiif,comdat
	.protected	_ZN5aiter19grouped_topk_kernelIN3c104HalfEDv4_fLi1ELb1ELb1ELb0EEEvPT_PKS4_PfPimiiiif ; -- Begin function _ZN5aiter19grouped_topk_kernelIN3c104HalfEDv4_fLi1ELb1ELb1ELb0EEEvPT_PKS4_PfPimiiiif
	.globl	_ZN5aiter19grouped_topk_kernelIN3c104HalfEDv4_fLi1ELb1ELb1ELb0EEEvPT_PKS4_PfPimiiiif
	.p2align	8
	.type	_ZN5aiter19grouped_topk_kernelIN3c104HalfEDv4_fLi1ELb1ELb1ELb0EEEvPT_PKS4_PfPimiiiif,@function
_ZN5aiter19grouped_topk_kernelIN3c104HalfEDv4_fLi1ELb1ELb1ELb0EEEvPT_PKS4_PfPimiiiif: ; @_ZN5aiter19grouped_topk_kernelIN3c104HalfEDv4_fLi1ELb1ELb1ELb0EEEvPT_PKS4_PfPimiiiif
; %bb.0:
	s_load_dwordx2 s[16:17], s[4:5], 0x28
	s_load_dwordx4 s[12:15], s[4:5], 0x8
	s_load_dwordx2 s[18:19], s[4:5], 0x18
	v_lshl_add_u32 v3, v0, 4, 0
	s_waitcnt lgkmcnt(0)
	s_ashr_i32 s0, s16, 31
	s_lshr_b32 s0, s0, 30
	s_add_i32 s0, s16, s0
	s_ashr_i32 s7, s0, 2
	v_cmp_gt_i32_e64 s[0:1], s7, v0
	s_and_saveexec_b64 s[20:21], s[0:1]
	s_cbranch_execz .LBB77_3
; %bb.1:
	s_load_dwordx2 s[2:3], s[4:5], 0x0
	s_load_dword s10, s[4:5], 0x4c
	s_mul_i32 s8, s6, s16
	s_ashr_i32 s9, s8, 31
	s_lshl_b64 s[8:9], s[8:9], 1
	s_waitcnt lgkmcnt(0)
	s_add_u32 s16, s2, s8
	s_addc_u32 s2, s3, s9
	s_and_b32 s24, s10, 0xffff
	s_mov_b32 s3, 0
	v_lshlrev_b32_e32 v2, 3, v0
	v_mov_b32_e32 v1, 0
	s_lshl_b32 s25, s24, 3
	v_lshl_add_u32 v8, v0, 4, 0
	s_lshl_b32 s26, s24, 4
	s_mov_b64 s[22:23], 0
	v_mov_b32_e32 v9, s2
	v_mov_b32_e32 v10, s13
	s_mov_b32 s27, 0x3fb8aa3b
	s_mov_b32 s28, 0x32a5705f
	;; [unrolled: 1-line block ×4, first 2 shown]
	v_mov_b32_e32 v11, 0x7f800000
	v_mov_b32_e32 v12, s3
	;; [unrolled: 1-line block ×3, first 2 shown]
.LBB77_2:                               ; =>This Inner Loop Header: Depth=1
	v_add_co_u32_e32 v4, vcc, s16, v2
	v_addc_co_u32_e32 v5, vcc, v9, v1, vcc
	v_add_co_u32_e32 v6, vcc, s12, v2
	v_addc_co_u32_e32 v7, vcc, v10, v1, vcc
	global_load_dwordx2 v[14:15], v[6:7], off
	global_load_dwordx2 v[16:17], v[4:5], off
	v_add_co_u32_e32 v2, vcc, s25, v2
	v_add_u32_e32 v13, s24, v13
	v_addc_co_u32_e32 v1, vcc, v1, v12, vcc
	v_cmp_le_i32_e32 vcc, s7, v13
	s_or_b64 s[22:23], vcc, s[22:23]
	s_waitcnt vmcnt(1)
	v_cvt_f32_f16_e32 v4, v14
	v_cvt_f32_f16_sdwa v5, v14 dst_sel:DWORD dst_unused:UNUSED_PAD src0_sel:WORD_1
	v_cvt_f32_f16_e32 v6, v15
	v_cvt_f32_f16_sdwa v7, v15 dst_sel:DWORD dst_unused:UNUSED_PAD src0_sel:WORD_1
	s_waitcnt vmcnt(0)
	v_cvt_f32_f16_e64 v14, -v16
	v_cvt_f32_f16_sdwa v15, -v16 dst_sel:DWORD dst_unused:UNUSED_PAD src0_sel:WORD_1
	v_cvt_f32_f16_e64 v18, -v17
	v_cvt_f32_f16_sdwa v19, -v17 dst_sel:DWORD dst_unused:UNUSED_PAD src0_sel:WORD_1
	v_mul_f32_e32 v20, 0x3fb8aa3b, v14
	v_mul_f32_e32 v21, 0x3fb8aa3b, v15
	v_fma_mix_f32 v24, -v16, s27, -v20 op_sel_hi:[1,0,0]
	v_rndne_f32_e32 v25, v20
	v_fma_mix_f32 v26, -v16, s27, -v21 op_sel:[1,0,0] op_sel_hi:[1,0,0]
	v_rndne_f32_e32 v27, v21
	v_mul_f32_e32 v22, 0x3fb8aa3b, v18
	v_mul_f32_e32 v23, 0x3fb8aa3b, v19
	v_fma_mix_f32 v24, -v16, s28, v24 op_sel_hi:[1,0,0]
	v_sub_f32_e32 v20, v20, v25
	v_fma_mix_f32 v16, -v16, s28, v26 op_sel:[1,0,0] op_sel_hi:[1,0,0]
	v_sub_f32_e32 v21, v21, v27
	v_fma_mix_f32 v28, -v17, s27, -v22 op_sel_hi:[1,0,0]
	v_rndne_f32_e32 v29, v22
	v_fma_mix_f32 v30, -v17, s27, -v23 op_sel:[1,0,0] op_sel_hi:[1,0,0]
	v_rndne_f32_e32 v31, v23
	v_add_f32_e32 v20, v20, v24
	v_add_f32_e32 v16, v21, v16
	v_cvt_i32_f32_e32 v25, v25
	v_cvt_i32_f32_e32 v26, v27
	v_fma_mix_f32 v27, -v17, s28, v28 op_sel_hi:[1,0,0]
	v_sub_f32_e32 v22, v22, v29
	v_fma_mix_f32 v17, -v17, s28, v30 op_sel:[1,0,0] op_sel_hi:[1,0,0]
	v_sub_f32_e32 v23, v23, v31
	v_exp_f32_e32 v20, v20
	v_exp_f32_e32 v16, v16
	v_add_f32_e32 v21, v22, v27
	v_add_f32_e32 v17, v23, v17
	v_cvt_i32_f32_e32 v28, v29
	v_cvt_i32_f32_e32 v29, v31
	v_exp_f32_e32 v21, v21
	v_exp_f32_e32 v17, v17
	v_ldexp_f32 v20, v20, v25
	v_ldexp_f32 v16, v16, v26
	v_cmp_ngt_f32_e32 vcc, s29, v15
	v_cmp_ngt_f32_e64 s[10:11], s29, v14
	v_cndmask_b32_e64 v20, 0, v20, s[10:11]
	v_cndmask_b32_e32 v16, 0, v16, vcc
	v_cmp_nlt_f32_e32 vcc, s30, v15
	v_cmp_nlt_f32_e64 s[10:11], s30, v14
	v_ldexp_f32 v21, v21, v28
	v_cmp_ngt_f32_e64 s[2:3], s29, v18
	v_ldexp_f32 v17, v17, v29
	v_cmp_ngt_f32_e64 s[8:9], s29, v19
	v_cndmask_b32_e64 v14, v11, v20, s[10:11]
	v_cndmask_b32_e32 v15, v11, v16, vcc
	v_cndmask_b32_e64 v21, 0, v21, s[2:3]
	v_cmp_nlt_f32_e64 s[2:3], s30, v18
	v_cndmask_b32_e64 v17, 0, v17, s[8:9]
	v_cmp_nlt_f32_e64 s[8:9], s30, v19
	v_pk_add_f32 v[14:15], v[14:15], 1.0 op_sel_hi:[1,0]
	v_cndmask_b32_e64 v16, v11, v21, s[2:3]
	v_cndmask_b32_e64 v17, v11, v17, s[8:9]
	v_div_scale_f32 v18, s[2:3], v15, v15, 1.0
	v_pk_add_f32 v[16:17], v[16:17], 1.0 op_sel_hi:[1,0]
	v_div_scale_f32 v20, s[2:3], v14, v14, 1.0
	v_rcp_f32_e32 v26, v18
	v_div_scale_f32 v22, s[8:9], v17, v17, 1.0
	v_rcp_f32_e32 v27, v20
	;; [unrolled: 2-line block ×3, first 2 shown]
	v_rcp_f32_e32 v29, v24
	v_fma_f32 v30, -v18, v26, 1.0
	v_div_scale_f32 v19, vcc, 1.0, v15, 1.0
	v_fma_f32 v31, -v20, v27, 1.0
	v_fmac_f32_e32 v26, v30, v26
	v_div_scale_f32 v21, s[2:3], 1.0, v14, 1.0
	v_fma_f32 v32, -v22, v28, 1.0
	v_fmac_f32_e32 v27, v31, v27
	v_mul_f32_e32 v30, v19, v26
	v_div_scale_f32 v23, s[8:9], 1.0, v17, 1.0
	v_fma_f32 v33, -v24, v29, 1.0
	v_fmac_f32_e32 v28, v32, v28
	v_mul_f32_e32 v31, v21, v27
	v_fma_f32 v34, -v18, v30, v19
	v_div_scale_f32 v25, s[10:11], 1.0, v16, 1.0
	v_fmac_f32_e32 v29, v33, v29
	v_mul_f32_e32 v32, v23, v28
	v_fma_f32 v35, -v20, v31, v21
	v_fmac_f32_e32 v30, v34, v26
	v_mul_f32_e32 v33, v25, v29
	v_fma_f32 v36, -v22, v32, v23
	v_fmac_f32_e32 v31, v35, v27
	v_fma_f32 v18, -v18, v30, v19
	v_fma_f32 v37, -v24, v33, v25
	v_fmac_f32_e32 v32, v36, v28
	v_fma_f32 v19, -v20, v31, v21
	v_div_fmas_f32 v18, v18, v26, v30
	s_mov_b64 vcc, s[2:3]
	v_fmac_f32_e32 v33, v37, v29
	v_fma_f32 v20, -v22, v32, v23
	v_div_fixup_f32 v15, v18, v15, 1.0
	v_div_fmas_f32 v18, v19, v27, v31
	s_mov_b64 vcc, s[8:9]
	v_fma_f32 v21, -v24, v33, v25
	v_div_fixup_f32 v14, v18, v14, 1.0
	v_div_fmas_f32 v18, v20, v28, v32
	s_mov_b64 vcc, s[10:11]
	v_div_fixup_f32 v17, v18, v17, 1.0
	v_div_fmas_f32 v18, v21, v29, v33
	v_div_fixup_f32 v16, v18, v16, 1.0
	v_pk_add_f32 v[4:5], v[14:15], v[4:5]
	v_pk_add_f32 v[6:7], v[16:17], v[6:7]
	ds_write_b128 v8, v[4:7]
	v_add_u32_e32 v8, s26, v8
	s_andn2_b64 exec, exec, s[22:23]
	s_cbranch_execnz .LBB77_2
.LBB77_3:
	s_or_b64 exec, exec, s[20:21]
	s_cmp_lt_i32 s17, 1
	s_waitcnt lgkmcnt(0)
	s_barrier
	s_cbranch_scc1 .LBB77_10
; %bb.4:
	s_add_u32 s2, s4, 64
	s_addc_u32 s3, s5, 0
	v_lshlrev_b32_e32 v5, 2, v0
	s_mov_b32 s16, 0
	v_mov_b32_e32 v6, 0
	v_mov_b32_e32 v7, 0xff800000
	;; [unrolled: 1-line block ×3, first 2 shown]
                                        ; implicit-def: $vgpr2
                                        ; implicit-def: $vgpr1
	s_branch .LBB77_6
.LBB77_5:                               ;   in Loop: Header=BB77_6 Depth=1
	s_or_b64 exec, exec, s[8:9]
	v_mov_b32_dpp v11, v9 quad_perm:[1,0,3,2] row_mask:0xf bank_mask:0xf
	v_cmp_lt_f32_e32 vcc, v9, v11
	v_cndmask_b32_e32 v9, v9, v11, vcc
	v_mov_b32_dpp v10, v8 quad_perm:[1,0,3,2] row_mask:0xf bank_mask:0xf
	v_cndmask_b32_e32 v8, v8, v10, vcc
	v_mov_b32_dpp v11, v9 quad_perm:[2,3,0,1] row_mask:0xf bank_mask:0xf
	v_cmp_gt_f32_e32 vcc, v11, v9
	v_cndmask_b32_e32 v9, v9, v11, vcc
	v_mov_b32_dpp v10, v8 quad_perm:[2,3,0,1] row_mask:0xf bank_mask:0xf
	v_cndmask_b32_e32 v8, v8, v10, vcc
	v_mov_b32_dpp v11, v9 row_half_mirror row_mask:0xf bank_mask:0xf
	v_cmp_gt_f32_e32 vcc, v11, v9
	v_cndmask_b32_e32 v9, v9, v11, vcc
	v_mov_b32_dpp v10, v8 row_half_mirror row_mask:0xf bank_mask:0xf
	v_cndmask_b32_e32 v8, v8, v10, vcc
	v_mov_b32_dpp v11, v9 row_mirror row_mask:0xf bank_mask:0xf
	v_cmp_gt_f32_e32 vcc, v11, v9
	v_cndmask_b32_e32 v9, v9, v11, vcc
	v_mov_b32_dpp v10, v8 row_mirror row_mask:0xf bank_mask:0xf
	v_cndmask_b32_e32 v8, v8, v10, vcc
	v_mov_b32_dpp v11, v9 row_bcast:15 row_mask:0xf bank_mask:0xf
	v_cmp_gt_f32_e32 vcc, v11, v9
	v_mov_b32_dpp v10, v8 row_bcast:15 row_mask:0xf bank_mask:0xf
	v_cndmask_b32_e32 v9, v9, v11, vcc
	v_cndmask_b32_e32 v8, v8, v10, vcc
	s_nop 0
	v_mov_b32_dpp v11, v9 row_bcast:31 row_mask:0xf bank_mask:0xf
	v_mov_b32_dpp v10, v8 row_bcast:31 row_mask:0xf bank_mask:0xf
	v_cmp_gt_f32_e32 vcc, v11, v9
	v_cndmask_b32_e32 v8, v8, v10, vcc
	v_readlane_b32 s8, v8, 63
	s_ashr_i32 s9, s8, 31
	s_lshl_b64 s[10:11], s[8:9], 1
	s_add_u32 s10, s12, s10
	s_addc_u32 s11, s13, s11
	global_load_ushort v8, v6, s[10:11]
	v_cndmask_b32_e32 v9, v9, v11, vcc
	v_readlane_b32 s9, v9, 63
	v_mov_b32_e32 v9, s8
	s_lshl_b32 s8, s8, 2
	v_cmp_eq_u32_e32 vcc, s16, v0
	s_add_i32 s16, s16, 1
	s_add_i32 s8, s8, 0
	v_cndmask_b32_e32 v1, v1, v9, vcc
	v_mov_b32_e32 v9, s8
	s_cmp_eq_u32 s16, s17
	ds_write_b32 v9, v7
	s_waitcnt vmcnt(0)
	v_cvt_f32_f16_e32 v8, v8
	v_sub_f32_e32 v8, s9, v8
	v_cndmask_b32_e32 v2, v2, v8, vcc
	v_add_f32_e32 v4, v4, v8
	s_cbranch_scc1 .LBB77_11
.LBB77_6:                               ; =>This Loop Header: Depth=1
                                        ;     Child Loop BB77_8 Depth 2
	v_mov_b32_e32 v8, s16
	v_mov_b32_e32 v9, 0xff800000
	s_and_saveexec_b64 s[8:9], s[0:1]
	s_cbranch_execz .LBB77_5
; %bb.7:                                ;   in Loop: Header=BB77_6 Depth=1
	s_load_dword s20, s[2:3], 0xc
	s_mov_b64 s[10:11], 0
	v_mov_b32_e32 v8, s16
	v_mov_b32_e32 v9, 0xff800000
	;; [unrolled: 1-line block ×3, first 2 shown]
	s_waitcnt lgkmcnt(0)
	s_and_b32 s20, s20, 0xffff
	s_lshl_b32 s21, s20, 2
	s_lshl_b32 s22, s20, 4
	v_mov_b32_e32 v11, v5
	v_mov_b32_e32 v12, v0
.LBB77_8:                               ;   Parent Loop BB77_6 Depth=1
                                        ; =>  This Inner Loop Header: Depth=2
	ds_read_b128 v[14:17], v10
	v_add_u32_e32 v12, s20, v12
	v_cmp_le_i32_e32 vcc, s7, v12
	s_or_b64 s[10:11], vcc, s[10:11]
	v_add_u32_e32 v13, 1, v11
	s_waitcnt lgkmcnt(0)
	v_cmp_gt_f32_e32 vcc, v14, v9
	v_cndmask_b32_e32 v9, v9, v14, vcc
	v_cndmask_b32_e32 v8, v8, v11, vcc
	v_cmp_gt_f32_e32 vcc, v15, v9
	v_cndmask_b32_e32 v9, v9, v15, vcc
	v_cndmask_b32_e32 v8, v8, v13, vcc
	v_cmp_gt_f32_e32 vcc, v16, v9
	v_add_u32_e32 v18, 2, v11
	v_cndmask_b32_e32 v9, v9, v16, vcc
	v_add_u32_e32 v19, 3, v11
	v_cndmask_b32_e32 v8, v8, v18, vcc
	v_cmp_gt_f32_e32 vcc, v17, v9
	v_add_u32_e32 v10, s22, v10
	v_add_u32_e32 v11, s21, v11
	v_cndmask_b32_e32 v9, v9, v17, vcc
	v_cndmask_b32_e32 v8, v8, v19, vcc
	s_andn2_b64 exec, exec, s[10:11]
	s_cbranch_execnz .LBB77_8
; %bb.9:                                ;   in Loop: Header=BB77_6 Depth=1
	s_or_b64 exec, exec, s[10:11]
	s_branch .LBB77_5
.LBB77_10:
	v_mov_b32_e32 v4, 0
                                        ; implicit-def: $vgpr2
                                        ; implicit-def: $vgpr1
.LBB77_11:
	v_cmp_gt_i32_e32 vcc, s17, v0
	s_and_saveexec_b64 s[0:1], vcc
	s_cbranch_execz .LBB77_14
; %bb.12:
	s_load_dword s7, s[4:5], 0x38
	s_load_dwordx2 s[0:1], s[4:5], 0x20
	s_load_dword s8, s[4:5], 0x4c
	s_waitcnt lgkmcnt(0)
	v_div_scale_f32 v3, s[2:3], v4, v4, s7
	v_rcp_f32_e32 v5, v3
	v_div_scale_f32 v6, vcc, s7, v4, s7
	s_ashr_i32 s2, s6, 31
	v_fma_f32 v7, -v3, v5, 1.0
	v_fmac_f32_e32 v5, v7, v5
	v_mul_f32_e32 v7, v6, v5
	v_fma_f32 v8, -v3, v7, v6
	v_fmac_f32_e32 v7, v8, v5
	v_fma_f32 v3, -v3, v7, v6
	s_mul_i32 s1, s6, s1
	s_mul_hi_u32 s3, s6, s0
	v_div_fmas_f32 v3, v3, v5, v7
	s_add_i32 s1, s3, s1
	s_mul_i32 s2, s2, s0
	v_div_fixup_f32 v3, v3, v4, s7
	s_add_i32 s4, s1, s2
	v_mul_f32_e32 v2, v3, v2
	s_mul_i32 s2, s6, s0
	s_and_b32 s3, s8, 0xffff
	s_mov_b64 s[0:1], 0
	v_mov_b32_e32 v3, s4
	v_mov_b32_e32 v4, s15
	v_mov_b32_e32 v5, s19
.LBB77_13:                              ; =>This Inner Loop Header: Depth=1
	v_ashrrev_i32_e32 v7, 31, v0
	v_add_co_u32_e32 v6, vcc, s2, v0
	v_addc_co_u32_e32 v7, vcc, v3, v7, vcc
	v_add_u32_e32 v0, s3, v0
	v_cmp_le_i32_e32 vcc, s17, v0
	v_lshlrev_b64 v[6:7], 2, v[6:7]
	s_or_b64 s[0:1], vcc, s[0:1]
	v_add_co_u32_e32 v8, vcc, s14, v6
	v_addc_co_u32_e32 v9, vcc, v4, v7, vcc
	v_add_co_u32_e32 v6, vcc, s18, v6
	v_addc_co_u32_e32 v7, vcc, v5, v7, vcc
	global_store_dword v[8:9], v2, off
	global_store_dword v[6:7], v1, off
	s_andn2_b64 exec, exec, s[0:1]
	s_cbranch_execnz .LBB77_13
.LBB77_14:
	s_endpgm
	.section	.rodata,"a",@progbits
	.p2align	6, 0x0
	.amdhsa_kernel _ZN5aiter19grouped_topk_kernelIN3c104HalfEDv4_fLi1ELb1ELb1ELb0EEEvPT_PKS4_PfPimiiiif
		.amdhsa_group_segment_fixed_size 0
		.amdhsa_private_segment_fixed_size 0
		.amdhsa_kernarg_size 320
		.amdhsa_user_sgpr_count 6
		.amdhsa_user_sgpr_private_segment_buffer 1
		.amdhsa_user_sgpr_dispatch_ptr 0
		.amdhsa_user_sgpr_queue_ptr 0
		.amdhsa_user_sgpr_kernarg_segment_ptr 1
		.amdhsa_user_sgpr_dispatch_id 0
		.amdhsa_user_sgpr_flat_scratch_init 0
		.amdhsa_user_sgpr_kernarg_preload_length 0
		.amdhsa_user_sgpr_kernarg_preload_offset 0
		.amdhsa_user_sgpr_private_segment_size 0
		.amdhsa_uses_dynamic_stack 0
		.amdhsa_system_sgpr_private_segment_wavefront_offset 0
		.amdhsa_system_sgpr_workgroup_id_x 1
		.amdhsa_system_sgpr_workgroup_id_y 0
		.amdhsa_system_sgpr_workgroup_id_z 0
		.amdhsa_system_sgpr_workgroup_info 0
		.amdhsa_system_vgpr_workitem_id 0
		.amdhsa_next_free_vgpr 38
		.amdhsa_next_free_sgpr 31
		.amdhsa_accum_offset 40
		.amdhsa_reserve_vcc 1
		.amdhsa_reserve_flat_scratch 0
		.amdhsa_float_round_mode_32 0
		.amdhsa_float_round_mode_16_64 0
		.amdhsa_float_denorm_mode_32 3
		.amdhsa_float_denorm_mode_16_64 3
		.amdhsa_dx10_clamp 1
		.amdhsa_ieee_mode 1
		.amdhsa_fp16_overflow 0
		.amdhsa_tg_split 0
		.amdhsa_exception_fp_ieee_invalid_op 0
		.amdhsa_exception_fp_denorm_src 0
		.amdhsa_exception_fp_ieee_div_zero 0
		.amdhsa_exception_fp_ieee_overflow 0
		.amdhsa_exception_fp_ieee_underflow 0
		.amdhsa_exception_fp_ieee_inexact 0
		.amdhsa_exception_int_div_zero 0
	.end_amdhsa_kernel
	.section	.text._ZN5aiter19grouped_topk_kernelIN3c104HalfEDv4_fLi1ELb1ELb1ELb0EEEvPT_PKS4_PfPimiiiif,"axG",@progbits,_ZN5aiter19grouped_topk_kernelIN3c104HalfEDv4_fLi1ELb1ELb1ELb0EEEvPT_PKS4_PfPimiiiif,comdat
.Lfunc_end77:
	.size	_ZN5aiter19grouped_topk_kernelIN3c104HalfEDv4_fLi1ELb1ELb1ELb0EEEvPT_PKS4_PfPimiiiif, .Lfunc_end77-_ZN5aiter19grouped_topk_kernelIN3c104HalfEDv4_fLi1ELb1ELb1ELb0EEEvPT_PKS4_PfPimiiiif
                                        ; -- End function
	.section	.AMDGPU.csdata,"",@progbits
; Kernel info:
; codeLenInByte = 1760
; NumSgprs: 35
; NumVgprs: 38
; NumAgprs: 0
; TotalNumVgprs: 38
; ScratchSize: 0
; MemoryBound: 0
; FloatMode: 240
; IeeeMode: 1
; LDSByteSize: 0 bytes/workgroup (compile time only)
; SGPRBlocks: 4
; VGPRBlocks: 4
; NumSGPRsForWavesPerEU: 35
; NumVGPRsForWavesPerEU: 38
; AccumOffset: 40
; Occupancy: 8
; WaveLimiterHint : 0
; COMPUTE_PGM_RSRC2:SCRATCH_EN: 0
; COMPUTE_PGM_RSRC2:USER_SGPR: 6
; COMPUTE_PGM_RSRC2:TRAP_HANDLER: 0
; COMPUTE_PGM_RSRC2:TGID_X_EN: 1
; COMPUTE_PGM_RSRC2:TGID_Y_EN: 0
; COMPUTE_PGM_RSRC2:TGID_Z_EN: 0
; COMPUTE_PGM_RSRC2:TIDIG_COMP_CNT: 0
; COMPUTE_PGM_RSRC3_GFX90A:ACCUM_OFFSET: 9
; COMPUTE_PGM_RSRC3_GFX90A:TG_SPLIT: 0
	.section	.text._ZN5aiter19grouped_topk_kernelIN3c108BFloat16EDv4_fLi1ELb1ELb1ELb0EEEvPT_PKS4_PfPimiiiif,"axG",@progbits,_ZN5aiter19grouped_topk_kernelIN3c108BFloat16EDv4_fLi1ELb1ELb1ELb0EEEvPT_PKS4_PfPimiiiif,comdat
	.protected	_ZN5aiter19grouped_topk_kernelIN3c108BFloat16EDv4_fLi1ELb1ELb1ELb0EEEvPT_PKS4_PfPimiiiif ; -- Begin function _ZN5aiter19grouped_topk_kernelIN3c108BFloat16EDv4_fLi1ELb1ELb1ELb0EEEvPT_PKS4_PfPimiiiif
	.globl	_ZN5aiter19grouped_topk_kernelIN3c108BFloat16EDv4_fLi1ELb1ELb1ELb0EEEvPT_PKS4_PfPimiiiif
	.p2align	8
	.type	_ZN5aiter19grouped_topk_kernelIN3c108BFloat16EDv4_fLi1ELb1ELb1ELb0EEEvPT_PKS4_PfPimiiiif,@function
_ZN5aiter19grouped_topk_kernelIN3c108BFloat16EDv4_fLi1ELb1ELb1ELb0EEEvPT_PKS4_PfPimiiiif: ; @_ZN5aiter19grouped_topk_kernelIN3c108BFloat16EDv4_fLi1ELb1ELb1ELb0EEEvPT_PKS4_PfPimiiiif
; %bb.0:
	s_load_dwordx2 s[16:17], s[4:5], 0x28
	s_load_dwordx4 s[12:15], s[4:5], 0x8
	s_load_dwordx2 s[18:19], s[4:5], 0x18
	v_lshl_add_u32 v3, v0, 4, 0
	s_waitcnt lgkmcnt(0)
	s_ashr_i32 s0, s16, 31
	s_lshr_b32 s0, s0, 30
	s_add_i32 s0, s16, s0
	s_ashr_i32 s7, s0, 2
	v_cmp_gt_i32_e64 s[0:1], s7, v0
	s_and_saveexec_b64 s[20:21], s[0:1]
	s_cbranch_execz .LBB78_3
; %bb.1:
	s_load_dwordx2 s[2:3], s[4:5], 0x0
	s_load_dword s10, s[4:5], 0x4c
	s_mul_i32 s8, s6, s16
	s_ashr_i32 s9, s8, 31
	s_lshl_b64 s[8:9], s[8:9], 1
	s_waitcnt lgkmcnt(0)
	s_add_u32 s16, s2, s8
	s_addc_u32 s2, s3, s9
	s_and_b32 s24, s10, 0xffff
	s_mov_b32 s3, 0
	v_lshlrev_b32_e32 v2, 3, v0
	v_mov_b32_e32 v1, 0
	s_lshl_b32 s25, s24, 3
	v_lshl_add_u32 v8, v0, 4, 0
	s_lshl_b32 s26, s24, 4
	s_mov_b64 s[22:23], 0
	v_mov_b32_e32 v9, s2
	v_mov_b32_e32 v10, s13
	s_mov_b32 s27, 0xbfb8aa3b
	s_mov_b32 s28, 0x42ce8ed0
	;; [unrolled: 1-line block ×3, first 2 shown]
	v_mov_b32_e32 v11, 0x7f800000
	v_mov_b32_e32 v12, s3
	;; [unrolled: 1-line block ×3, first 2 shown]
.LBB78_2:                               ; =>This Inner Loop Header: Depth=1
	v_add_co_u32_e32 v4, vcc, s16, v2
	v_addc_co_u32_e32 v5, vcc, v9, v1, vcc
	v_add_co_u32_e32 v6, vcc, s12, v2
	v_addc_co_u32_e32 v7, vcc, v10, v1, vcc
	global_load_dwordx2 v[14:15], v[4:5], off
	global_load_dwordx2 v[16:17], v[6:7], off
	v_add_co_u32_e32 v2, vcc, s25, v2
	v_add_u32_e32 v13, s24, v13
	v_addc_co_u32_e32 v1, vcc, v1, v12, vcc
	v_cmp_le_i32_e32 vcc, s7, v13
	s_or_b64 s[22:23], vcc, s[22:23]
	s_waitcnt vmcnt(1)
	v_cvt_f32_u32_sdwa v18, v14 dst_sel:DWORD dst_unused:UNUSED_PAD src0_sel:WORD_0
	v_cvt_f32_u32_sdwa v14, v14 dst_sel:DWORD dst_unused:UNUSED_PAD src0_sel:WORD_1
	s_waitcnt vmcnt(0)
	v_cvt_f32_u32_sdwa v5, v16 dst_sel:DWORD dst_unused:UNUSED_PAD src0_sel:WORD_1
	v_cvt_f32_u32_sdwa v4, v16 dst_sel:DWORD dst_unused:UNUSED_PAD src0_sel:WORD_0
	v_cvt_f32_u32_sdwa v16, v15 dst_sel:DWORD dst_unused:UNUSED_PAD src0_sel:WORD_0
	v_cvt_f32_u32_sdwa v15, v15 dst_sel:DWORD dst_unused:UNUSED_PAD src0_sel:WORD_1
	v_cvt_f32_u32_sdwa v7, v17 dst_sel:DWORD dst_unused:UNUSED_PAD src0_sel:WORD_1
	v_cvt_f32_u32_sdwa v6, v17 dst_sel:DWORD dst_unused:UNUSED_PAD src0_sel:WORD_0
	v_mul_f32_e32 v17, 0xbfb8aa3b, v14
	v_mul_f32_e32 v19, 0xbfb8aa3b, v18
	;; [unrolled: 1-line block ×3, first 2 shown]
	v_fma_f32 v22, v14, s27, -v17
	v_rndne_f32_e32 v23, v17
	v_fma_f32 v24, v18, s27, -v19
	v_rndne_f32_e32 v25, v19
	v_mul_f32_e32 v21, 0xbfb8aa3b, v16
	v_fma_f32 v26, v15, s27, -v20
	v_rndne_f32_e32 v27, v20
	v_fmac_f32_e32 v22, 0xb2a5705f, v14
	v_sub_f32_e32 v17, v17, v23
	v_fmac_f32_e32 v24, 0xb2a5705f, v18
	v_sub_f32_e32 v19, v19, v25
	v_fma_f32 v28, v16, s27, -v21
	v_rndne_f32_e32 v29, v21
	v_fmac_f32_e32 v26, 0xb2a5705f, v15
	v_sub_f32_e32 v20, v20, v27
	v_add_f32_e32 v17, v17, v22
	v_add_f32_e32 v19, v19, v24
	v_cvt_i32_f32_e32 v23, v23
	v_cvt_i32_f32_e32 v25, v25
	v_fmac_f32_e32 v28, 0xb2a5705f, v16
	v_sub_f32_e32 v21, v21, v29
	v_add_f32_e32 v20, v20, v26
	v_exp_f32_e32 v17, v17
	v_exp_f32_e32 v19, v19
	v_cvt_i32_f32_e32 v27, v27
	v_add_f32_e32 v21, v21, v28
	v_exp_f32_e32 v20, v20
	v_cvt_i32_f32_e32 v29, v29
	v_exp_f32_e32 v21, v21
	v_ldexp_f32 v17, v17, v23
	v_ldexp_f32 v19, v19, v25
	v_cmp_nlt_f32_e32 vcc, s28, v18
	v_cmp_nlt_f32_e64 s[10:11], s28, v14
	v_ldexp_f32 v20, v20, v27
	v_cmp_nlt_f32_e64 s[2:3], s28, v15
	v_cndmask_b32_e64 v17, 0, v17, s[10:11]
	v_cndmask_b32_e32 v19, 0, v19, vcc
	v_cmp_ngt_f32_e32 vcc, s29, v18
	v_cmp_ngt_f32_e64 s[10:11], s29, v14
	v_ldexp_f32 v21, v21, v29
	v_cmp_nlt_f32_e64 s[8:9], s28, v16
	v_cndmask_b32_e64 v18, 0, v20, s[2:3]
	v_cmp_ngt_f32_e64 s[2:3], s29, v15
	v_cndmask_b32_e64 v15, v11, v17, s[10:11]
	v_cndmask_b32_e32 v14, v11, v19, vcc
	v_cndmask_b32_e64 v20, 0, v21, s[8:9]
	v_cmp_ngt_f32_e64 s[8:9], s29, v16
	v_pk_add_f32 v[14:15], v[14:15], 1.0 op_sel_hi:[1,0]
	v_cndmask_b32_e64 v17, v11, v18, s[2:3]
	v_cndmask_b32_e64 v16, v11, v20, s[8:9]
	v_div_scale_f32 v18, s[2:3], v15, v15, 1.0
	v_pk_add_f32 v[16:17], v[16:17], 1.0 op_sel_hi:[1,0]
	v_div_scale_f32 v20, s[2:3], v14, v14, 1.0
	v_rcp_f32_e32 v26, v18
	v_div_scale_f32 v22, s[8:9], v17, v17, 1.0
	v_rcp_f32_e32 v27, v20
	;; [unrolled: 2-line block ×3, first 2 shown]
	v_rcp_f32_e32 v29, v24
	v_fma_f32 v30, -v18, v26, 1.0
	v_div_scale_f32 v19, vcc, 1.0, v15, 1.0
	v_fma_f32 v31, -v20, v27, 1.0
	v_fmac_f32_e32 v26, v30, v26
	v_div_scale_f32 v21, s[2:3], 1.0, v14, 1.0
	v_fma_f32 v32, -v22, v28, 1.0
	v_fmac_f32_e32 v27, v31, v27
	v_mul_f32_e32 v30, v19, v26
	v_div_scale_f32 v23, s[8:9], 1.0, v17, 1.0
	v_fma_f32 v33, -v24, v29, 1.0
	v_fmac_f32_e32 v28, v32, v28
	v_mul_f32_e32 v31, v21, v27
	v_fma_f32 v34, -v18, v30, v19
	v_div_scale_f32 v25, s[10:11], 1.0, v16, 1.0
	v_fmac_f32_e32 v29, v33, v29
	v_mul_f32_e32 v32, v23, v28
	v_fma_f32 v35, -v20, v31, v21
	v_fmac_f32_e32 v30, v34, v26
	v_mul_f32_e32 v33, v25, v29
	v_fma_f32 v36, -v22, v32, v23
	v_fmac_f32_e32 v31, v35, v27
	v_fma_f32 v18, -v18, v30, v19
	v_fma_f32 v37, -v24, v33, v25
	v_fmac_f32_e32 v32, v36, v28
	v_fma_f32 v19, -v20, v31, v21
	v_div_fmas_f32 v18, v18, v26, v30
	s_mov_b64 vcc, s[2:3]
	v_fmac_f32_e32 v33, v37, v29
	v_fma_f32 v20, -v22, v32, v23
	v_div_fixup_f32 v15, v18, v15, 1.0
	v_div_fmas_f32 v18, v19, v27, v31
	s_mov_b64 vcc, s[8:9]
	v_fma_f32 v21, -v24, v33, v25
	v_div_fixup_f32 v14, v18, v14, 1.0
	v_div_fmas_f32 v18, v20, v28, v32
	s_mov_b64 vcc, s[10:11]
	v_div_fixup_f32 v17, v18, v17, 1.0
	v_div_fmas_f32 v18, v21, v29, v33
	v_div_fixup_f32 v16, v18, v16, 1.0
	v_pk_add_f32 v[4:5], v[14:15], v[4:5]
	v_pk_add_f32 v[6:7], v[16:17], v[6:7]
	ds_write_b128 v8, v[4:7]
	v_add_u32_e32 v8, s26, v8
	s_andn2_b64 exec, exec, s[22:23]
	s_cbranch_execnz .LBB78_2
.LBB78_3:
	s_or_b64 exec, exec, s[20:21]
	s_cmp_lt_i32 s17, 1
	s_waitcnt lgkmcnt(0)
	s_barrier
	s_cbranch_scc1 .LBB78_10
; %bb.4:
	s_add_u32 s2, s4, 64
	s_addc_u32 s3, s5, 0
	v_lshlrev_b32_e32 v5, 2, v0
	s_mov_b32 s16, 0
	v_mov_b32_e32 v6, 0
	v_mov_b32_e32 v7, 0xff800000
	;; [unrolled: 1-line block ×3, first 2 shown]
                                        ; implicit-def: $vgpr2
                                        ; implicit-def: $vgpr1
	s_branch .LBB78_6
.LBB78_5:                               ;   in Loop: Header=BB78_6 Depth=1
	s_or_b64 exec, exec, s[8:9]
	v_mov_b32_dpp v11, v9 quad_perm:[1,0,3,2] row_mask:0xf bank_mask:0xf
	v_cmp_lt_f32_e32 vcc, v9, v11
	v_cndmask_b32_e32 v9, v9, v11, vcc
	v_mov_b32_dpp v10, v8 quad_perm:[1,0,3,2] row_mask:0xf bank_mask:0xf
	v_cndmask_b32_e32 v8, v8, v10, vcc
	v_mov_b32_dpp v11, v9 quad_perm:[2,3,0,1] row_mask:0xf bank_mask:0xf
	v_cmp_gt_f32_e32 vcc, v11, v9
	v_cndmask_b32_e32 v9, v9, v11, vcc
	v_mov_b32_dpp v10, v8 quad_perm:[2,3,0,1] row_mask:0xf bank_mask:0xf
	v_cndmask_b32_e32 v8, v8, v10, vcc
	v_mov_b32_dpp v11, v9 row_half_mirror row_mask:0xf bank_mask:0xf
	v_cmp_gt_f32_e32 vcc, v11, v9
	v_cndmask_b32_e32 v9, v9, v11, vcc
	v_mov_b32_dpp v10, v8 row_half_mirror row_mask:0xf bank_mask:0xf
	v_cndmask_b32_e32 v8, v8, v10, vcc
	v_mov_b32_dpp v11, v9 row_mirror row_mask:0xf bank_mask:0xf
	v_cmp_gt_f32_e32 vcc, v11, v9
	v_cndmask_b32_e32 v9, v9, v11, vcc
	v_mov_b32_dpp v10, v8 row_mirror row_mask:0xf bank_mask:0xf
	v_cndmask_b32_e32 v8, v8, v10, vcc
	v_mov_b32_dpp v11, v9 row_bcast:15 row_mask:0xf bank_mask:0xf
	v_cmp_gt_f32_e32 vcc, v11, v9
	v_mov_b32_dpp v10, v8 row_bcast:15 row_mask:0xf bank_mask:0xf
	v_cndmask_b32_e32 v9, v9, v11, vcc
	v_cndmask_b32_e32 v8, v8, v10, vcc
	s_nop 0
	v_mov_b32_dpp v11, v9 row_bcast:31 row_mask:0xf bank_mask:0xf
	v_mov_b32_dpp v10, v8 row_bcast:31 row_mask:0xf bank_mask:0xf
	v_cmp_gt_f32_e32 vcc, v11, v9
	v_cndmask_b32_e32 v8, v8, v10, vcc
	v_readlane_b32 s8, v8, 63
	s_ashr_i32 s9, s8, 31
	s_lshl_b64 s[10:11], s[8:9], 1
	s_add_u32 s10, s12, s10
	s_addc_u32 s11, s13, s11
	global_load_ushort v8, v6, s[10:11]
	v_cndmask_b32_e32 v9, v9, v11, vcc
	v_readlane_b32 s9, v9, 63
	v_mov_b32_e32 v9, s8
	s_lshl_b32 s8, s8, 2
	v_cmp_eq_u32_e32 vcc, s16, v0
	s_add_i32 s8, s8, 0
	v_cndmask_b32_e32 v1, v1, v9, vcc
	v_mov_b32_e32 v9, s8
	ds_write_b32 v9, v7
	s_add_i32 s16, s16, 1
	s_cmp_eq_u32 s16, s17
	s_waitcnt vmcnt(0)
	v_and_b32_e32 v9, 0xff, v8
	v_lshlrev_b32_e32 v8, 16, v8
	v_lshlrev_b32_e32 v9, 16, v9
	v_and_b32_e32 v8, 0xff000000, v8
	v_or_b32_e32 v8, v9, v8
	v_sub_f32_e32 v8, s9, v8
	v_cndmask_b32_e32 v2, v2, v8, vcc
	v_add_f32_e32 v4, v4, v8
	s_cbranch_scc1 .LBB78_11
.LBB78_6:                               ; =>This Loop Header: Depth=1
                                        ;     Child Loop BB78_8 Depth 2
	v_mov_b32_e32 v8, s16
	v_mov_b32_e32 v9, 0xff800000
	s_and_saveexec_b64 s[8:9], s[0:1]
	s_cbranch_execz .LBB78_5
; %bb.7:                                ;   in Loop: Header=BB78_6 Depth=1
	s_load_dword s20, s[2:3], 0xc
	s_mov_b64 s[10:11], 0
	v_mov_b32_e32 v8, s16
	v_mov_b32_e32 v9, 0xff800000
	;; [unrolled: 1-line block ×3, first 2 shown]
	s_waitcnt lgkmcnt(0)
	s_and_b32 s20, s20, 0xffff
	s_lshl_b32 s21, s20, 2
	s_lshl_b32 s22, s20, 4
	v_mov_b32_e32 v11, v5
	v_mov_b32_e32 v12, v0
.LBB78_8:                               ;   Parent Loop BB78_6 Depth=1
                                        ; =>  This Inner Loop Header: Depth=2
	ds_read_b128 v[14:17], v10
	v_add_u32_e32 v12, s20, v12
	v_cmp_le_i32_e32 vcc, s7, v12
	s_or_b64 s[10:11], vcc, s[10:11]
	v_add_u32_e32 v13, 1, v11
	s_waitcnt lgkmcnt(0)
	v_cmp_gt_f32_e32 vcc, v14, v9
	v_cndmask_b32_e32 v9, v9, v14, vcc
	v_cndmask_b32_e32 v8, v8, v11, vcc
	v_cmp_gt_f32_e32 vcc, v15, v9
	v_cndmask_b32_e32 v9, v9, v15, vcc
	v_cndmask_b32_e32 v8, v8, v13, vcc
	v_cmp_gt_f32_e32 vcc, v16, v9
	v_add_u32_e32 v18, 2, v11
	v_cndmask_b32_e32 v9, v9, v16, vcc
	v_add_u32_e32 v19, 3, v11
	v_cndmask_b32_e32 v8, v8, v18, vcc
	v_cmp_gt_f32_e32 vcc, v17, v9
	v_add_u32_e32 v10, s22, v10
	v_add_u32_e32 v11, s21, v11
	v_cndmask_b32_e32 v9, v9, v17, vcc
	v_cndmask_b32_e32 v8, v8, v19, vcc
	s_andn2_b64 exec, exec, s[10:11]
	s_cbranch_execnz .LBB78_8
; %bb.9:                                ;   in Loop: Header=BB78_6 Depth=1
	s_or_b64 exec, exec, s[10:11]
	s_branch .LBB78_5
.LBB78_10:
	v_mov_b32_e32 v4, 0
                                        ; implicit-def: $vgpr2
                                        ; implicit-def: $vgpr1
.LBB78_11:
	v_cmp_gt_i32_e32 vcc, s17, v0
	s_and_saveexec_b64 s[0:1], vcc
	s_cbranch_execz .LBB78_14
; %bb.12:
	s_load_dword s7, s[4:5], 0x38
	s_load_dwordx2 s[0:1], s[4:5], 0x20
	s_load_dword s8, s[4:5], 0x4c
	s_waitcnt lgkmcnt(0)
	v_div_scale_f32 v3, s[2:3], v4, v4, s7
	v_rcp_f32_e32 v5, v3
	v_div_scale_f32 v6, vcc, s7, v4, s7
	s_ashr_i32 s2, s6, 31
	v_fma_f32 v7, -v3, v5, 1.0
	v_fmac_f32_e32 v5, v7, v5
	v_mul_f32_e32 v7, v6, v5
	v_fma_f32 v8, -v3, v7, v6
	v_fmac_f32_e32 v7, v8, v5
	v_fma_f32 v3, -v3, v7, v6
	s_mul_i32 s1, s6, s1
	s_mul_hi_u32 s3, s6, s0
	v_div_fmas_f32 v3, v3, v5, v7
	s_add_i32 s1, s3, s1
	s_mul_i32 s2, s2, s0
	v_div_fixup_f32 v3, v3, v4, s7
	s_add_i32 s4, s1, s2
	v_mul_f32_e32 v2, v3, v2
	s_mul_i32 s2, s6, s0
	s_and_b32 s3, s8, 0xffff
	s_mov_b64 s[0:1], 0
	v_mov_b32_e32 v3, s4
	v_mov_b32_e32 v4, s15
	v_mov_b32_e32 v5, s19
.LBB78_13:                              ; =>This Inner Loop Header: Depth=1
	v_ashrrev_i32_e32 v7, 31, v0
	v_add_co_u32_e32 v6, vcc, s2, v0
	v_addc_co_u32_e32 v7, vcc, v3, v7, vcc
	v_add_u32_e32 v0, s3, v0
	v_cmp_le_i32_e32 vcc, s17, v0
	v_lshlrev_b64 v[6:7], 2, v[6:7]
	s_or_b64 s[0:1], vcc, s[0:1]
	v_add_co_u32_e32 v8, vcc, s14, v6
	v_addc_co_u32_e32 v9, vcc, v4, v7, vcc
	v_add_co_u32_e32 v6, vcc, s18, v6
	v_addc_co_u32_e32 v7, vcc, v5, v7, vcc
	global_store_dword v[8:9], v2, off
	global_store_dword v[6:7], v1, off
	s_andn2_b64 exec, exec, s[0:1]
	s_cbranch_execnz .LBB78_13
.LBB78_14:
	s_endpgm
	.section	.rodata,"a",@progbits
	.p2align	6, 0x0
	.amdhsa_kernel _ZN5aiter19grouped_topk_kernelIN3c108BFloat16EDv4_fLi1ELb1ELb1ELb0EEEvPT_PKS4_PfPimiiiif
		.amdhsa_group_segment_fixed_size 0
		.amdhsa_private_segment_fixed_size 0
		.amdhsa_kernarg_size 320
		.amdhsa_user_sgpr_count 6
		.amdhsa_user_sgpr_private_segment_buffer 1
		.amdhsa_user_sgpr_dispatch_ptr 0
		.amdhsa_user_sgpr_queue_ptr 0
		.amdhsa_user_sgpr_kernarg_segment_ptr 1
		.amdhsa_user_sgpr_dispatch_id 0
		.amdhsa_user_sgpr_flat_scratch_init 0
		.amdhsa_user_sgpr_kernarg_preload_length 0
		.amdhsa_user_sgpr_kernarg_preload_offset 0
		.amdhsa_user_sgpr_private_segment_size 0
		.amdhsa_uses_dynamic_stack 0
		.amdhsa_system_sgpr_private_segment_wavefront_offset 0
		.amdhsa_system_sgpr_workgroup_id_x 1
		.amdhsa_system_sgpr_workgroup_id_y 0
		.amdhsa_system_sgpr_workgroup_id_z 0
		.amdhsa_system_sgpr_workgroup_info 0
		.amdhsa_system_vgpr_workitem_id 0
		.amdhsa_next_free_vgpr 38
		.amdhsa_next_free_sgpr 30
		.amdhsa_accum_offset 40
		.amdhsa_reserve_vcc 1
		.amdhsa_reserve_flat_scratch 0
		.amdhsa_float_round_mode_32 0
		.amdhsa_float_round_mode_16_64 0
		.amdhsa_float_denorm_mode_32 3
		.amdhsa_float_denorm_mode_16_64 3
		.amdhsa_dx10_clamp 1
		.amdhsa_ieee_mode 1
		.amdhsa_fp16_overflow 0
		.amdhsa_tg_split 0
		.amdhsa_exception_fp_ieee_invalid_op 0
		.amdhsa_exception_fp_denorm_src 0
		.amdhsa_exception_fp_ieee_div_zero 0
		.amdhsa_exception_fp_ieee_overflow 0
		.amdhsa_exception_fp_ieee_underflow 0
		.amdhsa_exception_fp_ieee_inexact 0
		.amdhsa_exception_int_div_zero 0
	.end_amdhsa_kernel
	.section	.text._ZN5aiter19grouped_topk_kernelIN3c108BFloat16EDv4_fLi1ELb1ELb1ELb0EEEvPT_PKS4_PfPimiiiif,"axG",@progbits,_ZN5aiter19grouped_topk_kernelIN3c108BFloat16EDv4_fLi1ELb1ELb1ELb0EEEvPT_PKS4_PfPimiiiif,comdat
.Lfunc_end78:
	.size	_ZN5aiter19grouped_topk_kernelIN3c108BFloat16EDv4_fLi1ELb1ELb1ELb0EEEvPT_PKS4_PfPimiiiif, .Lfunc_end78-_ZN5aiter19grouped_topk_kernelIN3c108BFloat16EDv4_fLi1ELb1ELb1ELb0EEEvPT_PKS4_PfPimiiiif
                                        ; -- End function
	.section	.AMDGPU.csdata,"",@progbits
; Kernel info:
; codeLenInByte = 1784
; NumSgprs: 34
; NumVgprs: 38
; NumAgprs: 0
; TotalNumVgprs: 38
; ScratchSize: 0
; MemoryBound: 0
; FloatMode: 240
; IeeeMode: 1
; LDSByteSize: 0 bytes/workgroup (compile time only)
; SGPRBlocks: 4
; VGPRBlocks: 4
; NumSGPRsForWavesPerEU: 34
; NumVGPRsForWavesPerEU: 38
; AccumOffset: 40
; Occupancy: 8
; WaveLimiterHint : 0
; COMPUTE_PGM_RSRC2:SCRATCH_EN: 0
; COMPUTE_PGM_RSRC2:USER_SGPR: 6
; COMPUTE_PGM_RSRC2:TRAP_HANDLER: 0
; COMPUTE_PGM_RSRC2:TGID_X_EN: 1
; COMPUTE_PGM_RSRC2:TGID_Y_EN: 0
; COMPUTE_PGM_RSRC2:TGID_Z_EN: 0
; COMPUTE_PGM_RSRC2:TIDIG_COMP_CNT: 0
; COMPUTE_PGM_RSRC3_GFX90A:ACCUM_OFFSET: 9
; COMPUTE_PGM_RSRC3_GFX90A:TG_SPLIT: 0
	.section	.text._ZN5aiter19grouped_topk_kernelIfDv4_fLi1ELb1ELb0ELb1EEEvPT_PKS2_PfPimiiiif,"axG",@progbits,_ZN5aiter19grouped_topk_kernelIfDv4_fLi1ELb1ELb0ELb1EEEvPT_PKS2_PfPimiiiif,comdat
	.protected	_ZN5aiter19grouped_topk_kernelIfDv4_fLi1ELb1ELb0ELb1EEEvPT_PKS2_PfPimiiiif ; -- Begin function _ZN5aiter19grouped_topk_kernelIfDv4_fLi1ELb1ELb0ELb1EEEvPT_PKS2_PfPimiiiif
	.globl	_ZN5aiter19grouped_topk_kernelIfDv4_fLi1ELb1ELb0ELb1EEEvPT_PKS2_PfPimiiiif
	.p2align	8
	.type	_ZN5aiter19grouped_topk_kernelIfDv4_fLi1ELb1ELb0ELb1EEEvPT_PKS2_PfPimiiiif,@function
_ZN5aiter19grouped_topk_kernelIfDv4_fLi1ELb1ELb0ELb1EEEvPT_PKS2_PfPimiiiif: ; @_ZN5aiter19grouped_topk_kernelIfDv4_fLi1ELb1ELb0ELb1EEEvPT_PKS2_PfPimiiiif
; %bb.0:
	s_load_dwordx2 s[2:3], s[4:5], 0x28
	s_load_dwordx4 s[8:11], s[4:5], 0x10
	v_mov_b32_e32 v1, 0xff800000
	s_waitcnt lgkmcnt(0)
	v_cmp_gt_i32_e32 vcc, s2, v0
	s_and_saveexec_b64 s[12:13], vcc
	s_cbranch_execz .LBB79_4
; %bb.1:
	s_load_dword s0, s[4:5], 0x4c
	s_load_dwordx2 s[14:15], s[4:5], 0x0
	s_mul_i32 s7, s6, s2
	v_lshl_add_u32 v2, v0, 2, 0
	s_mov_b64 s[16:17], 0
	s_waitcnt lgkmcnt(0)
	s_and_b32 s18, s0, 0xffff
	s_lshl_b32 s19, s18, 2
	v_mov_b32_e32 v1, 0xff800000
	v_mov_b32_e32 v3, s15
	;; [unrolled: 1-line block ×3, first 2 shown]
.LBB79_2:                               ; =>This Inner Loop Header: Depth=1
	v_add_u32_e32 v6, s7, v4
	v_ashrrev_i32_e32 v7, 31, v6
	v_lshlrev_b64 v[6:7], 2, v[6:7]
	v_add_co_u32_e64 v6, s[0:1], s14, v6
	v_addc_co_u32_e64 v7, s[0:1], v3, v7, s[0:1]
	global_load_dword v5, v[6:7], off
	v_add_u32_e32 v4, s18, v4
	v_cmp_le_i32_e64 s[0:1], s2, v4
	s_or_b64 s[16:17], s[0:1], s[16:17]
	s_waitcnt vmcnt(0)
	v_cmp_gt_f32_e64 s[0:1], v5, v1
	ds_write_b32 v2, v5
	v_cndmask_b32_e64 v1, v1, v5, s[0:1]
	v_add_u32_e32 v2, s19, v2
	s_andn2_b64 exec, exec, s[16:17]
	s_cbranch_execnz .LBB79_2
; %bb.3:
	s_or_b64 exec, exec, s[16:17]
.LBB79_4:
	s_or_b64 exec, exec, s[12:13]
	v_mov_b32_dpp v2, v1 quad_perm:[1,0,3,2] row_mask:0xf bank_mask:0xf
	v_cmp_lt_f32_e64 s[0:1], v1, v2
	v_cndmask_b32_e64 v1, v1, v2, s[0:1]
	v_bfrev_b32_e32 v3, 0.5
	s_waitcnt lgkmcnt(0)
	v_mov_b32_dpp v2, v1 quad_perm:[2,3,0,1] row_mask:0xf bank_mask:0xf
	v_cmp_lt_f32_e64 s[0:1], v1, v2
	v_cndmask_b32_e64 v1, v1, v2, s[0:1]
	s_barrier
	s_nop 0
	v_mov_b32_dpp v2, v1 row_half_mirror row_mask:0xf bank_mask:0xf
	v_cmp_lt_f32_e64 s[0:1], v1, v2
	v_cndmask_b32_e64 v1, v1, v2, s[0:1]
	s_nop 1
	v_mov_b32_dpp v2, v1 row_mirror row_mask:0xf bank_mask:0xf
	v_cmp_lt_f32_e64 s[0:1], v1, v2
	v_cndmask_b32_e64 v1, v1, v2, s[0:1]
	s_nop 1
	v_mov_b32_dpp v2, v1 row_bcast:15 row_mask:0xf bank_mask:0xf
	v_cmp_lt_f32_e64 s[0:1], v1, v2
	v_cndmask_b32_e64 v1, v1, v2, s[0:1]
	s_nop 1
	v_mov_b32_dpp v2, v1 row_bcast:31 row_mask:0xf bank_mask:0xf
	v_cmp_lt_f32_e64 s[0:1], v1, v2
	v_cndmask_b32_e64 v2, v1, v2, s[0:1]
	v_mbcnt_lo_u32_b32 v1, -1, 0
	v_mbcnt_hi_u32_b32 v1, -1, v1
	v_lshl_or_b32 v1, v1, 2, v3
	ds_bpermute_b32 v3, v1, v2
	v_mov_b32_e32 v2, 0
	s_and_saveexec_b64 s[12:13], vcc
	s_cbranch_execz .LBB79_8
; %bb.5:
	s_load_dword s0, s[4:5], 0x4c
	v_lshl_add_u32 v4, v0, 2, 0
	s_mov_b64 s[14:15], 0
	v_mov_b32_e32 v2, 0
	s_mov_b32 s7, 0x3fb8aa3b
	s_waitcnt lgkmcnt(0)
	s_and_b32 s16, s0, 0xffff
	s_lshl_b32 s17, s16, 2
	s_mov_b32 s18, 0xc2ce8ed0
	s_mov_b32 s19, 0x42b17218
	v_mov_b32_e32 v5, 0x7f800000
	v_mov_b32_e32 v6, v0
.LBB79_6:                               ; =>This Inner Loop Header: Depth=1
	ds_read_b32 v7, v4
	v_add_u32_e32 v6, s16, v6
	s_waitcnt lgkmcnt(0)
	v_sub_f32_e32 v7, v7, v3
	v_mul_f32_e32 v8, 0x3fb8aa3b, v7
	v_fma_f32 v9, v7, s7, -v8
	v_rndne_f32_e32 v10, v8
	v_fmac_f32_e32 v9, 0x32a5705f, v7
	v_sub_f32_e32 v8, v8, v10
	v_add_f32_e32 v8, v8, v9
	v_cvt_i32_f32_e32 v10, v10
	v_exp_f32_e32 v8, v8
	v_cmp_ngt_f32_e64 s[0:1], s18, v7
	v_ldexp_f32 v8, v8, v10
	v_cndmask_b32_e64 v8, 0, v8, s[0:1]
	v_cmp_nlt_f32_e64 s[0:1], s19, v7
	v_cndmask_b32_e64 v7, v5, v8, s[0:1]
	v_cmp_le_i32_e64 s[0:1], s2, v6
	ds_write_b32 v4, v7
	v_add_f32_e32 v2, v2, v7
	s_or_b64 s[14:15], s[0:1], s[14:15]
	v_add_u32_e32 v4, s17, v4
	s_andn2_b64 exec, exec, s[14:15]
	s_cbranch_execnz .LBB79_6
; %bb.7:
	s_or_b64 exec, exec, s[14:15]
.LBB79_8:
	s_or_b64 exec, exec, s[12:13]
	s_waitcnt lgkmcnt(0)
	v_mov_b32_dpp v3, v2 quad_perm:[1,0,3,2] row_mask:0xf bank_mask:0xf
	v_add_f32_e32 v2, v2, v3
	s_barrier
	s_nop 0
	v_mov_b32_dpp v3, v2 quad_perm:[2,3,0,1] row_mask:0xf bank_mask:0xf
	v_add_f32_e32 v2, v2, v3
	s_nop 1
	v_mov_b32_dpp v3, v2 row_half_mirror row_mask:0xf bank_mask:0xf
	v_add_f32_e32 v2, v2, v3
	s_nop 1
	v_mov_b32_dpp v3, v2 row_mirror row_mask:0xf bank_mask:0xf
	v_add_f32_e32 v2, v2, v3
	s_nop 1
	v_mov_b32_dpp v3, v2 row_bcast:15 row_mask:0xf bank_mask:0xf
	v_add_f32_e32 v2, v2, v3
	s_nop 1
	v_mov_b32_dpp v3, v2 row_bcast:31 row_mask:0xf bank_mask:0xf
	v_add_f32_e32 v2, v2, v3
	ds_bpermute_b32 v1, v1, v2
	s_and_saveexec_b64 s[0:1], vcc
	s_cbranch_execz .LBB79_11
; %bb.9:
	s_load_dword s7, s[4:5], 0x4c
	v_lshl_add_u32 v2, v0, 2, 0
	s_mov_b64 s[12:13], 0
	v_mov_b32_e32 v3, v0
	s_waitcnt lgkmcnt(0)
	s_and_b32 s7, s7, 0xffff
	s_lshl_b32 s14, s7, 2
.LBB79_10:                              ; =>This Inner Loop Header: Depth=1
	ds_read_b32 v4, v2
	v_add_u32_e32 v3, s7, v3
	v_cmp_le_i32_e32 vcc, s2, v3
	s_or_b64 s[12:13], vcc, s[12:13]
	s_waitcnt lgkmcnt(0)
	v_div_scale_f32 v5, s[16:17], v1, v1, v4
	v_rcp_f32_e32 v6, v5
	v_div_scale_f32 v7, vcc, v4, v1, v4
	v_fma_f32 v8, -v5, v6, 1.0
	v_fmac_f32_e32 v6, v8, v6
	v_mul_f32_e32 v8, v7, v6
	v_fma_f32 v9, -v5, v8, v7
	v_fmac_f32_e32 v8, v9, v6
	v_fma_f32 v5, -v5, v8, v7
	v_div_fmas_f32 v5, v5, v6, v8
	v_div_fixup_f32 v4, v5, v1, v4
	ds_write_b32 v2, v4
	v_add_u32_e32 v2, s14, v2
	s_andn2_b64 exec, exec, s[12:13]
	s_cbranch_execnz .LBB79_10
.LBB79_11:
	s_or_b64 exec, exec, s[0:1]
	s_cmp_lt_i32 s3, 1
	s_waitcnt lgkmcnt(0)
	s_barrier
	s_cbranch_scc1 .LBB79_18
; %bb.12:
	s_ashr_i32 s0, s2, 31
	s_lshr_b32 s0, s0, 30
	s_add_i32 s0, s2, s0
	s_ashr_i32 s2, s0, 2
	s_add_u32 s12, s4, 64
	v_cmp_gt_i32_e32 vcc, s2, v0
	s_addc_u32 s13, s5, 0
	v_lshlrev_b32_e32 v4, 2, v0
	s_mov_b32 s7, 0
	v_lshl_add_u32 v5, v0, 4, 0
	v_mov_b32_e32 v2, 0
	v_mov_b32_e32 v6, 0xff800000
                                        ; implicit-def: $vgpr3
                                        ; implicit-def: $vgpr1
	s_branch .LBB79_14
.LBB79_13:                              ;   in Loop: Header=BB79_14 Depth=1
	s_or_b64 exec, exec, s[14:15]
	v_mov_b32_dpp v10, v8 quad_perm:[1,0,3,2] row_mask:0xf bank_mask:0xf
	v_cmp_lt_f32_e64 s[0:1], v8, v10
	v_cndmask_b32_e64 v8, v8, v10, s[0:1]
	v_mov_b32_dpp v9, v7 quad_perm:[1,0,3,2] row_mask:0xf bank_mask:0xf
	v_cndmask_b32_e64 v7, v7, v9, s[0:1]
	v_mov_b32_dpp v10, v8 quad_perm:[2,3,0,1] row_mask:0xf bank_mask:0xf
	v_cmp_gt_f32_e64 s[0:1], v10, v8
	v_cndmask_b32_e64 v8, v8, v10, s[0:1]
	v_mov_b32_dpp v9, v7 quad_perm:[2,3,0,1] row_mask:0xf bank_mask:0xf
	v_cndmask_b32_e64 v7, v7, v9, s[0:1]
	v_mov_b32_dpp v10, v8 row_half_mirror row_mask:0xf bank_mask:0xf
	v_cmp_gt_f32_e64 s[0:1], v10, v8
	v_cndmask_b32_e64 v8, v8, v10, s[0:1]
	v_mov_b32_dpp v9, v7 row_half_mirror row_mask:0xf bank_mask:0xf
	v_cndmask_b32_e64 v7, v7, v9, s[0:1]
	v_mov_b32_dpp v10, v8 row_mirror row_mask:0xf bank_mask:0xf
	v_cmp_gt_f32_e64 s[0:1], v10, v8
	v_cndmask_b32_e64 v8, v8, v10, s[0:1]
	v_mov_b32_dpp v9, v7 row_mirror row_mask:0xf bank_mask:0xf
	v_cndmask_b32_e64 v7, v7, v9, s[0:1]
	v_mov_b32_dpp v10, v8 row_bcast:15 row_mask:0xf bank_mask:0xf
	v_cmp_gt_f32_e64 s[0:1], v10, v8
	v_mov_b32_dpp v9, v7 row_bcast:15 row_mask:0xf bank_mask:0xf
	v_cndmask_b32_e64 v8, v8, v10, s[0:1]
	v_cndmask_b32_e64 v7, v7, v9, s[0:1]
	s_nop 0
	v_mov_b32_dpp v10, v8 row_bcast:31 row_mask:0xf bank_mask:0xf
	v_mov_b32_dpp v9, v7 row_bcast:31 row_mask:0xf bank_mask:0xf
	v_cmp_gt_f32_e64 s[0:1], v10, v8
	v_cndmask_b32_e64 v7, v7, v9, s[0:1]
	v_cndmask_b32_e64 v8, v8, v10, s[0:1]
	v_readlane_b32 s0, v7, 63
	s_lshl_b32 s1, s0, 2
	s_add_i32 s1, s1, 0
	v_mov_b32_e32 v7, s1
	v_readlane_b32 s14, v8, 63
	ds_write_b32 v7, v6
	v_mov_b32_e32 v7, s0
	v_cmp_eq_u32_e64 s[0:1], s7, v0
	v_cndmask_b32_e64 v1, v1, v7, s[0:1]
	v_mov_b32_e32 v7, s14
	s_add_i32 s7, s7, 1
	v_cndmask_b32_e64 v3, v3, v7, s[0:1]
	s_cmp_eq_u32 s7, s3
	v_add_f32_e32 v2, s14, v2
	s_cbranch_scc1 .LBB79_19
.LBB79_14:                              ; =>This Loop Header: Depth=1
                                        ;     Child Loop BB79_16 Depth 2
	v_mov_b32_e32 v7, s7
	v_mov_b32_e32 v8, 0xff800000
	s_and_saveexec_b64 s[14:15], vcc
	s_cbranch_execz .LBB79_13
; %bb.15:                               ;   in Loop: Header=BB79_14 Depth=1
	s_load_dword s0, s[12:13], 0xc
	s_mov_b64 s[16:17], 0
	v_mov_b32_e32 v7, s7
	v_mov_b32_e32 v8, 0xff800000
	;; [unrolled: 1-line block ×3, first 2 shown]
	s_waitcnt lgkmcnt(0)
	s_and_b32 s18, s0, 0xffff
	s_lshl_b32 s19, s18, 2
	s_lshl_b32 s20, s18, 4
	v_mov_b32_e32 v10, v4
	v_mov_b32_e32 v11, v0
.LBB79_16:                              ;   Parent Loop BB79_14 Depth=1
                                        ; =>  This Inner Loop Header: Depth=2
	ds_read_b128 v[12:15], v9
	v_add_u32_e32 v11, s18, v11
	v_cmp_le_i32_e64 s[0:1], s2, v11
	s_or_b64 s[16:17], s[0:1], s[16:17]
	v_add_u32_e32 v16, 1, v10
	s_waitcnt lgkmcnt(0)
	v_cmp_gt_f32_e64 s[0:1], v12, v8
	v_cndmask_b32_e64 v8, v8, v12, s[0:1]
	v_cndmask_b32_e64 v7, v7, v10, s[0:1]
	v_cmp_gt_f32_e64 s[0:1], v13, v8
	v_cndmask_b32_e64 v8, v8, v13, s[0:1]
	v_cndmask_b32_e64 v7, v7, v16, s[0:1]
	v_cmp_gt_f32_e64 s[0:1], v14, v8
	v_add_u32_e32 v17, 2, v10
	v_cndmask_b32_e64 v8, v8, v14, s[0:1]
	v_add_u32_e32 v18, 3, v10
	v_cndmask_b32_e64 v7, v7, v17, s[0:1]
	v_cmp_gt_f32_e64 s[0:1], v15, v8
	v_add_u32_e32 v9, s20, v9
	v_add_u32_e32 v10, s19, v10
	v_cndmask_b32_e64 v8, v8, v15, s[0:1]
	v_cndmask_b32_e64 v7, v7, v18, s[0:1]
	s_andn2_b64 exec, exec, s[16:17]
	s_cbranch_execnz .LBB79_16
; %bb.17:                               ;   in Loop: Header=BB79_14 Depth=1
	s_or_b64 exec, exec, s[16:17]
	s_branch .LBB79_13
.LBB79_18:
	v_mov_b32_e32 v2, 0
                                        ; implicit-def: $vgpr3
                                        ; implicit-def: $vgpr1
.LBB79_19:
	v_cmp_gt_i32_e32 vcc, s3, v0
	s_and_saveexec_b64 s[0:1], vcc
	s_cbranch_execz .LBB79_22
; %bb.20:
	s_load_dword s2, s[4:5], 0x38
	s_load_dwordx2 s[0:1], s[4:5], 0x20
	s_load_dword s7, s[4:5], 0x4c
	s_waitcnt lgkmcnt(0)
	v_div_scale_f32 v4, s[4:5], v2, v2, s2
	v_rcp_f32_e32 v5, v4
	v_div_scale_f32 v6, vcc, s2, v2, s2
	s_ashr_i32 s4, s6, 31
	v_fma_f32 v7, -v4, v5, 1.0
	v_fmac_f32_e32 v5, v7, v5
	v_mul_f32_e32 v7, v6, v5
	v_fma_f32 v8, -v4, v7, v6
	v_fmac_f32_e32 v7, v8, v5
	v_fma_f32 v4, -v4, v7, v6
	v_div_fmas_f32 v4, v4, v5, v7
	v_div_fixup_f32 v2, v4, v2, s2
	s_mul_i32 s1, s6, s1
	s_mul_hi_u32 s2, s6, s0
	s_add_i32 s1, s2, s1
	s_mul_i32 s4, s4, s0
	s_add_i32 s5, s1, s4
	v_mul_f32_e32 v2, v2, v3
	s_mul_i32 s2, s6, s0
	s_and_b32 s4, s7, 0xffff
	s_mov_b64 s[0:1], 0
	v_mov_b32_e32 v3, s5
	v_mov_b32_e32 v4, s9
	;; [unrolled: 1-line block ×3, first 2 shown]
.LBB79_21:                              ; =>This Inner Loop Header: Depth=1
	v_ashrrev_i32_e32 v7, 31, v0
	v_add_co_u32_e32 v6, vcc, s2, v0
	v_addc_co_u32_e32 v7, vcc, v3, v7, vcc
	v_add_u32_e32 v0, s4, v0
	v_cmp_le_i32_e32 vcc, s3, v0
	v_lshlrev_b64 v[6:7], 2, v[6:7]
	s_or_b64 s[0:1], vcc, s[0:1]
	v_add_co_u32_e32 v8, vcc, s8, v6
	v_addc_co_u32_e32 v9, vcc, v4, v7, vcc
	v_add_co_u32_e32 v6, vcc, s10, v6
	v_addc_co_u32_e32 v7, vcc, v5, v7, vcc
	global_store_dword v[8:9], v2, off
	global_store_dword v[6:7], v1, off
	s_andn2_b64 exec, exec, s[0:1]
	s_cbranch_execnz .LBB79_21
.LBB79_22:
	s_endpgm
	.section	.rodata,"a",@progbits
	.p2align	6, 0x0
	.amdhsa_kernel _ZN5aiter19grouped_topk_kernelIfDv4_fLi1ELb1ELb0ELb1EEEvPT_PKS2_PfPimiiiif
		.amdhsa_group_segment_fixed_size 0
		.amdhsa_private_segment_fixed_size 0
		.amdhsa_kernarg_size 320
		.amdhsa_user_sgpr_count 6
		.amdhsa_user_sgpr_private_segment_buffer 1
		.amdhsa_user_sgpr_dispatch_ptr 0
		.amdhsa_user_sgpr_queue_ptr 0
		.amdhsa_user_sgpr_kernarg_segment_ptr 1
		.amdhsa_user_sgpr_dispatch_id 0
		.amdhsa_user_sgpr_flat_scratch_init 0
		.amdhsa_user_sgpr_kernarg_preload_length 0
		.amdhsa_user_sgpr_kernarg_preload_offset 0
		.amdhsa_user_sgpr_private_segment_size 0
		.amdhsa_uses_dynamic_stack 0
		.amdhsa_system_sgpr_private_segment_wavefront_offset 0
		.amdhsa_system_sgpr_workgroup_id_x 1
		.amdhsa_system_sgpr_workgroup_id_y 0
		.amdhsa_system_sgpr_workgroup_id_z 0
		.amdhsa_system_sgpr_workgroup_info 0
		.amdhsa_system_vgpr_workitem_id 0
		.amdhsa_next_free_vgpr 19
		.amdhsa_next_free_sgpr 21
		.amdhsa_accum_offset 20
		.amdhsa_reserve_vcc 1
		.amdhsa_reserve_flat_scratch 0
		.amdhsa_float_round_mode_32 0
		.amdhsa_float_round_mode_16_64 0
		.amdhsa_float_denorm_mode_32 3
		.amdhsa_float_denorm_mode_16_64 3
		.amdhsa_dx10_clamp 1
		.amdhsa_ieee_mode 1
		.amdhsa_fp16_overflow 0
		.amdhsa_tg_split 0
		.amdhsa_exception_fp_ieee_invalid_op 0
		.amdhsa_exception_fp_denorm_src 0
		.amdhsa_exception_fp_ieee_div_zero 0
		.amdhsa_exception_fp_ieee_overflow 0
		.amdhsa_exception_fp_ieee_underflow 0
		.amdhsa_exception_fp_ieee_inexact 0
		.amdhsa_exception_int_div_zero 0
	.end_amdhsa_kernel
	.section	.text._ZN5aiter19grouped_topk_kernelIfDv4_fLi1ELb1ELb0ELb1EEEvPT_PKS2_PfPimiiiif,"axG",@progbits,_ZN5aiter19grouped_topk_kernelIfDv4_fLi1ELb1ELb0ELb1EEEvPT_PKS2_PfPimiiiif,comdat
.Lfunc_end79:
	.size	_ZN5aiter19grouped_topk_kernelIfDv4_fLi1ELb1ELb0ELb1EEEvPT_PKS2_PfPimiiiif, .Lfunc_end79-_ZN5aiter19grouped_topk_kernelIfDv4_fLi1ELb1ELb0ELb1EEEvPT_PKS2_PfPimiiiif
                                        ; -- End function
	.section	.AMDGPU.csdata,"",@progbits
; Kernel info:
; codeLenInByte = 1816
; NumSgprs: 25
; NumVgprs: 19
; NumAgprs: 0
; TotalNumVgprs: 19
; ScratchSize: 0
; MemoryBound: 0
; FloatMode: 240
; IeeeMode: 1
; LDSByteSize: 0 bytes/workgroup (compile time only)
; SGPRBlocks: 3
; VGPRBlocks: 2
; NumSGPRsForWavesPerEU: 25
; NumVGPRsForWavesPerEU: 19
; AccumOffset: 20
; Occupancy: 8
; WaveLimiterHint : 0
; COMPUTE_PGM_RSRC2:SCRATCH_EN: 0
; COMPUTE_PGM_RSRC2:USER_SGPR: 6
; COMPUTE_PGM_RSRC2:TRAP_HANDLER: 0
; COMPUTE_PGM_RSRC2:TGID_X_EN: 1
; COMPUTE_PGM_RSRC2:TGID_Y_EN: 0
; COMPUTE_PGM_RSRC2:TGID_Z_EN: 0
; COMPUTE_PGM_RSRC2:TIDIG_COMP_CNT: 0
; COMPUTE_PGM_RSRC3_GFX90A:ACCUM_OFFSET: 4
; COMPUTE_PGM_RSRC3_GFX90A:TG_SPLIT: 0
	.section	.text._ZN5aiter19grouped_topk_kernelIN3c104HalfEDv4_fLi1ELb1ELb0ELb1EEEvPT_PKS4_PfPimiiiif,"axG",@progbits,_ZN5aiter19grouped_topk_kernelIN3c104HalfEDv4_fLi1ELb1ELb0ELb1EEEvPT_PKS4_PfPimiiiif,comdat
	.protected	_ZN5aiter19grouped_topk_kernelIN3c104HalfEDv4_fLi1ELb1ELb0ELb1EEEvPT_PKS4_PfPimiiiif ; -- Begin function _ZN5aiter19grouped_topk_kernelIN3c104HalfEDv4_fLi1ELb1ELb0ELb1EEEvPT_PKS4_PfPimiiiif
	.globl	_ZN5aiter19grouped_topk_kernelIN3c104HalfEDv4_fLi1ELb1ELb0ELb1EEEvPT_PKS4_PfPimiiiif
	.p2align	8
	.type	_ZN5aiter19grouped_topk_kernelIN3c104HalfEDv4_fLi1ELb1ELb0ELb1EEEvPT_PKS4_PfPimiiiif,@function
_ZN5aiter19grouped_topk_kernelIN3c104HalfEDv4_fLi1ELb1ELb0ELb1EEEvPT_PKS4_PfPimiiiif: ; @_ZN5aiter19grouped_topk_kernelIN3c104HalfEDv4_fLi1ELb1ELb0ELb1EEEvPT_PKS4_PfPimiiiif
; %bb.0:
	s_load_dwordx2 s[2:3], s[4:5], 0x28
	s_load_dwordx4 s[8:11], s[4:5], 0x10
	v_mov_b32_e32 v1, 0xff800000
	s_waitcnt lgkmcnt(0)
	v_cmp_gt_i32_e32 vcc, s2, v0
	s_and_saveexec_b64 s[12:13], vcc
	s_cbranch_execz .LBB80_4
; %bb.1:
	s_load_dword s0, s[4:5], 0x4c
	s_load_dwordx2 s[14:15], s[4:5], 0x0
	s_mul_i32 s7, s6, s2
	v_lshl_add_u32 v2, v0, 2, 0
	s_mov_b64 s[16:17], 0
	s_waitcnt lgkmcnt(0)
	s_and_b32 s18, s0, 0xffff
	s_lshl_b32 s19, s18, 2
	v_mov_b32_e32 v1, 0xff800000
	v_mov_b32_e32 v3, s15
	;; [unrolled: 1-line block ×3, first 2 shown]
.LBB80_2:                               ; =>This Inner Loop Header: Depth=1
	v_add_u32_e32 v6, s7, v4
	v_ashrrev_i32_e32 v7, 31, v6
	v_lshlrev_b64 v[6:7], 1, v[6:7]
	v_add_co_u32_e64 v6, s[0:1], s14, v6
	v_addc_co_u32_e64 v7, s[0:1], v3, v7, s[0:1]
	global_load_ushort v5, v[6:7], off
	v_add_u32_e32 v4, s18, v4
	v_cmp_le_i32_e64 s[0:1], s2, v4
	s_or_b64 s[16:17], s[0:1], s[16:17]
	s_waitcnt vmcnt(0)
	v_cvt_f32_f16_e32 v5, v5
	v_cmp_lt_f32_e64 s[0:1], v1, v5
	ds_write_b32 v2, v5
	v_cndmask_b32_e64 v1, v1, v5, s[0:1]
	v_add_u32_e32 v2, s19, v2
	s_andn2_b64 exec, exec, s[16:17]
	s_cbranch_execnz .LBB80_2
; %bb.3:
	s_or_b64 exec, exec, s[16:17]
.LBB80_4:
	s_or_b64 exec, exec, s[12:13]
	v_mov_b32_dpp v2, v1 quad_perm:[1,0,3,2] row_mask:0xf bank_mask:0xf
	v_cmp_lt_f32_e64 s[0:1], v1, v2
	v_cndmask_b32_e64 v1, v1, v2, s[0:1]
	v_bfrev_b32_e32 v3, 0.5
	s_waitcnt lgkmcnt(0)
	v_mov_b32_dpp v2, v1 quad_perm:[2,3,0,1] row_mask:0xf bank_mask:0xf
	v_cmp_lt_f32_e64 s[0:1], v1, v2
	v_cndmask_b32_e64 v1, v1, v2, s[0:1]
	s_barrier
	s_nop 0
	v_mov_b32_dpp v2, v1 row_half_mirror row_mask:0xf bank_mask:0xf
	v_cmp_lt_f32_e64 s[0:1], v1, v2
	v_cndmask_b32_e64 v1, v1, v2, s[0:1]
	s_nop 1
	v_mov_b32_dpp v2, v1 row_mirror row_mask:0xf bank_mask:0xf
	v_cmp_lt_f32_e64 s[0:1], v1, v2
	v_cndmask_b32_e64 v1, v1, v2, s[0:1]
	s_nop 1
	v_mov_b32_dpp v2, v1 row_bcast:15 row_mask:0xf bank_mask:0xf
	v_cmp_lt_f32_e64 s[0:1], v1, v2
	v_cndmask_b32_e64 v1, v1, v2, s[0:1]
	s_nop 1
	v_mov_b32_dpp v2, v1 row_bcast:31 row_mask:0xf bank_mask:0xf
	v_cmp_lt_f32_e64 s[0:1], v1, v2
	v_cndmask_b32_e64 v2, v1, v2, s[0:1]
	v_mbcnt_lo_u32_b32 v1, -1, 0
	v_mbcnt_hi_u32_b32 v1, -1, v1
	v_lshl_or_b32 v1, v1, 2, v3
	ds_bpermute_b32 v3, v1, v2
	v_mov_b32_e32 v2, 0
	s_and_saveexec_b64 s[12:13], vcc
	s_cbranch_execz .LBB80_8
; %bb.5:
	s_load_dword s0, s[4:5], 0x4c
	v_lshl_add_u32 v4, v0, 2, 0
	s_mov_b64 s[14:15], 0
	v_mov_b32_e32 v2, 0
	s_mov_b32 s7, 0x3fb8aa3b
	s_waitcnt lgkmcnt(0)
	s_and_b32 s16, s0, 0xffff
	s_lshl_b32 s17, s16, 2
	s_mov_b32 s18, 0xc2ce8ed0
	s_mov_b32 s19, 0x42b17218
	v_mov_b32_e32 v5, 0x7f800000
	v_mov_b32_e32 v6, v0
.LBB80_6:                               ; =>This Inner Loop Header: Depth=1
	ds_read_b32 v7, v4
	v_add_u32_e32 v6, s16, v6
	s_waitcnt lgkmcnt(0)
	v_sub_f32_e32 v7, v7, v3
	v_mul_f32_e32 v8, 0x3fb8aa3b, v7
	v_fma_f32 v9, v7, s7, -v8
	v_rndne_f32_e32 v10, v8
	v_fmac_f32_e32 v9, 0x32a5705f, v7
	v_sub_f32_e32 v8, v8, v10
	v_add_f32_e32 v8, v8, v9
	v_cvt_i32_f32_e32 v10, v10
	v_exp_f32_e32 v8, v8
	v_cmp_ngt_f32_e64 s[0:1], s18, v7
	v_ldexp_f32 v8, v8, v10
	v_cndmask_b32_e64 v8, 0, v8, s[0:1]
	v_cmp_nlt_f32_e64 s[0:1], s19, v7
	v_cndmask_b32_e64 v7, v5, v8, s[0:1]
	v_cmp_le_i32_e64 s[0:1], s2, v6
	ds_write_b32 v4, v7
	v_add_f32_e32 v2, v2, v7
	s_or_b64 s[14:15], s[0:1], s[14:15]
	v_add_u32_e32 v4, s17, v4
	s_andn2_b64 exec, exec, s[14:15]
	s_cbranch_execnz .LBB80_6
; %bb.7:
	s_or_b64 exec, exec, s[14:15]
.LBB80_8:
	s_or_b64 exec, exec, s[12:13]
	s_waitcnt lgkmcnt(0)
	v_mov_b32_dpp v3, v2 quad_perm:[1,0,3,2] row_mask:0xf bank_mask:0xf
	v_add_f32_e32 v2, v2, v3
	s_barrier
	s_nop 0
	v_mov_b32_dpp v3, v2 quad_perm:[2,3,0,1] row_mask:0xf bank_mask:0xf
	v_add_f32_e32 v2, v2, v3
	s_nop 1
	v_mov_b32_dpp v3, v2 row_half_mirror row_mask:0xf bank_mask:0xf
	v_add_f32_e32 v2, v2, v3
	s_nop 1
	v_mov_b32_dpp v3, v2 row_mirror row_mask:0xf bank_mask:0xf
	v_add_f32_e32 v2, v2, v3
	s_nop 1
	v_mov_b32_dpp v3, v2 row_bcast:15 row_mask:0xf bank_mask:0xf
	v_add_f32_e32 v2, v2, v3
	s_nop 1
	v_mov_b32_dpp v3, v2 row_bcast:31 row_mask:0xf bank_mask:0xf
	v_add_f32_e32 v2, v2, v3
	ds_bpermute_b32 v1, v1, v2
	s_and_saveexec_b64 s[0:1], vcc
	s_cbranch_execz .LBB80_11
; %bb.9:
	s_load_dword s7, s[4:5], 0x4c
	v_lshl_add_u32 v2, v0, 2, 0
	s_mov_b64 s[12:13], 0
	v_mov_b32_e32 v3, v0
	s_waitcnt lgkmcnt(0)
	s_and_b32 s7, s7, 0xffff
	s_lshl_b32 s14, s7, 2
.LBB80_10:                              ; =>This Inner Loop Header: Depth=1
	ds_read_b32 v4, v2
	v_add_u32_e32 v3, s7, v3
	v_cmp_le_i32_e32 vcc, s2, v3
	s_or_b64 s[12:13], vcc, s[12:13]
	s_waitcnt lgkmcnt(0)
	v_div_scale_f32 v5, s[16:17], v1, v1, v4
	v_rcp_f32_e32 v6, v5
	v_div_scale_f32 v7, vcc, v4, v1, v4
	v_fma_f32 v8, -v5, v6, 1.0
	v_fmac_f32_e32 v6, v8, v6
	v_mul_f32_e32 v8, v7, v6
	v_fma_f32 v9, -v5, v8, v7
	v_fmac_f32_e32 v8, v9, v6
	v_fma_f32 v5, -v5, v8, v7
	v_div_fmas_f32 v5, v5, v6, v8
	v_div_fixup_f32 v4, v5, v1, v4
	ds_write_b32 v2, v4
	v_add_u32_e32 v2, s14, v2
	s_andn2_b64 exec, exec, s[12:13]
	s_cbranch_execnz .LBB80_10
.LBB80_11:
	s_or_b64 exec, exec, s[0:1]
	s_cmp_lt_i32 s3, 1
	s_waitcnt lgkmcnt(0)
	s_barrier
	s_cbranch_scc1 .LBB80_18
; %bb.12:
	s_ashr_i32 s0, s2, 31
	s_lshr_b32 s0, s0, 30
	s_add_i32 s0, s2, s0
	s_ashr_i32 s2, s0, 2
	s_add_u32 s12, s4, 64
	v_cmp_gt_i32_e32 vcc, s2, v0
	s_addc_u32 s13, s5, 0
	v_lshlrev_b32_e32 v4, 2, v0
	s_mov_b32 s7, 0
	v_lshl_add_u32 v5, v0, 4, 0
	v_mov_b32_e32 v2, 0
	v_mov_b32_e32 v6, 0xff800000
                                        ; implicit-def: $vgpr3
                                        ; implicit-def: $vgpr1
	s_branch .LBB80_14
.LBB80_13:                              ;   in Loop: Header=BB80_14 Depth=1
	s_or_b64 exec, exec, s[14:15]
	v_mov_b32_dpp v10, v8 quad_perm:[1,0,3,2] row_mask:0xf bank_mask:0xf
	v_cmp_lt_f32_e64 s[0:1], v8, v10
	v_cndmask_b32_e64 v8, v8, v10, s[0:1]
	v_mov_b32_dpp v9, v7 quad_perm:[1,0,3,2] row_mask:0xf bank_mask:0xf
	v_cndmask_b32_e64 v7, v7, v9, s[0:1]
	v_mov_b32_dpp v10, v8 quad_perm:[2,3,0,1] row_mask:0xf bank_mask:0xf
	v_cmp_gt_f32_e64 s[0:1], v10, v8
	v_cndmask_b32_e64 v8, v8, v10, s[0:1]
	v_mov_b32_dpp v9, v7 quad_perm:[2,3,0,1] row_mask:0xf bank_mask:0xf
	v_cndmask_b32_e64 v7, v7, v9, s[0:1]
	v_mov_b32_dpp v10, v8 row_half_mirror row_mask:0xf bank_mask:0xf
	v_cmp_gt_f32_e64 s[0:1], v10, v8
	v_cndmask_b32_e64 v8, v8, v10, s[0:1]
	v_mov_b32_dpp v9, v7 row_half_mirror row_mask:0xf bank_mask:0xf
	v_cndmask_b32_e64 v7, v7, v9, s[0:1]
	v_mov_b32_dpp v10, v8 row_mirror row_mask:0xf bank_mask:0xf
	v_cmp_gt_f32_e64 s[0:1], v10, v8
	v_cndmask_b32_e64 v8, v8, v10, s[0:1]
	v_mov_b32_dpp v9, v7 row_mirror row_mask:0xf bank_mask:0xf
	v_cndmask_b32_e64 v7, v7, v9, s[0:1]
	v_mov_b32_dpp v10, v8 row_bcast:15 row_mask:0xf bank_mask:0xf
	v_cmp_gt_f32_e64 s[0:1], v10, v8
	v_mov_b32_dpp v9, v7 row_bcast:15 row_mask:0xf bank_mask:0xf
	v_cndmask_b32_e64 v8, v8, v10, s[0:1]
	v_cndmask_b32_e64 v7, v7, v9, s[0:1]
	s_nop 0
	v_mov_b32_dpp v10, v8 row_bcast:31 row_mask:0xf bank_mask:0xf
	v_mov_b32_dpp v9, v7 row_bcast:31 row_mask:0xf bank_mask:0xf
	v_cmp_gt_f32_e64 s[0:1], v10, v8
	v_cndmask_b32_e64 v7, v7, v9, s[0:1]
	v_cndmask_b32_e64 v8, v8, v10, s[0:1]
	v_readlane_b32 s0, v7, 63
	s_lshl_b32 s1, s0, 2
	s_add_i32 s1, s1, 0
	v_mov_b32_e32 v7, s1
	v_readlane_b32 s14, v8, 63
	ds_write_b32 v7, v6
	v_mov_b32_e32 v7, s0
	v_cmp_eq_u32_e64 s[0:1], s7, v0
	v_cndmask_b32_e64 v1, v1, v7, s[0:1]
	v_mov_b32_e32 v7, s14
	s_add_i32 s7, s7, 1
	v_cndmask_b32_e64 v3, v3, v7, s[0:1]
	s_cmp_eq_u32 s7, s3
	v_add_f32_e32 v2, s14, v2
	s_cbranch_scc1 .LBB80_19
.LBB80_14:                              ; =>This Loop Header: Depth=1
                                        ;     Child Loop BB80_16 Depth 2
	v_mov_b32_e32 v7, s7
	v_mov_b32_e32 v8, 0xff800000
	s_and_saveexec_b64 s[14:15], vcc
	s_cbranch_execz .LBB80_13
; %bb.15:                               ;   in Loop: Header=BB80_14 Depth=1
	s_load_dword s0, s[12:13], 0xc
	s_mov_b64 s[16:17], 0
	v_mov_b32_e32 v7, s7
	v_mov_b32_e32 v8, 0xff800000
	;; [unrolled: 1-line block ×3, first 2 shown]
	s_waitcnt lgkmcnt(0)
	s_and_b32 s18, s0, 0xffff
	s_lshl_b32 s19, s18, 2
	s_lshl_b32 s20, s18, 4
	v_mov_b32_e32 v10, v4
	v_mov_b32_e32 v11, v0
.LBB80_16:                              ;   Parent Loop BB80_14 Depth=1
                                        ; =>  This Inner Loop Header: Depth=2
	ds_read_b128 v[12:15], v9
	v_add_u32_e32 v11, s18, v11
	v_cmp_le_i32_e64 s[0:1], s2, v11
	s_or_b64 s[16:17], s[0:1], s[16:17]
	v_add_u32_e32 v16, 1, v10
	s_waitcnt lgkmcnt(0)
	v_cmp_gt_f32_e64 s[0:1], v12, v8
	v_cndmask_b32_e64 v8, v8, v12, s[0:1]
	v_cndmask_b32_e64 v7, v7, v10, s[0:1]
	v_cmp_gt_f32_e64 s[0:1], v13, v8
	v_cndmask_b32_e64 v8, v8, v13, s[0:1]
	v_cndmask_b32_e64 v7, v7, v16, s[0:1]
	v_cmp_gt_f32_e64 s[0:1], v14, v8
	v_add_u32_e32 v17, 2, v10
	v_cndmask_b32_e64 v8, v8, v14, s[0:1]
	v_add_u32_e32 v18, 3, v10
	v_cndmask_b32_e64 v7, v7, v17, s[0:1]
	v_cmp_gt_f32_e64 s[0:1], v15, v8
	v_add_u32_e32 v9, s20, v9
	v_add_u32_e32 v10, s19, v10
	v_cndmask_b32_e64 v8, v8, v15, s[0:1]
	v_cndmask_b32_e64 v7, v7, v18, s[0:1]
	s_andn2_b64 exec, exec, s[16:17]
	s_cbranch_execnz .LBB80_16
; %bb.17:                               ;   in Loop: Header=BB80_14 Depth=1
	s_or_b64 exec, exec, s[16:17]
	s_branch .LBB80_13
.LBB80_18:
	v_mov_b32_e32 v2, 0
                                        ; implicit-def: $vgpr3
                                        ; implicit-def: $vgpr1
.LBB80_19:
	v_cmp_gt_i32_e32 vcc, s3, v0
	s_and_saveexec_b64 s[0:1], vcc
	s_cbranch_execz .LBB80_22
; %bb.20:
	s_load_dword s2, s[4:5], 0x38
	s_load_dwordx2 s[0:1], s[4:5], 0x20
	s_load_dword s7, s[4:5], 0x4c
	s_waitcnt lgkmcnt(0)
	v_div_scale_f32 v4, s[4:5], v2, v2, s2
	v_rcp_f32_e32 v5, v4
	v_div_scale_f32 v6, vcc, s2, v2, s2
	s_ashr_i32 s4, s6, 31
	v_fma_f32 v7, -v4, v5, 1.0
	v_fmac_f32_e32 v5, v7, v5
	v_mul_f32_e32 v7, v6, v5
	v_fma_f32 v8, -v4, v7, v6
	v_fmac_f32_e32 v7, v8, v5
	v_fma_f32 v4, -v4, v7, v6
	v_div_fmas_f32 v4, v4, v5, v7
	v_div_fixup_f32 v2, v4, v2, s2
	s_mul_i32 s1, s6, s1
	s_mul_hi_u32 s2, s6, s0
	s_add_i32 s1, s2, s1
	s_mul_i32 s4, s4, s0
	s_add_i32 s5, s1, s4
	v_mul_f32_e32 v2, v2, v3
	s_mul_i32 s2, s6, s0
	s_and_b32 s4, s7, 0xffff
	s_mov_b64 s[0:1], 0
	v_mov_b32_e32 v3, s5
	v_mov_b32_e32 v4, s9
	;; [unrolled: 1-line block ×3, first 2 shown]
.LBB80_21:                              ; =>This Inner Loop Header: Depth=1
	v_ashrrev_i32_e32 v7, 31, v0
	v_add_co_u32_e32 v6, vcc, s2, v0
	v_addc_co_u32_e32 v7, vcc, v3, v7, vcc
	v_add_u32_e32 v0, s4, v0
	v_cmp_le_i32_e32 vcc, s3, v0
	v_lshlrev_b64 v[6:7], 2, v[6:7]
	s_or_b64 s[0:1], vcc, s[0:1]
	v_add_co_u32_e32 v8, vcc, s8, v6
	v_addc_co_u32_e32 v9, vcc, v4, v7, vcc
	v_add_co_u32_e32 v6, vcc, s10, v6
	v_addc_co_u32_e32 v7, vcc, v5, v7, vcc
	global_store_dword v[8:9], v2, off
	global_store_dword v[6:7], v1, off
	s_andn2_b64 exec, exec, s[0:1]
	s_cbranch_execnz .LBB80_21
.LBB80_22:
	s_endpgm
	.section	.rodata,"a",@progbits
	.p2align	6, 0x0
	.amdhsa_kernel _ZN5aiter19grouped_topk_kernelIN3c104HalfEDv4_fLi1ELb1ELb0ELb1EEEvPT_PKS4_PfPimiiiif
		.amdhsa_group_segment_fixed_size 0
		.amdhsa_private_segment_fixed_size 0
		.amdhsa_kernarg_size 320
		.amdhsa_user_sgpr_count 6
		.amdhsa_user_sgpr_private_segment_buffer 1
		.amdhsa_user_sgpr_dispatch_ptr 0
		.amdhsa_user_sgpr_queue_ptr 0
		.amdhsa_user_sgpr_kernarg_segment_ptr 1
		.amdhsa_user_sgpr_dispatch_id 0
		.amdhsa_user_sgpr_flat_scratch_init 0
		.amdhsa_user_sgpr_kernarg_preload_length 0
		.amdhsa_user_sgpr_kernarg_preload_offset 0
		.amdhsa_user_sgpr_private_segment_size 0
		.amdhsa_uses_dynamic_stack 0
		.amdhsa_system_sgpr_private_segment_wavefront_offset 0
		.amdhsa_system_sgpr_workgroup_id_x 1
		.amdhsa_system_sgpr_workgroup_id_y 0
		.amdhsa_system_sgpr_workgroup_id_z 0
		.amdhsa_system_sgpr_workgroup_info 0
		.amdhsa_system_vgpr_workitem_id 0
		.amdhsa_next_free_vgpr 19
		.amdhsa_next_free_sgpr 21
		.amdhsa_accum_offset 20
		.amdhsa_reserve_vcc 1
		.amdhsa_reserve_flat_scratch 0
		.amdhsa_float_round_mode_32 0
		.amdhsa_float_round_mode_16_64 0
		.amdhsa_float_denorm_mode_32 3
		.amdhsa_float_denorm_mode_16_64 3
		.amdhsa_dx10_clamp 1
		.amdhsa_ieee_mode 1
		.amdhsa_fp16_overflow 0
		.amdhsa_tg_split 0
		.amdhsa_exception_fp_ieee_invalid_op 0
		.amdhsa_exception_fp_denorm_src 0
		.amdhsa_exception_fp_ieee_div_zero 0
		.amdhsa_exception_fp_ieee_overflow 0
		.amdhsa_exception_fp_ieee_underflow 0
		.amdhsa_exception_fp_ieee_inexact 0
		.amdhsa_exception_int_div_zero 0
	.end_amdhsa_kernel
	.section	.text._ZN5aiter19grouped_topk_kernelIN3c104HalfEDv4_fLi1ELb1ELb0ELb1EEEvPT_PKS4_PfPimiiiif,"axG",@progbits,_ZN5aiter19grouped_topk_kernelIN3c104HalfEDv4_fLi1ELb1ELb0ELb1EEEvPT_PKS4_PfPimiiiif,comdat
.Lfunc_end80:
	.size	_ZN5aiter19grouped_topk_kernelIN3c104HalfEDv4_fLi1ELb1ELb0ELb1EEEvPT_PKS4_PfPimiiiif, .Lfunc_end80-_ZN5aiter19grouped_topk_kernelIN3c104HalfEDv4_fLi1ELb1ELb0ELb1EEEvPT_PKS4_PfPimiiiif
                                        ; -- End function
	.section	.AMDGPU.csdata,"",@progbits
; Kernel info:
; codeLenInByte = 1820
; NumSgprs: 25
; NumVgprs: 19
; NumAgprs: 0
; TotalNumVgprs: 19
; ScratchSize: 0
; MemoryBound: 0
; FloatMode: 240
; IeeeMode: 1
; LDSByteSize: 0 bytes/workgroup (compile time only)
; SGPRBlocks: 3
; VGPRBlocks: 2
; NumSGPRsForWavesPerEU: 25
; NumVGPRsForWavesPerEU: 19
; AccumOffset: 20
; Occupancy: 8
; WaveLimiterHint : 0
; COMPUTE_PGM_RSRC2:SCRATCH_EN: 0
; COMPUTE_PGM_RSRC2:USER_SGPR: 6
; COMPUTE_PGM_RSRC2:TRAP_HANDLER: 0
; COMPUTE_PGM_RSRC2:TGID_X_EN: 1
; COMPUTE_PGM_RSRC2:TGID_Y_EN: 0
; COMPUTE_PGM_RSRC2:TGID_Z_EN: 0
; COMPUTE_PGM_RSRC2:TIDIG_COMP_CNT: 0
; COMPUTE_PGM_RSRC3_GFX90A:ACCUM_OFFSET: 4
; COMPUTE_PGM_RSRC3_GFX90A:TG_SPLIT: 0
	.section	.text._ZN5aiter19grouped_topk_kernelIN3c108BFloat16EDv4_fLi1ELb1ELb0ELb1EEEvPT_PKS4_PfPimiiiif,"axG",@progbits,_ZN5aiter19grouped_topk_kernelIN3c108BFloat16EDv4_fLi1ELb1ELb0ELb1EEEvPT_PKS4_PfPimiiiif,comdat
	.protected	_ZN5aiter19grouped_topk_kernelIN3c108BFloat16EDv4_fLi1ELb1ELb0ELb1EEEvPT_PKS4_PfPimiiiif ; -- Begin function _ZN5aiter19grouped_topk_kernelIN3c108BFloat16EDv4_fLi1ELb1ELb0ELb1EEEvPT_PKS4_PfPimiiiif
	.globl	_ZN5aiter19grouped_topk_kernelIN3c108BFloat16EDv4_fLi1ELb1ELb0ELb1EEEvPT_PKS4_PfPimiiiif
	.p2align	8
	.type	_ZN5aiter19grouped_topk_kernelIN3c108BFloat16EDv4_fLi1ELb1ELb0ELb1EEEvPT_PKS4_PfPimiiiif,@function
_ZN5aiter19grouped_topk_kernelIN3c108BFloat16EDv4_fLi1ELb1ELb0ELb1EEEvPT_PKS4_PfPimiiiif: ; @_ZN5aiter19grouped_topk_kernelIN3c108BFloat16EDv4_fLi1ELb1ELb0ELb1EEEvPT_PKS4_PfPimiiiif
; %bb.0:
	s_load_dwordx2 s[2:3], s[4:5], 0x28
	s_load_dwordx4 s[8:11], s[4:5], 0x10
	v_mov_b32_e32 v1, 0xff800000
	s_waitcnt lgkmcnt(0)
	v_cmp_gt_i32_e32 vcc, s2, v0
	s_and_saveexec_b64 s[12:13], vcc
	s_cbranch_execz .LBB81_4
; %bb.1:
	s_load_dword s0, s[4:5], 0x4c
	s_load_dwordx2 s[14:15], s[4:5], 0x0
	s_mul_i32 s7, s6, s2
	v_lshl_add_u32 v2, v0, 2, 0
	s_mov_b64 s[16:17], 0
	s_waitcnt lgkmcnt(0)
	s_and_b32 s18, s0, 0xffff
	s_lshl_b32 s19, s18, 2
	v_mov_b32_e32 v1, 0xff800000
	v_mov_b32_e32 v3, s15
	v_mov_b32_e32 v4, v0
.LBB81_2:                               ; =>This Inner Loop Header: Depth=1
	v_add_u32_e32 v6, s7, v4
	v_ashrrev_i32_e32 v7, 31, v6
	v_lshlrev_b64 v[6:7], 1, v[6:7]
	v_add_co_u32_e64 v6, s[0:1], s14, v6
	v_addc_co_u32_e64 v7, s[0:1], v3, v7, s[0:1]
	global_load_ushort v5, v[6:7], off
	v_add_u32_e32 v4, s18, v4
	v_cmp_le_i32_e64 s[0:1], s2, v4
	s_or_b64 s[16:17], s[0:1], s[16:17]
	s_waitcnt vmcnt(0)
	v_lshrrev_b16_e32 v6, 8, v5
	v_and_b32_e32 v5, 0xff, v5
	v_lshlrev_b32_e32 v5, 16, v5
	v_lshl_or_b32 v5, v6, 24, v5
	v_cmp_lt_f32_e64 s[0:1], v1, v5
	ds_write_b32 v2, v5
	v_cndmask_b32_e64 v1, v1, v5, s[0:1]
	v_add_u32_e32 v2, s19, v2
	s_andn2_b64 exec, exec, s[16:17]
	s_cbranch_execnz .LBB81_2
; %bb.3:
	s_or_b64 exec, exec, s[16:17]
.LBB81_4:
	s_or_b64 exec, exec, s[12:13]
	v_mov_b32_dpp v2, v1 quad_perm:[1,0,3,2] row_mask:0xf bank_mask:0xf
	v_cmp_lt_f32_e64 s[0:1], v1, v2
	v_cndmask_b32_e64 v1, v1, v2, s[0:1]
	v_bfrev_b32_e32 v3, 0.5
	s_waitcnt lgkmcnt(0)
	v_mov_b32_dpp v2, v1 quad_perm:[2,3,0,1] row_mask:0xf bank_mask:0xf
	v_cmp_lt_f32_e64 s[0:1], v1, v2
	v_cndmask_b32_e64 v1, v1, v2, s[0:1]
	s_barrier
	s_nop 0
	v_mov_b32_dpp v2, v1 row_half_mirror row_mask:0xf bank_mask:0xf
	v_cmp_lt_f32_e64 s[0:1], v1, v2
	v_cndmask_b32_e64 v1, v1, v2, s[0:1]
	s_nop 1
	v_mov_b32_dpp v2, v1 row_mirror row_mask:0xf bank_mask:0xf
	v_cmp_lt_f32_e64 s[0:1], v1, v2
	v_cndmask_b32_e64 v1, v1, v2, s[0:1]
	s_nop 1
	v_mov_b32_dpp v2, v1 row_bcast:15 row_mask:0xf bank_mask:0xf
	v_cmp_lt_f32_e64 s[0:1], v1, v2
	v_cndmask_b32_e64 v1, v1, v2, s[0:1]
	s_nop 1
	v_mov_b32_dpp v2, v1 row_bcast:31 row_mask:0xf bank_mask:0xf
	v_cmp_lt_f32_e64 s[0:1], v1, v2
	v_cndmask_b32_e64 v2, v1, v2, s[0:1]
	v_mbcnt_lo_u32_b32 v1, -1, 0
	v_mbcnt_hi_u32_b32 v1, -1, v1
	v_lshl_or_b32 v1, v1, 2, v3
	ds_bpermute_b32 v3, v1, v2
	v_mov_b32_e32 v2, 0
	s_and_saveexec_b64 s[12:13], vcc
	s_cbranch_execz .LBB81_8
; %bb.5:
	s_load_dword s0, s[4:5], 0x4c
	v_lshl_add_u32 v4, v0, 2, 0
	s_mov_b64 s[14:15], 0
	v_mov_b32_e32 v2, 0
	s_mov_b32 s7, 0x3fb8aa3b
	s_waitcnt lgkmcnt(0)
	s_and_b32 s16, s0, 0xffff
	s_lshl_b32 s17, s16, 2
	s_mov_b32 s18, 0xc2ce8ed0
	s_mov_b32 s19, 0x42b17218
	v_mov_b32_e32 v5, 0x7f800000
	v_mov_b32_e32 v6, v0
.LBB81_6:                               ; =>This Inner Loop Header: Depth=1
	ds_read_b32 v7, v4
	v_add_u32_e32 v6, s16, v6
	s_waitcnt lgkmcnt(0)
	v_sub_f32_e32 v7, v7, v3
	v_mul_f32_e32 v8, 0x3fb8aa3b, v7
	v_fma_f32 v9, v7, s7, -v8
	v_rndne_f32_e32 v10, v8
	v_fmac_f32_e32 v9, 0x32a5705f, v7
	v_sub_f32_e32 v8, v8, v10
	v_add_f32_e32 v8, v8, v9
	v_cvt_i32_f32_e32 v10, v10
	v_exp_f32_e32 v8, v8
	v_cmp_ngt_f32_e64 s[0:1], s18, v7
	v_ldexp_f32 v8, v8, v10
	v_cndmask_b32_e64 v8, 0, v8, s[0:1]
	v_cmp_nlt_f32_e64 s[0:1], s19, v7
	v_cndmask_b32_e64 v7, v5, v8, s[0:1]
	v_cmp_le_i32_e64 s[0:1], s2, v6
	ds_write_b32 v4, v7
	v_add_f32_e32 v2, v2, v7
	s_or_b64 s[14:15], s[0:1], s[14:15]
	v_add_u32_e32 v4, s17, v4
	s_andn2_b64 exec, exec, s[14:15]
	s_cbranch_execnz .LBB81_6
; %bb.7:
	s_or_b64 exec, exec, s[14:15]
.LBB81_8:
	s_or_b64 exec, exec, s[12:13]
	s_waitcnt lgkmcnt(0)
	v_mov_b32_dpp v3, v2 quad_perm:[1,0,3,2] row_mask:0xf bank_mask:0xf
	v_add_f32_e32 v2, v2, v3
	s_barrier
	s_nop 0
	v_mov_b32_dpp v3, v2 quad_perm:[2,3,0,1] row_mask:0xf bank_mask:0xf
	v_add_f32_e32 v2, v2, v3
	s_nop 1
	v_mov_b32_dpp v3, v2 row_half_mirror row_mask:0xf bank_mask:0xf
	v_add_f32_e32 v2, v2, v3
	s_nop 1
	v_mov_b32_dpp v3, v2 row_mirror row_mask:0xf bank_mask:0xf
	v_add_f32_e32 v2, v2, v3
	s_nop 1
	v_mov_b32_dpp v3, v2 row_bcast:15 row_mask:0xf bank_mask:0xf
	v_add_f32_e32 v2, v2, v3
	s_nop 1
	v_mov_b32_dpp v3, v2 row_bcast:31 row_mask:0xf bank_mask:0xf
	v_add_f32_e32 v2, v2, v3
	ds_bpermute_b32 v1, v1, v2
	s_and_saveexec_b64 s[0:1], vcc
	s_cbranch_execz .LBB81_11
; %bb.9:
	s_load_dword s7, s[4:5], 0x4c
	v_lshl_add_u32 v2, v0, 2, 0
	s_mov_b64 s[12:13], 0
	v_mov_b32_e32 v3, v0
	s_waitcnt lgkmcnt(0)
	s_and_b32 s7, s7, 0xffff
	s_lshl_b32 s14, s7, 2
.LBB81_10:                              ; =>This Inner Loop Header: Depth=1
	ds_read_b32 v4, v2
	v_add_u32_e32 v3, s7, v3
	v_cmp_le_i32_e32 vcc, s2, v3
	s_or_b64 s[12:13], vcc, s[12:13]
	s_waitcnt lgkmcnt(0)
	v_div_scale_f32 v5, s[16:17], v1, v1, v4
	v_rcp_f32_e32 v6, v5
	v_div_scale_f32 v7, vcc, v4, v1, v4
	v_fma_f32 v8, -v5, v6, 1.0
	v_fmac_f32_e32 v6, v8, v6
	v_mul_f32_e32 v8, v7, v6
	v_fma_f32 v9, -v5, v8, v7
	v_fmac_f32_e32 v8, v9, v6
	v_fma_f32 v5, -v5, v8, v7
	v_div_fmas_f32 v5, v5, v6, v8
	v_div_fixup_f32 v4, v5, v1, v4
	ds_write_b32 v2, v4
	v_add_u32_e32 v2, s14, v2
	s_andn2_b64 exec, exec, s[12:13]
	s_cbranch_execnz .LBB81_10
.LBB81_11:
	s_or_b64 exec, exec, s[0:1]
	s_cmp_lt_i32 s3, 1
	s_waitcnt lgkmcnt(0)
	s_barrier
	s_cbranch_scc1 .LBB81_18
; %bb.12:
	s_ashr_i32 s0, s2, 31
	s_lshr_b32 s0, s0, 30
	s_add_i32 s0, s2, s0
	s_ashr_i32 s2, s0, 2
	s_add_u32 s12, s4, 64
	v_cmp_gt_i32_e32 vcc, s2, v0
	s_addc_u32 s13, s5, 0
	v_lshlrev_b32_e32 v4, 2, v0
	s_mov_b32 s7, 0
	v_lshl_add_u32 v5, v0, 4, 0
	v_mov_b32_e32 v2, 0
	v_mov_b32_e32 v6, 0xff800000
                                        ; implicit-def: $vgpr3
                                        ; implicit-def: $vgpr1
	s_branch .LBB81_14
.LBB81_13:                              ;   in Loop: Header=BB81_14 Depth=1
	s_or_b64 exec, exec, s[14:15]
	v_mov_b32_dpp v10, v8 quad_perm:[1,0,3,2] row_mask:0xf bank_mask:0xf
	v_cmp_lt_f32_e64 s[0:1], v8, v10
	v_cndmask_b32_e64 v8, v8, v10, s[0:1]
	v_mov_b32_dpp v9, v7 quad_perm:[1,0,3,2] row_mask:0xf bank_mask:0xf
	v_cndmask_b32_e64 v7, v7, v9, s[0:1]
	v_mov_b32_dpp v10, v8 quad_perm:[2,3,0,1] row_mask:0xf bank_mask:0xf
	v_cmp_gt_f32_e64 s[0:1], v10, v8
	v_cndmask_b32_e64 v8, v8, v10, s[0:1]
	v_mov_b32_dpp v9, v7 quad_perm:[2,3,0,1] row_mask:0xf bank_mask:0xf
	v_cndmask_b32_e64 v7, v7, v9, s[0:1]
	v_mov_b32_dpp v10, v8 row_half_mirror row_mask:0xf bank_mask:0xf
	v_cmp_gt_f32_e64 s[0:1], v10, v8
	v_cndmask_b32_e64 v8, v8, v10, s[0:1]
	v_mov_b32_dpp v9, v7 row_half_mirror row_mask:0xf bank_mask:0xf
	v_cndmask_b32_e64 v7, v7, v9, s[0:1]
	v_mov_b32_dpp v10, v8 row_mirror row_mask:0xf bank_mask:0xf
	v_cmp_gt_f32_e64 s[0:1], v10, v8
	v_cndmask_b32_e64 v8, v8, v10, s[0:1]
	v_mov_b32_dpp v9, v7 row_mirror row_mask:0xf bank_mask:0xf
	v_cndmask_b32_e64 v7, v7, v9, s[0:1]
	v_mov_b32_dpp v10, v8 row_bcast:15 row_mask:0xf bank_mask:0xf
	v_cmp_gt_f32_e64 s[0:1], v10, v8
	v_mov_b32_dpp v9, v7 row_bcast:15 row_mask:0xf bank_mask:0xf
	v_cndmask_b32_e64 v8, v8, v10, s[0:1]
	v_cndmask_b32_e64 v7, v7, v9, s[0:1]
	s_nop 0
	v_mov_b32_dpp v10, v8 row_bcast:31 row_mask:0xf bank_mask:0xf
	v_mov_b32_dpp v9, v7 row_bcast:31 row_mask:0xf bank_mask:0xf
	v_cmp_gt_f32_e64 s[0:1], v10, v8
	v_cndmask_b32_e64 v7, v7, v9, s[0:1]
	v_cndmask_b32_e64 v8, v8, v10, s[0:1]
	v_readlane_b32 s0, v7, 63
	s_lshl_b32 s1, s0, 2
	s_add_i32 s1, s1, 0
	v_mov_b32_e32 v7, s1
	v_readlane_b32 s14, v8, 63
	ds_write_b32 v7, v6
	v_mov_b32_e32 v7, s0
	v_cmp_eq_u32_e64 s[0:1], s7, v0
	v_cndmask_b32_e64 v1, v1, v7, s[0:1]
	v_mov_b32_e32 v7, s14
	s_add_i32 s7, s7, 1
	v_cndmask_b32_e64 v3, v3, v7, s[0:1]
	s_cmp_eq_u32 s7, s3
	v_add_f32_e32 v2, s14, v2
	s_cbranch_scc1 .LBB81_19
.LBB81_14:                              ; =>This Loop Header: Depth=1
                                        ;     Child Loop BB81_16 Depth 2
	v_mov_b32_e32 v7, s7
	v_mov_b32_e32 v8, 0xff800000
	s_and_saveexec_b64 s[14:15], vcc
	s_cbranch_execz .LBB81_13
; %bb.15:                               ;   in Loop: Header=BB81_14 Depth=1
	s_load_dword s0, s[12:13], 0xc
	s_mov_b64 s[16:17], 0
	v_mov_b32_e32 v7, s7
	v_mov_b32_e32 v8, 0xff800000
	;; [unrolled: 1-line block ×3, first 2 shown]
	s_waitcnt lgkmcnt(0)
	s_and_b32 s18, s0, 0xffff
	s_lshl_b32 s19, s18, 2
	s_lshl_b32 s20, s18, 4
	v_mov_b32_e32 v10, v4
	v_mov_b32_e32 v11, v0
.LBB81_16:                              ;   Parent Loop BB81_14 Depth=1
                                        ; =>  This Inner Loop Header: Depth=2
	ds_read_b128 v[12:15], v9
	v_add_u32_e32 v11, s18, v11
	v_cmp_le_i32_e64 s[0:1], s2, v11
	s_or_b64 s[16:17], s[0:1], s[16:17]
	v_add_u32_e32 v16, 1, v10
	s_waitcnt lgkmcnt(0)
	v_cmp_gt_f32_e64 s[0:1], v12, v8
	v_cndmask_b32_e64 v8, v8, v12, s[0:1]
	v_cndmask_b32_e64 v7, v7, v10, s[0:1]
	v_cmp_gt_f32_e64 s[0:1], v13, v8
	v_cndmask_b32_e64 v8, v8, v13, s[0:1]
	v_cndmask_b32_e64 v7, v7, v16, s[0:1]
	v_cmp_gt_f32_e64 s[0:1], v14, v8
	v_add_u32_e32 v17, 2, v10
	v_cndmask_b32_e64 v8, v8, v14, s[0:1]
	v_add_u32_e32 v18, 3, v10
	v_cndmask_b32_e64 v7, v7, v17, s[0:1]
	v_cmp_gt_f32_e64 s[0:1], v15, v8
	v_add_u32_e32 v9, s20, v9
	v_add_u32_e32 v10, s19, v10
	v_cndmask_b32_e64 v8, v8, v15, s[0:1]
	v_cndmask_b32_e64 v7, v7, v18, s[0:1]
	s_andn2_b64 exec, exec, s[16:17]
	s_cbranch_execnz .LBB81_16
; %bb.17:                               ;   in Loop: Header=BB81_14 Depth=1
	s_or_b64 exec, exec, s[16:17]
	s_branch .LBB81_13
.LBB81_18:
	v_mov_b32_e32 v2, 0
                                        ; implicit-def: $vgpr3
                                        ; implicit-def: $vgpr1
.LBB81_19:
	v_cmp_gt_i32_e32 vcc, s3, v0
	s_and_saveexec_b64 s[0:1], vcc
	s_cbranch_execz .LBB81_22
; %bb.20:
	s_load_dword s2, s[4:5], 0x38
	s_load_dwordx2 s[0:1], s[4:5], 0x20
	s_load_dword s7, s[4:5], 0x4c
	s_waitcnt lgkmcnt(0)
	v_div_scale_f32 v4, s[4:5], v2, v2, s2
	v_rcp_f32_e32 v5, v4
	v_div_scale_f32 v6, vcc, s2, v2, s2
	s_ashr_i32 s4, s6, 31
	v_fma_f32 v7, -v4, v5, 1.0
	v_fmac_f32_e32 v5, v7, v5
	v_mul_f32_e32 v7, v6, v5
	v_fma_f32 v8, -v4, v7, v6
	v_fmac_f32_e32 v7, v8, v5
	v_fma_f32 v4, -v4, v7, v6
	v_div_fmas_f32 v4, v4, v5, v7
	v_div_fixup_f32 v2, v4, v2, s2
	s_mul_i32 s1, s6, s1
	s_mul_hi_u32 s2, s6, s0
	s_add_i32 s1, s2, s1
	s_mul_i32 s4, s4, s0
	s_add_i32 s5, s1, s4
	v_mul_f32_e32 v2, v2, v3
	s_mul_i32 s2, s6, s0
	s_and_b32 s4, s7, 0xffff
	s_mov_b64 s[0:1], 0
	v_mov_b32_e32 v3, s5
	v_mov_b32_e32 v4, s9
	;; [unrolled: 1-line block ×3, first 2 shown]
.LBB81_21:                              ; =>This Inner Loop Header: Depth=1
	v_ashrrev_i32_e32 v7, 31, v0
	v_add_co_u32_e32 v6, vcc, s2, v0
	v_addc_co_u32_e32 v7, vcc, v3, v7, vcc
	v_add_u32_e32 v0, s4, v0
	v_cmp_le_i32_e32 vcc, s3, v0
	v_lshlrev_b64 v[6:7], 2, v[6:7]
	s_or_b64 s[0:1], vcc, s[0:1]
	v_add_co_u32_e32 v8, vcc, s8, v6
	v_addc_co_u32_e32 v9, vcc, v4, v7, vcc
	v_add_co_u32_e32 v6, vcc, s10, v6
	v_addc_co_u32_e32 v7, vcc, v5, v7, vcc
	global_store_dword v[8:9], v2, off
	global_store_dword v[6:7], v1, off
	s_andn2_b64 exec, exec, s[0:1]
	s_cbranch_execnz .LBB81_21
.LBB81_22:
	s_endpgm
	.section	.rodata,"a",@progbits
	.p2align	6, 0x0
	.amdhsa_kernel _ZN5aiter19grouped_topk_kernelIN3c108BFloat16EDv4_fLi1ELb1ELb0ELb1EEEvPT_PKS4_PfPimiiiif
		.amdhsa_group_segment_fixed_size 0
		.amdhsa_private_segment_fixed_size 0
		.amdhsa_kernarg_size 320
		.amdhsa_user_sgpr_count 6
		.amdhsa_user_sgpr_private_segment_buffer 1
		.amdhsa_user_sgpr_dispatch_ptr 0
		.amdhsa_user_sgpr_queue_ptr 0
		.amdhsa_user_sgpr_kernarg_segment_ptr 1
		.amdhsa_user_sgpr_dispatch_id 0
		.amdhsa_user_sgpr_flat_scratch_init 0
		.amdhsa_user_sgpr_kernarg_preload_length 0
		.amdhsa_user_sgpr_kernarg_preload_offset 0
		.amdhsa_user_sgpr_private_segment_size 0
		.amdhsa_uses_dynamic_stack 0
		.amdhsa_system_sgpr_private_segment_wavefront_offset 0
		.amdhsa_system_sgpr_workgroup_id_x 1
		.amdhsa_system_sgpr_workgroup_id_y 0
		.amdhsa_system_sgpr_workgroup_id_z 0
		.amdhsa_system_sgpr_workgroup_info 0
		.amdhsa_system_vgpr_workitem_id 0
		.amdhsa_next_free_vgpr 19
		.amdhsa_next_free_sgpr 21
		.amdhsa_accum_offset 20
		.amdhsa_reserve_vcc 1
		.amdhsa_reserve_flat_scratch 0
		.amdhsa_float_round_mode_32 0
		.amdhsa_float_round_mode_16_64 0
		.amdhsa_float_denorm_mode_32 3
		.amdhsa_float_denorm_mode_16_64 3
		.amdhsa_dx10_clamp 1
		.amdhsa_ieee_mode 1
		.amdhsa_fp16_overflow 0
		.amdhsa_tg_split 0
		.amdhsa_exception_fp_ieee_invalid_op 0
		.amdhsa_exception_fp_denorm_src 0
		.amdhsa_exception_fp_ieee_div_zero 0
		.amdhsa_exception_fp_ieee_overflow 0
		.amdhsa_exception_fp_ieee_underflow 0
		.amdhsa_exception_fp_ieee_inexact 0
		.amdhsa_exception_int_div_zero 0
	.end_amdhsa_kernel
	.section	.text._ZN5aiter19grouped_topk_kernelIN3c108BFloat16EDv4_fLi1ELb1ELb0ELb1EEEvPT_PKS4_PfPimiiiif,"axG",@progbits,_ZN5aiter19grouped_topk_kernelIN3c108BFloat16EDv4_fLi1ELb1ELb0ELb1EEEvPT_PKS4_PfPimiiiif,comdat
.Lfunc_end81:
	.size	_ZN5aiter19grouped_topk_kernelIN3c108BFloat16EDv4_fLi1ELb1ELb0ELb1EEEvPT_PKS4_PfPimiiiif, .Lfunc_end81-_ZN5aiter19grouped_topk_kernelIN3c108BFloat16EDv4_fLi1ELb1ELb0ELb1EEEvPT_PKS4_PfPimiiiif
                                        ; -- End function
	.section	.AMDGPU.csdata,"",@progbits
; Kernel info:
; codeLenInByte = 1840
; NumSgprs: 25
; NumVgprs: 19
; NumAgprs: 0
; TotalNumVgprs: 19
; ScratchSize: 0
; MemoryBound: 0
; FloatMode: 240
; IeeeMode: 1
; LDSByteSize: 0 bytes/workgroup (compile time only)
; SGPRBlocks: 3
; VGPRBlocks: 2
; NumSGPRsForWavesPerEU: 25
; NumVGPRsForWavesPerEU: 19
; AccumOffset: 20
; Occupancy: 8
; WaveLimiterHint : 0
; COMPUTE_PGM_RSRC2:SCRATCH_EN: 0
; COMPUTE_PGM_RSRC2:USER_SGPR: 6
; COMPUTE_PGM_RSRC2:TRAP_HANDLER: 0
; COMPUTE_PGM_RSRC2:TGID_X_EN: 1
; COMPUTE_PGM_RSRC2:TGID_Y_EN: 0
; COMPUTE_PGM_RSRC2:TGID_Z_EN: 0
; COMPUTE_PGM_RSRC2:TIDIG_COMP_CNT: 0
; COMPUTE_PGM_RSRC3_GFX90A:ACCUM_OFFSET: 4
; COMPUTE_PGM_RSRC3_GFX90A:TG_SPLIT: 0
	.section	.text._ZN5aiter19grouped_topk_kernelIfDv4_fLi1ELb1ELb0ELb0EEEvPT_PKS2_PfPimiiiif,"axG",@progbits,_ZN5aiter19grouped_topk_kernelIfDv4_fLi1ELb1ELb0ELb0EEEvPT_PKS2_PfPimiiiif,comdat
	.protected	_ZN5aiter19grouped_topk_kernelIfDv4_fLi1ELb1ELb0ELb0EEEvPT_PKS2_PfPimiiiif ; -- Begin function _ZN5aiter19grouped_topk_kernelIfDv4_fLi1ELb1ELb0ELb0EEEvPT_PKS2_PfPimiiiif
	.globl	_ZN5aiter19grouped_topk_kernelIfDv4_fLi1ELb1ELb0ELb0EEEvPT_PKS2_PfPimiiiif
	.p2align	8
	.type	_ZN5aiter19grouped_topk_kernelIfDv4_fLi1ELb1ELb0ELb0EEEvPT_PKS2_PfPimiiiif,@function
_ZN5aiter19grouped_topk_kernelIfDv4_fLi1ELb1ELb0ELb0EEEvPT_PKS2_PfPimiiiif: ; @_ZN5aiter19grouped_topk_kernelIfDv4_fLi1ELb1ELb0ELb0EEEvPT_PKS2_PfPimiiiif
; %bb.0:
	s_load_dwordx2 s[16:17], s[4:5], 0x28
	s_load_dwordx4 s[12:15], s[4:5], 0x10
	s_waitcnt lgkmcnt(0)
	s_ashr_i32 s0, s16, 31
	s_lshr_b32 s0, s0, 30
	s_add_i32 s0, s16, s0
	s_ashr_i32 s7, s0, 2
	v_cmp_gt_i32_e64 s[0:1], s7, v0
	s_and_saveexec_b64 s[18:19], s[0:1]
	s_cbranch_execz .LBB82_3
; %bb.1:
	s_load_dword s10, s[4:5], 0x4c
	s_load_dwordx2 s[2:3], s[4:5], 0x0
	s_mul_i32 s8, s6, s16
	s_ashr_i32 s9, s8, 31
	s_lshl_b64 s[8:9], s[8:9], 2
	s_waitcnt lgkmcnt(0)
	s_and_b32 s16, s10, 0xffff
	s_add_u32 s2, s2, s8
	v_lshlrev_b32_e32 v1, 4, v0
	s_addc_u32 s3, s3, s9
	s_mov_b32 s11, 0
	v_mov_b32_e32 v2, s3
	v_add_co_u32_e32 v6, vcc, s2, v1
	v_addc_co_u32_e32 v7, vcc, 0, v2, vcc
	s_lshl_b32 s22, s16, 4
	v_add_u32_e32 v1, 0, v1
	s_mov_b64 s[20:21], 0
	s_mov_b32 s23, 0xbfb8aa3b
	s_mov_b32 s24, 0x42ce8ed0
	;; [unrolled: 1-line block ×3, first 2 shown]
	v_mov_b32_e32 v8, 0x7f800000
	v_mov_b32_e32 v9, s11
	;; [unrolled: 1-line block ×3, first 2 shown]
.LBB82_2:                               ; =>This Inner Loop Header: Depth=1
	global_load_dwordx4 v[2:5], v[6:7], off
	v_add_co_u32_e32 v6, vcc, s22, v6
	v_add_u32_e32 v10, s16, v10
	v_addc_co_u32_e32 v7, vcc, v7, v9, vcc
	v_cmp_le_i32_e32 vcc, s7, v10
	s_or_b64 s[20:21], vcc, s[20:21]
	s_waitcnt vmcnt(0)
	v_mul_f32_e32 v11, 0xbfb8aa3b, v3
	v_mul_f32_e32 v12, 0xbfb8aa3b, v2
	v_rndne_f32_e32 v15, v11
	v_fma_f32 v16, v3, s23, -v11
	v_rndne_f32_e32 v17, v12
	v_fma_f32 v18, v2, s23, -v12
	v_mul_f32_e32 v13, 0xbfb8aa3b, v5
	v_mul_f32_e32 v14, 0xbfb8aa3b, v4
	v_sub_f32_e32 v11, v11, v15
	v_fmac_f32_e32 v16, 0xb2a5705f, v3
	v_sub_f32_e32 v12, v12, v17
	v_fmac_f32_e32 v18, 0xb2a5705f, v2
	v_rndne_f32_e32 v19, v13
	v_fma_f32 v20, v5, s23, -v13
	v_rndne_f32_e32 v21, v14
	v_fma_f32 v22, v4, s23, -v14
	v_add_f32_e32 v11, v11, v16
	v_add_f32_e32 v12, v12, v18
	v_cvt_i32_f32_e32 v15, v15
	v_cvt_i32_f32_e32 v17, v17
	v_sub_f32_e32 v13, v13, v19
	v_fmac_f32_e32 v20, 0xb2a5705f, v5
	v_sub_f32_e32 v14, v14, v21
	v_fmac_f32_e32 v22, 0xb2a5705f, v4
	v_exp_f32_e32 v11, v11
	v_exp_f32_e32 v12, v12
	v_add_f32_e32 v13, v13, v20
	v_add_f32_e32 v14, v14, v22
	v_cvt_i32_f32_e32 v19, v19
	v_cvt_i32_f32_e32 v21, v21
	v_exp_f32_e32 v13, v13
	v_exp_f32_e32 v14, v14
	v_ldexp_f32 v11, v11, v15
	v_ldexp_f32 v12, v12, v17
	v_cmp_nlt_f32_e32 vcc, s24, v2
	v_cmp_nlt_f32_e64 s[10:11], s24, v3
	v_cndmask_b32_e64 v11, 0, v11, s[10:11]
	v_cndmask_b32_e32 v12, 0, v12, vcc
	v_cmp_ngt_f32_e32 vcc, s25, v2
	v_cmp_ngt_f32_e64 s[10:11], s25, v3
	v_ldexp_f32 v13, v13, v19
	v_cmp_nlt_f32_e64 s[2:3], s24, v5
	v_ldexp_f32 v14, v14, v21
	v_cmp_nlt_f32_e64 s[8:9], s24, v4
	v_cndmask_b32_e64 v3, v8, v11, s[10:11]
	v_cndmask_b32_e32 v2, v8, v12, vcc
	v_cndmask_b32_e64 v13, 0, v13, s[2:3]
	v_cmp_ngt_f32_e64 s[2:3], s25, v5
	v_cndmask_b32_e64 v14, 0, v14, s[8:9]
	v_cmp_ngt_f32_e64 s[8:9], s25, v4
	v_pk_add_f32 v[2:3], v[2:3], 1.0 op_sel_hi:[1,0]
	v_cndmask_b32_e64 v5, v8, v13, s[2:3]
	v_cndmask_b32_e64 v4, v8, v14, s[8:9]
	v_div_scale_f32 v11, s[2:3], v3, v3, 1.0
	v_pk_add_f32 v[4:5], v[4:5], 1.0 op_sel_hi:[1,0]
	v_div_scale_f32 v13, s[2:3], v2, v2, 1.0
	v_rcp_f32_e32 v19, v11
	v_div_scale_f32 v15, s[8:9], v5, v5, 1.0
	v_rcp_f32_e32 v20, v13
	;; [unrolled: 2-line block ×3, first 2 shown]
	v_rcp_f32_e32 v22, v17
	v_fma_f32 v23, -v11, v19, 1.0
	v_div_scale_f32 v12, vcc, 1.0, v3, 1.0
	v_fma_f32 v24, -v13, v20, 1.0
	v_fmac_f32_e32 v19, v23, v19
	v_div_scale_f32 v14, s[2:3], 1.0, v2, 1.0
	v_fma_f32 v25, -v15, v21, 1.0
	v_fmac_f32_e32 v20, v24, v20
	v_mul_f32_e32 v23, v12, v19
	v_div_scale_f32 v16, s[8:9], 1.0, v5, 1.0
	v_fma_f32 v26, -v17, v22, 1.0
	v_fmac_f32_e32 v21, v25, v21
	v_mul_f32_e32 v24, v14, v20
	v_fma_f32 v27, -v11, v23, v12
	v_div_scale_f32 v18, s[10:11], 1.0, v4, 1.0
	v_fmac_f32_e32 v22, v26, v22
	v_mul_f32_e32 v25, v16, v21
	v_fma_f32 v28, -v13, v24, v14
	v_fmac_f32_e32 v23, v27, v19
	v_mul_f32_e32 v26, v18, v22
	v_fma_f32 v29, -v15, v25, v16
	v_fmac_f32_e32 v24, v28, v20
	v_fma_f32 v11, -v11, v23, v12
	v_fma_f32 v30, -v17, v26, v18
	v_fmac_f32_e32 v25, v29, v21
	v_fma_f32 v12, -v13, v24, v14
	v_div_fmas_f32 v11, v11, v19, v23
	s_mov_b64 vcc, s[2:3]
	v_fmac_f32_e32 v26, v30, v22
	v_fma_f32 v13, -v15, v25, v16
	v_div_fixup_f32 v3, v11, v3, 1.0
	v_div_fmas_f32 v11, v12, v20, v24
	s_mov_b64 vcc, s[8:9]
	v_fma_f32 v14, -v17, v26, v18
	v_div_fixup_f32 v2, v11, v2, 1.0
	v_div_fmas_f32 v11, v13, v21, v25
	s_mov_b64 vcc, s[10:11]
	v_div_fixup_f32 v5, v11, v5, 1.0
	v_div_fmas_f32 v11, v14, v22, v26
	v_div_fixup_f32 v4, v11, v4, 1.0
	ds_write_b128 v1, v[2:5]
	v_add_u32_e32 v1, s22, v1
	s_andn2_b64 exec, exec, s[20:21]
	s_cbranch_execnz .LBB82_2
.LBB82_3:
	s_or_b64 exec, exec, s[18:19]
	s_cmp_lt_i32 s17, 1
	s_waitcnt lgkmcnt(0)
	s_barrier
	s_cbranch_scc1 .LBB82_10
; %bb.4:
	s_add_u32 s2, s4, 64
	s_addc_u32 s3, s5, 0
	v_lshlrev_b32_e32 v4, 2, v0
	s_mov_b32 s16, 0
	v_lshl_add_u32 v5, v0, 4, 0
	v_mov_b32_e32 v2, 0
	v_mov_b32_e32 v6, 0xff800000
                                        ; implicit-def: $vgpr3
                                        ; implicit-def: $vgpr1
	s_branch .LBB82_6
.LBB82_5:                               ;   in Loop: Header=BB82_6 Depth=1
	s_or_b64 exec, exec, s[8:9]
	v_mov_b32_dpp v10, v8 quad_perm:[1,0,3,2] row_mask:0xf bank_mask:0xf
	v_cmp_lt_f32_e32 vcc, v8, v10
	v_cndmask_b32_e32 v8, v8, v10, vcc
	v_mov_b32_dpp v9, v7 quad_perm:[1,0,3,2] row_mask:0xf bank_mask:0xf
	v_cndmask_b32_e32 v7, v7, v9, vcc
	v_mov_b32_dpp v10, v8 quad_perm:[2,3,0,1] row_mask:0xf bank_mask:0xf
	v_cmp_gt_f32_e32 vcc, v10, v8
	v_cndmask_b32_e32 v8, v8, v10, vcc
	v_mov_b32_dpp v9, v7 quad_perm:[2,3,0,1] row_mask:0xf bank_mask:0xf
	v_cndmask_b32_e32 v7, v7, v9, vcc
	v_mov_b32_dpp v10, v8 row_half_mirror row_mask:0xf bank_mask:0xf
	v_cmp_gt_f32_e32 vcc, v10, v8
	v_cndmask_b32_e32 v8, v8, v10, vcc
	v_mov_b32_dpp v9, v7 row_half_mirror row_mask:0xf bank_mask:0xf
	v_cndmask_b32_e32 v7, v7, v9, vcc
	v_mov_b32_dpp v10, v8 row_mirror row_mask:0xf bank_mask:0xf
	v_cmp_gt_f32_e32 vcc, v10, v8
	v_cndmask_b32_e32 v8, v8, v10, vcc
	v_mov_b32_dpp v9, v7 row_mirror row_mask:0xf bank_mask:0xf
	v_cndmask_b32_e32 v7, v7, v9, vcc
	v_mov_b32_dpp v10, v8 row_bcast:15 row_mask:0xf bank_mask:0xf
	v_cmp_gt_f32_e32 vcc, v10, v8
	v_mov_b32_dpp v9, v7 row_bcast:15 row_mask:0xf bank_mask:0xf
	v_cndmask_b32_e32 v8, v8, v10, vcc
	v_cndmask_b32_e32 v7, v7, v9, vcc
	s_nop 0
	v_mov_b32_dpp v10, v8 row_bcast:31 row_mask:0xf bank_mask:0xf
	v_mov_b32_dpp v9, v7 row_bcast:31 row_mask:0xf bank_mask:0xf
	v_cmp_gt_f32_e32 vcc, v10, v8
	v_cndmask_b32_e32 v7, v7, v9, vcc
	v_readlane_b32 s9, v7, 63
	s_lshl_b32 s10, s9, 2
	s_add_i32 s10, s10, 0
	v_cndmask_b32_e32 v8, v8, v10, vcc
	v_mov_b32_e32 v7, s10
	v_readlane_b32 s8, v8, 63
	ds_write_b32 v7, v6
	v_mov_b32_e32 v7, s9
	v_cmp_eq_u32_e32 vcc, s16, v0
	v_cndmask_b32_e32 v1, v1, v7, vcc
	v_mov_b32_e32 v7, s8
	s_add_i32 s16, s16, 1
	v_cndmask_b32_e32 v3, v3, v7, vcc
	s_cmp_eq_u32 s16, s17
	v_add_f32_e32 v2, s8, v2
	s_cbranch_scc1 .LBB82_11
.LBB82_6:                               ; =>This Loop Header: Depth=1
                                        ;     Child Loop BB82_8 Depth 2
	v_mov_b32_e32 v7, s16
	v_mov_b32_e32 v8, 0xff800000
	s_and_saveexec_b64 s[8:9], s[0:1]
	s_cbranch_execz .LBB82_5
; %bb.7:                                ;   in Loop: Header=BB82_6 Depth=1
	s_load_dword s18, s[2:3], 0xc
	s_mov_b64 s[10:11], 0
	v_mov_b32_e32 v7, s16
	v_mov_b32_e32 v8, 0xff800000
	;; [unrolled: 1-line block ×3, first 2 shown]
	s_waitcnt lgkmcnt(0)
	s_and_b32 s18, s18, 0xffff
	s_lshl_b32 s19, s18, 2
	s_lshl_b32 s20, s18, 4
	v_mov_b32_e32 v10, v4
	v_mov_b32_e32 v11, v0
.LBB82_8:                               ;   Parent Loop BB82_6 Depth=1
                                        ; =>  This Inner Loop Header: Depth=2
	ds_read_b128 v[12:15], v9
	v_add_u32_e32 v11, s18, v11
	v_cmp_le_i32_e32 vcc, s7, v11
	s_or_b64 s[10:11], vcc, s[10:11]
	v_add_u32_e32 v16, 1, v10
	s_waitcnt lgkmcnt(0)
	v_cmp_gt_f32_e32 vcc, v12, v8
	v_cndmask_b32_e32 v8, v8, v12, vcc
	v_cndmask_b32_e32 v7, v7, v10, vcc
	v_cmp_gt_f32_e32 vcc, v13, v8
	v_cndmask_b32_e32 v8, v8, v13, vcc
	v_cndmask_b32_e32 v7, v7, v16, vcc
	v_cmp_gt_f32_e32 vcc, v14, v8
	v_add_u32_e32 v17, 2, v10
	v_cndmask_b32_e32 v8, v8, v14, vcc
	v_add_u32_e32 v18, 3, v10
	v_cndmask_b32_e32 v7, v7, v17, vcc
	v_cmp_gt_f32_e32 vcc, v15, v8
	v_add_u32_e32 v9, s20, v9
	v_add_u32_e32 v10, s19, v10
	v_cndmask_b32_e32 v8, v8, v15, vcc
	v_cndmask_b32_e32 v7, v7, v18, vcc
	s_andn2_b64 exec, exec, s[10:11]
	s_cbranch_execnz .LBB82_8
; %bb.9:                                ;   in Loop: Header=BB82_6 Depth=1
	s_or_b64 exec, exec, s[10:11]
	s_branch .LBB82_5
.LBB82_10:
	v_mov_b32_e32 v2, 0
                                        ; implicit-def: $vgpr3
                                        ; implicit-def: $vgpr1
.LBB82_11:
	v_cmp_gt_i32_e32 vcc, s17, v0
	s_and_saveexec_b64 s[0:1], vcc
	s_cbranch_execz .LBB82_14
; %bb.12:
	s_load_dword s7, s[4:5], 0x38
	s_load_dwordx2 s[0:1], s[4:5], 0x20
	s_load_dword s8, s[4:5], 0x4c
	s_waitcnt lgkmcnt(0)
	v_div_scale_f32 v4, s[2:3], v2, v2, s7
	v_rcp_f32_e32 v5, v4
	v_div_scale_f32 v6, vcc, s7, v2, s7
	s_ashr_i32 s2, s6, 31
	v_fma_f32 v7, -v4, v5, 1.0
	v_fmac_f32_e32 v5, v7, v5
	v_mul_f32_e32 v7, v6, v5
	v_fma_f32 v8, -v4, v7, v6
	v_fmac_f32_e32 v7, v8, v5
	v_fma_f32 v4, -v4, v7, v6
	s_mul_i32 s1, s6, s1
	s_mul_hi_u32 s3, s6, s0
	v_div_fmas_f32 v4, v4, v5, v7
	s_add_i32 s1, s3, s1
	s_mul_i32 s2, s2, s0
	v_div_fixup_f32 v2, v4, v2, s7
	s_add_i32 s4, s1, s2
	v_mul_f32_e32 v2, v2, v3
	s_mul_i32 s2, s6, s0
	s_and_b32 s3, s8, 0xffff
	s_mov_b64 s[0:1], 0
	v_mov_b32_e32 v3, s4
	v_mov_b32_e32 v4, s13
	;; [unrolled: 1-line block ×3, first 2 shown]
.LBB82_13:                              ; =>This Inner Loop Header: Depth=1
	v_ashrrev_i32_e32 v7, 31, v0
	v_add_co_u32_e32 v6, vcc, s2, v0
	v_addc_co_u32_e32 v7, vcc, v3, v7, vcc
	v_add_u32_e32 v0, s3, v0
	v_cmp_le_i32_e32 vcc, s17, v0
	v_lshlrev_b64 v[6:7], 2, v[6:7]
	s_or_b64 s[0:1], vcc, s[0:1]
	v_add_co_u32_e32 v8, vcc, s12, v6
	v_addc_co_u32_e32 v9, vcc, v4, v7, vcc
	v_add_co_u32_e32 v6, vcc, s14, v6
	v_addc_co_u32_e32 v7, vcc, v5, v7, vcc
	global_store_dword v[8:9], v2, off
	global_store_dword v[6:7], v1, off
	s_andn2_b64 exec, exec, s[0:1]
	s_cbranch_execnz .LBB82_13
.LBB82_14:
	s_endpgm
	.section	.rodata,"a",@progbits
	.p2align	6, 0x0
	.amdhsa_kernel _ZN5aiter19grouped_topk_kernelIfDv4_fLi1ELb1ELb0ELb0EEEvPT_PKS2_PfPimiiiif
		.amdhsa_group_segment_fixed_size 0
		.amdhsa_private_segment_fixed_size 0
		.amdhsa_kernarg_size 320
		.amdhsa_user_sgpr_count 6
		.amdhsa_user_sgpr_private_segment_buffer 1
		.amdhsa_user_sgpr_dispatch_ptr 0
		.amdhsa_user_sgpr_queue_ptr 0
		.amdhsa_user_sgpr_kernarg_segment_ptr 1
		.amdhsa_user_sgpr_dispatch_id 0
		.amdhsa_user_sgpr_flat_scratch_init 0
		.amdhsa_user_sgpr_kernarg_preload_length 0
		.amdhsa_user_sgpr_kernarg_preload_offset 0
		.amdhsa_user_sgpr_private_segment_size 0
		.amdhsa_uses_dynamic_stack 0
		.amdhsa_system_sgpr_private_segment_wavefront_offset 0
		.amdhsa_system_sgpr_workgroup_id_x 1
		.amdhsa_system_sgpr_workgroup_id_y 0
		.amdhsa_system_sgpr_workgroup_id_z 0
		.amdhsa_system_sgpr_workgroup_info 0
		.amdhsa_system_vgpr_workitem_id 0
		.amdhsa_next_free_vgpr 31
		.amdhsa_next_free_sgpr 26
		.amdhsa_accum_offset 32
		.amdhsa_reserve_vcc 1
		.amdhsa_reserve_flat_scratch 0
		.amdhsa_float_round_mode_32 0
		.amdhsa_float_round_mode_16_64 0
		.amdhsa_float_denorm_mode_32 3
		.amdhsa_float_denorm_mode_16_64 3
		.amdhsa_dx10_clamp 1
		.amdhsa_ieee_mode 1
		.amdhsa_fp16_overflow 0
		.amdhsa_tg_split 0
		.amdhsa_exception_fp_ieee_invalid_op 0
		.amdhsa_exception_fp_denorm_src 0
		.amdhsa_exception_fp_ieee_div_zero 0
		.amdhsa_exception_fp_ieee_overflow 0
		.amdhsa_exception_fp_ieee_underflow 0
		.amdhsa_exception_fp_ieee_inexact 0
		.amdhsa_exception_int_div_zero 0
	.end_amdhsa_kernel
	.section	.text._ZN5aiter19grouped_topk_kernelIfDv4_fLi1ELb1ELb0ELb0EEEvPT_PKS2_PfPimiiiif,"axG",@progbits,_ZN5aiter19grouped_topk_kernelIfDv4_fLi1ELb1ELb0ELb0EEEvPT_PKS2_PfPimiiiif,comdat
.Lfunc_end82:
	.size	_ZN5aiter19grouped_topk_kernelIfDv4_fLi1ELb1ELb0ELb0EEEvPT_PKS2_PfPimiiiif, .Lfunc_end82-_ZN5aiter19grouped_topk_kernelIfDv4_fLi1ELb1ELb0ELb0EEEvPT_PKS2_PfPimiiiif
                                        ; -- End function
	.section	.AMDGPU.csdata,"",@progbits
; Kernel info:
; codeLenInByte = 1600
; NumSgprs: 30
; NumVgprs: 31
; NumAgprs: 0
; TotalNumVgprs: 31
; ScratchSize: 0
; MemoryBound: 0
; FloatMode: 240
; IeeeMode: 1
; LDSByteSize: 0 bytes/workgroup (compile time only)
; SGPRBlocks: 3
; VGPRBlocks: 3
; NumSGPRsForWavesPerEU: 30
; NumVGPRsForWavesPerEU: 31
; AccumOffset: 32
; Occupancy: 8
; WaveLimiterHint : 0
; COMPUTE_PGM_RSRC2:SCRATCH_EN: 0
; COMPUTE_PGM_RSRC2:USER_SGPR: 6
; COMPUTE_PGM_RSRC2:TRAP_HANDLER: 0
; COMPUTE_PGM_RSRC2:TGID_X_EN: 1
; COMPUTE_PGM_RSRC2:TGID_Y_EN: 0
; COMPUTE_PGM_RSRC2:TGID_Z_EN: 0
; COMPUTE_PGM_RSRC2:TIDIG_COMP_CNT: 0
; COMPUTE_PGM_RSRC3_GFX90A:ACCUM_OFFSET: 7
; COMPUTE_PGM_RSRC3_GFX90A:TG_SPLIT: 0
	.section	.text._ZN5aiter19grouped_topk_kernelIN3c104HalfEDv4_fLi1ELb1ELb0ELb0EEEvPT_PKS4_PfPimiiiif,"axG",@progbits,_ZN5aiter19grouped_topk_kernelIN3c104HalfEDv4_fLi1ELb1ELb0ELb0EEEvPT_PKS4_PfPimiiiif,comdat
	.protected	_ZN5aiter19grouped_topk_kernelIN3c104HalfEDv4_fLi1ELb1ELb0ELb0EEEvPT_PKS4_PfPimiiiif ; -- Begin function _ZN5aiter19grouped_topk_kernelIN3c104HalfEDv4_fLi1ELb1ELb0ELb0EEEvPT_PKS4_PfPimiiiif
	.globl	_ZN5aiter19grouped_topk_kernelIN3c104HalfEDv4_fLi1ELb1ELb0ELb0EEEvPT_PKS4_PfPimiiiif
	.p2align	8
	.type	_ZN5aiter19grouped_topk_kernelIN3c104HalfEDv4_fLi1ELb1ELb0ELb0EEEvPT_PKS4_PfPimiiiif,@function
_ZN5aiter19grouped_topk_kernelIN3c104HalfEDv4_fLi1ELb1ELb0ELb0EEEvPT_PKS4_PfPimiiiif: ; @_ZN5aiter19grouped_topk_kernelIN3c104HalfEDv4_fLi1ELb1ELb0ELb0EEEvPT_PKS4_PfPimiiiif
; %bb.0:
	s_load_dwordx2 s[16:17], s[4:5], 0x28
	s_load_dwordx4 s[12:15], s[4:5], 0x10
	v_lshl_add_u32 v1, v0, 4, 0
	s_waitcnt lgkmcnt(0)
	s_ashr_i32 s0, s16, 31
	s_lshr_b32 s0, s0, 30
	s_add_i32 s0, s16, s0
	s_ashr_i32 s7, s0, 2
	v_cmp_gt_i32_e64 s[0:1], s7, v0
	s_and_saveexec_b64 s[18:19], s[0:1]
	s_cbranch_execz .LBB83_3
; %bb.1:
	s_load_dword s10, s[4:5], 0x4c
	s_load_dwordx2 s[2:3], s[4:5], 0x0
	s_mul_i32 s8, s6, s16
	s_ashr_i32 s9, s8, 31
	s_lshl_b64 s[8:9], s[8:9], 1
	s_waitcnt lgkmcnt(0)
	s_and_b32 s16, s10, 0xffff
	s_add_u32 s2, s2, s8
	v_lshlrev_b32_e32 v2, 3, v0
	s_addc_u32 s3, s3, s9
	s_mov_b32 s10, 0
	v_mov_b32_e32 v3, s3
	v_add_co_u32_e32 v2, vcc, s2, v2
	v_addc_co_u32_e32 v3, vcc, 0, v3, vcc
	s_lshl_b32 s22, s16, 3
	v_lshl_add_u32 v6, v0, 4, 0
	s_lshl_b32 s23, s16, 4
	s_mov_b64 s[20:21], 0
	s_mov_b32 s24, 0x3fb8aa3b
	s_mov_b32 s25, 0x32a5705f
	;; [unrolled: 1-line block ×4, first 2 shown]
	v_mov_b32_e32 v7, 0x7f800000
	v_mov_b32_e32 v8, s10
	;; [unrolled: 1-line block ×3, first 2 shown]
.LBB83_2:                               ; =>This Inner Loop Header: Depth=1
	global_load_dwordx2 v[4:5], v[2:3], off
	v_add_co_u32_e32 v2, vcc, s22, v2
	v_add_u32_e32 v9, s16, v9
	v_addc_co_u32_e32 v3, vcc, v3, v8, vcc
	v_cmp_le_i32_e32 vcc, s7, v9
	s_or_b64 s[20:21], vcc, s[20:21]
	s_waitcnt vmcnt(0)
	v_cvt_f32_f16_e64 v10, -v5
	v_cvt_f32_f16_sdwa v11, -v5 dst_sel:DWORD dst_unused:UNUSED_PAD src0_sel:WORD_1
	v_cvt_f32_f16_e64 v12, -v4
	v_cvt_f32_f16_sdwa v13, -v4 dst_sel:DWORD dst_unused:UNUSED_PAD src0_sel:WORD_1
	v_mul_f32_e32 v14, 0x3fb8aa3b, v10
	v_mul_f32_e32 v15, 0x3fb8aa3b, v11
	;; [unrolled: 1-line block ×4, first 2 shown]
	v_rndne_f32_e32 v18, v14
	v_fma_mix_f32 v19, -v5, s24, -v14 op_sel_hi:[1,0,0]
	v_rndne_f32_e32 v20, v15
	v_fma_mix_f32 v21, -v5, s24, -v15 op_sel:[1,0,0] op_sel_hi:[1,0,0]
	v_rndne_f32_e32 v22, v16
	v_fma_mix_f32 v23, -v4, s24, -v16 op_sel_hi:[1,0,0]
	v_rndne_f32_e32 v24, v17
	v_fma_mix_f32 v25, -v4, s24, -v17 op_sel:[1,0,0] op_sel_hi:[1,0,0]
	v_sub_f32_e32 v14, v14, v18
	v_fma_mix_f32 v19, -v5, s25, v19 op_sel_hi:[1,0,0]
	v_sub_f32_e32 v15, v15, v20
	v_fma_mix_f32 v5, -v5, s25, v21 op_sel:[1,0,0] op_sel_hi:[1,0,0]
	v_sub_f32_e32 v16, v16, v22
	v_fma_mix_f32 v21, -v4, s25, v23 op_sel_hi:[1,0,0]
	v_sub_f32_e32 v17, v17, v24
	v_fma_mix_f32 v4, -v4, s25, v25 op_sel:[1,0,0] op_sel_hi:[1,0,0]
	v_add_f32_e32 v14, v14, v19
	v_add_f32_e32 v5, v15, v5
	v_cvt_i32_f32_e32 v18, v18
	v_cvt_i32_f32_e32 v20, v20
	v_add_f32_e32 v15, v16, v21
	v_add_f32_e32 v4, v17, v4
	v_exp_f32_e32 v14, v14
	v_exp_f32_e32 v5, v5
	v_cvt_i32_f32_e32 v22, v22
	v_cvt_i32_f32_e32 v23, v24
	v_exp_f32_e32 v15, v15
	v_exp_f32_e32 v4, v4
	v_ldexp_f32 v14, v14, v18
	v_ldexp_f32 v5, v5, v20
	v_cmp_ngt_f32_e32 vcc, s26, v11
	v_cmp_ngt_f32_e64 s[10:11], s26, v10
	v_ldexp_f32 v15, v15, v22
	v_cmp_ngt_f32_e64 s[2:3], s26, v12
	v_ldexp_f32 v4, v4, v23
	v_cmp_ngt_f32_e64 s[8:9], s26, v13
	v_cndmask_b32_e64 v14, 0, v14, s[10:11]
	v_cndmask_b32_e32 v5, 0, v5, vcc
	v_cmp_nlt_f32_e32 vcc, s27, v11
	v_cmp_nlt_f32_e64 s[10:11], s27, v10
	v_cndmask_b32_e64 v11, 0, v15, s[2:3]
	v_cmp_nlt_f32_e64 s[2:3], s27, v12
	v_cndmask_b32_e64 v12, 0, v4, s[8:9]
	v_cndmask_b32_e64 v4, v7, v14, s[10:11]
	v_cndmask_b32_e32 v5, v7, v5, vcc
	v_cmp_nlt_f32_e64 s[8:9], s27, v13
	v_pk_add_f32 v[4:5], v[4:5], 1.0 op_sel_hi:[1,0]
	v_cndmask_b32_e64 v10, v7, v11, s[2:3]
	v_cndmask_b32_e64 v11, v7, v12, s[8:9]
	v_div_scale_f32 v12, s[2:3], v5, v5, 1.0
	v_pk_add_f32 v[10:11], v[10:11], 1.0 op_sel_hi:[1,0]
	v_div_scale_f32 v14, s[2:3], v4, v4, 1.0
	v_rcp_f32_e32 v20, v12
	v_div_scale_f32 v16, s[8:9], v11, v11, 1.0
	v_rcp_f32_e32 v21, v14
	;; [unrolled: 2-line block ×3, first 2 shown]
	v_rcp_f32_e32 v23, v18
	v_fma_f32 v24, -v12, v20, 1.0
	v_div_scale_f32 v13, vcc, 1.0, v5, 1.0
	v_fma_f32 v25, -v14, v21, 1.0
	v_fmac_f32_e32 v20, v24, v20
	v_div_scale_f32 v15, s[2:3], 1.0, v4, 1.0
	v_fma_f32 v26, -v16, v22, 1.0
	v_fmac_f32_e32 v21, v25, v21
	v_mul_f32_e32 v24, v13, v20
	v_div_scale_f32 v17, s[8:9], 1.0, v11, 1.0
	v_fma_f32 v27, -v18, v23, 1.0
	v_fmac_f32_e32 v22, v26, v22
	v_mul_f32_e32 v25, v15, v21
	v_fma_f32 v28, -v12, v24, v13
	v_div_scale_f32 v19, s[10:11], 1.0, v10, 1.0
	v_fmac_f32_e32 v23, v27, v23
	v_mul_f32_e32 v26, v17, v22
	v_fma_f32 v29, -v14, v25, v15
	v_fmac_f32_e32 v24, v28, v20
	v_mul_f32_e32 v27, v19, v23
	v_fma_f32 v30, -v16, v26, v17
	v_fmac_f32_e32 v25, v29, v21
	v_fma_f32 v12, -v12, v24, v13
	v_fma_f32 v31, -v18, v27, v19
	v_fmac_f32_e32 v26, v30, v22
	v_fma_f32 v14, -v14, v25, v15
	v_div_fmas_f32 v12, v12, v20, v24
	s_mov_b64 vcc, s[2:3]
	v_fmac_f32_e32 v27, v31, v23
	v_fma_f32 v15, -v16, v26, v17
	v_div_fixup_f32 v13, v12, v5, 1.0
	v_div_fmas_f32 v5, v14, v21, v25
	s_mov_b64 vcc, s[8:9]
	v_fma_f32 v16, -v18, v27, v19
	v_div_fixup_f32 v12, v5, v4, 1.0
	v_div_fmas_f32 v4, v15, v22, v26
	s_mov_b64 vcc, s[10:11]
	v_div_fixup_f32 v11, v4, v11, 1.0
	v_div_fmas_f32 v4, v16, v23, v27
	v_div_fixup_f32 v10, v4, v10, 1.0
	ds_write_b128 v6, v[10:13]
	v_add_u32_e32 v6, s23, v6
	s_andn2_b64 exec, exec, s[20:21]
	s_cbranch_execnz .LBB83_2
.LBB83_3:
	s_or_b64 exec, exec, s[18:19]
	s_cmp_lt_i32 s17, 1
	s_waitcnt lgkmcnt(0)
	s_barrier
	s_cbranch_scc1 .LBB83_10
; %bb.4:
	s_add_u32 s2, s4, 64
	s_addc_u32 s3, s5, 0
	v_lshlrev_b32_e32 v5, 2, v0
	s_mov_b32 s16, 0
	v_mov_b32_e32 v3, 0
	v_mov_b32_e32 v6, 0xff800000
                                        ; implicit-def: $vgpr4
                                        ; implicit-def: $vgpr2
	s_branch .LBB83_6
.LBB83_5:                               ;   in Loop: Header=BB83_6 Depth=1
	s_or_b64 exec, exec, s[8:9]
	v_mov_b32_dpp v10, v8 quad_perm:[1,0,3,2] row_mask:0xf bank_mask:0xf
	v_cmp_lt_f32_e32 vcc, v8, v10
	v_cndmask_b32_e32 v8, v8, v10, vcc
	v_mov_b32_dpp v9, v7 quad_perm:[1,0,3,2] row_mask:0xf bank_mask:0xf
	v_cndmask_b32_e32 v7, v7, v9, vcc
	v_mov_b32_dpp v10, v8 quad_perm:[2,3,0,1] row_mask:0xf bank_mask:0xf
	v_cmp_gt_f32_e32 vcc, v10, v8
	v_cndmask_b32_e32 v8, v8, v10, vcc
	v_mov_b32_dpp v9, v7 quad_perm:[2,3,0,1] row_mask:0xf bank_mask:0xf
	v_cndmask_b32_e32 v7, v7, v9, vcc
	v_mov_b32_dpp v10, v8 row_half_mirror row_mask:0xf bank_mask:0xf
	v_cmp_gt_f32_e32 vcc, v10, v8
	v_cndmask_b32_e32 v8, v8, v10, vcc
	v_mov_b32_dpp v9, v7 row_half_mirror row_mask:0xf bank_mask:0xf
	v_cndmask_b32_e32 v7, v7, v9, vcc
	v_mov_b32_dpp v10, v8 row_mirror row_mask:0xf bank_mask:0xf
	v_cmp_gt_f32_e32 vcc, v10, v8
	v_cndmask_b32_e32 v8, v8, v10, vcc
	v_mov_b32_dpp v9, v7 row_mirror row_mask:0xf bank_mask:0xf
	v_cndmask_b32_e32 v7, v7, v9, vcc
	v_mov_b32_dpp v10, v8 row_bcast:15 row_mask:0xf bank_mask:0xf
	v_cmp_gt_f32_e32 vcc, v10, v8
	v_mov_b32_dpp v9, v7 row_bcast:15 row_mask:0xf bank_mask:0xf
	v_cndmask_b32_e32 v8, v8, v10, vcc
	v_cndmask_b32_e32 v7, v7, v9, vcc
	s_nop 0
	v_mov_b32_dpp v10, v8 row_bcast:31 row_mask:0xf bank_mask:0xf
	v_mov_b32_dpp v9, v7 row_bcast:31 row_mask:0xf bank_mask:0xf
	v_cmp_gt_f32_e32 vcc, v10, v8
	v_cndmask_b32_e32 v7, v7, v9, vcc
	v_readlane_b32 s9, v7, 63
	s_lshl_b32 s10, s9, 2
	s_add_i32 s10, s10, 0
	v_cndmask_b32_e32 v8, v8, v10, vcc
	v_mov_b32_e32 v7, s10
	v_readlane_b32 s8, v8, 63
	ds_write_b32 v7, v6
	v_mov_b32_e32 v7, s9
	v_cmp_eq_u32_e32 vcc, s16, v0
	v_cndmask_b32_e32 v2, v2, v7, vcc
	v_mov_b32_e32 v7, s8
	s_add_i32 s16, s16, 1
	v_cndmask_b32_e32 v4, v4, v7, vcc
	s_cmp_eq_u32 s16, s17
	v_add_f32_e32 v3, s8, v3
	s_cbranch_scc1 .LBB83_11
.LBB83_6:                               ; =>This Loop Header: Depth=1
                                        ;     Child Loop BB83_8 Depth 2
	v_mov_b32_e32 v7, s16
	v_mov_b32_e32 v8, 0xff800000
	s_and_saveexec_b64 s[8:9], s[0:1]
	s_cbranch_execz .LBB83_5
; %bb.7:                                ;   in Loop: Header=BB83_6 Depth=1
	s_load_dword s18, s[2:3], 0xc
	s_mov_b64 s[10:11], 0
	v_mov_b32_e32 v7, s16
	v_mov_b32_e32 v8, 0xff800000
	;; [unrolled: 1-line block ×3, first 2 shown]
	s_waitcnt lgkmcnt(0)
	s_and_b32 s18, s18, 0xffff
	s_lshl_b32 s19, s18, 2
	s_lshl_b32 s20, s18, 4
	v_mov_b32_e32 v10, v5
	v_mov_b32_e32 v11, v0
.LBB83_8:                               ;   Parent Loop BB83_6 Depth=1
                                        ; =>  This Inner Loop Header: Depth=2
	ds_read_b128 v[12:15], v9
	v_add_u32_e32 v11, s18, v11
	v_cmp_le_i32_e32 vcc, s7, v11
	s_or_b64 s[10:11], vcc, s[10:11]
	v_add_u32_e32 v16, 1, v10
	s_waitcnt lgkmcnt(0)
	v_cmp_gt_f32_e32 vcc, v12, v8
	v_cndmask_b32_e32 v8, v8, v12, vcc
	v_cndmask_b32_e32 v7, v7, v10, vcc
	v_cmp_gt_f32_e32 vcc, v13, v8
	v_cndmask_b32_e32 v8, v8, v13, vcc
	v_cndmask_b32_e32 v7, v7, v16, vcc
	v_cmp_gt_f32_e32 vcc, v14, v8
	v_add_u32_e32 v17, 2, v10
	v_cndmask_b32_e32 v8, v8, v14, vcc
	v_add_u32_e32 v18, 3, v10
	v_cndmask_b32_e32 v7, v7, v17, vcc
	v_cmp_gt_f32_e32 vcc, v15, v8
	v_add_u32_e32 v9, s20, v9
	v_add_u32_e32 v10, s19, v10
	v_cndmask_b32_e32 v8, v8, v15, vcc
	v_cndmask_b32_e32 v7, v7, v18, vcc
	s_andn2_b64 exec, exec, s[10:11]
	s_cbranch_execnz .LBB83_8
; %bb.9:                                ;   in Loop: Header=BB83_6 Depth=1
	s_or_b64 exec, exec, s[10:11]
	s_branch .LBB83_5
.LBB83_10:
	v_mov_b32_e32 v3, 0
                                        ; implicit-def: $vgpr4
                                        ; implicit-def: $vgpr2
.LBB83_11:
	v_cmp_gt_i32_e32 vcc, s17, v0
	s_and_saveexec_b64 s[0:1], vcc
	s_cbranch_execz .LBB83_14
; %bb.12:
	s_load_dword s7, s[4:5], 0x38
	s_load_dwordx2 s[0:1], s[4:5], 0x20
	s_load_dword s8, s[4:5], 0x4c
	s_waitcnt lgkmcnt(0)
	v_div_scale_f32 v1, s[2:3], v3, v3, s7
	v_rcp_f32_e32 v5, v1
	v_div_scale_f32 v6, vcc, s7, v3, s7
	s_ashr_i32 s2, s6, 31
	v_fma_f32 v7, -v1, v5, 1.0
	v_fmac_f32_e32 v5, v7, v5
	v_mul_f32_e32 v7, v6, v5
	v_fma_f32 v8, -v1, v7, v6
	v_fmac_f32_e32 v7, v8, v5
	v_fma_f32 v1, -v1, v7, v6
	s_mul_i32 s1, s6, s1
	s_mul_hi_u32 s3, s6, s0
	v_div_fmas_f32 v1, v1, v5, v7
	s_add_i32 s1, s3, s1
	s_mul_i32 s2, s2, s0
	v_div_fixup_f32 v1, v1, v3, s7
	s_add_i32 s4, s1, s2
	v_mul_f32_e32 v1, v1, v4
	s_mul_i32 s2, s6, s0
	s_and_b32 s3, s8, 0xffff
	s_mov_b64 s[0:1], 0
	v_mov_b32_e32 v3, s4
	v_mov_b32_e32 v4, s13
	;; [unrolled: 1-line block ×3, first 2 shown]
.LBB83_13:                              ; =>This Inner Loop Header: Depth=1
	v_ashrrev_i32_e32 v7, 31, v0
	v_add_co_u32_e32 v6, vcc, s2, v0
	v_addc_co_u32_e32 v7, vcc, v3, v7, vcc
	v_add_u32_e32 v0, s3, v0
	v_cmp_le_i32_e32 vcc, s17, v0
	v_lshlrev_b64 v[6:7], 2, v[6:7]
	s_or_b64 s[0:1], vcc, s[0:1]
	v_add_co_u32_e32 v8, vcc, s12, v6
	v_addc_co_u32_e32 v9, vcc, v4, v7, vcc
	v_add_co_u32_e32 v6, vcc, s14, v6
	v_addc_co_u32_e32 v7, vcc, v5, v7, vcc
	global_store_dword v[8:9], v1, off
	global_store_dword v[6:7], v2, off
	s_andn2_b64 exec, exec, s[0:1]
	s_cbranch_execnz .LBB83_13
.LBB83_14:
	s_endpgm
	.section	.rodata,"a",@progbits
	.p2align	6, 0x0
	.amdhsa_kernel _ZN5aiter19grouped_topk_kernelIN3c104HalfEDv4_fLi1ELb1ELb0ELb0EEEvPT_PKS4_PfPimiiiif
		.amdhsa_group_segment_fixed_size 0
		.amdhsa_private_segment_fixed_size 0
		.amdhsa_kernarg_size 320
		.amdhsa_user_sgpr_count 6
		.amdhsa_user_sgpr_private_segment_buffer 1
		.amdhsa_user_sgpr_dispatch_ptr 0
		.amdhsa_user_sgpr_queue_ptr 0
		.amdhsa_user_sgpr_kernarg_segment_ptr 1
		.amdhsa_user_sgpr_dispatch_id 0
		.amdhsa_user_sgpr_flat_scratch_init 0
		.amdhsa_user_sgpr_kernarg_preload_length 0
		.amdhsa_user_sgpr_kernarg_preload_offset 0
		.amdhsa_user_sgpr_private_segment_size 0
		.amdhsa_uses_dynamic_stack 0
		.amdhsa_system_sgpr_private_segment_wavefront_offset 0
		.amdhsa_system_sgpr_workgroup_id_x 1
		.amdhsa_system_sgpr_workgroup_id_y 0
		.amdhsa_system_sgpr_workgroup_id_z 0
		.amdhsa_system_sgpr_workgroup_info 0
		.amdhsa_system_vgpr_workitem_id 0
		.amdhsa_next_free_vgpr 32
		.amdhsa_next_free_sgpr 28
		.amdhsa_accum_offset 32
		.amdhsa_reserve_vcc 1
		.amdhsa_reserve_flat_scratch 0
		.amdhsa_float_round_mode_32 0
		.amdhsa_float_round_mode_16_64 0
		.amdhsa_float_denorm_mode_32 3
		.amdhsa_float_denorm_mode_16_64 3
		.amdhsa_dx10_clamp 1
		.amdhsa_ieee_mode 1
		.amdhsa_fp16_overflow 0
		.amdhsa_tg_split 0
		.amdhsa_exception_fp_ieee_invalid_op 0
		.amdhsa_exception_fp_denorm_src 0
		.amdhsa_exception_fp_ieee_div_zero 0
		.amdhsa_exception_fp_ieee_overflow 0
		.amdhsa_exception_fp_ieee_underflow 0
		.amdhsa_exception_fp_ieee_inexact 0
		.amdhsa_exception_int_div_zero 0
	.end_amdhsa_kernel
	.section	.text._ZN5aiter19grouped_topk_kernelIN3c104HalfEDv4_fLi1ELb1ELb0ELb0EEEvPT_PKS4_PfPimiiiif,"axG",@progbits,_ZN5aiter19grouped_topk_kernelIN3c104HalfEDv4_fLi1ELb1ELb0ELb0EEEvPT_PKS4_PfPimiiiif,comdat
.Lfunc_end83:
	.size	_ZN5aiter19grouped_topk_kernelIN3c104HalfEDv4_fLi1ELb1ELb0ELb0EEEvPT_PKS4_PfPimiiiif, .Lfunc_end83-_ZN5aiter19grouped_topk_kernelIN3c104HalfEDv4_fLi1ELb1ELb0ELb0EEEvPT_PKS4_PfPimiiiif
                                        ; -- End function
	.section	.AMDGPU.csdata,"",@progbits
; Kernel info:
; codeLenInByte = 1648
; NumSgprs: 32
; NumVgprs: 32
; NumAgprs: 0
; TotalNumVgprs: 32
; ScratchSize: 0
; MemoryBound: 0
; FloatMode: 240
; IeeeMode: 1
; LDSByteSize: 0 bytes/workgroup (compile time only)
; SGPRBlocks: 3
; VGPRBlocks: 3
; NumSGPRsForWavesPerEU: 32
; NumVGPRsForWavesPerEU: 32
; AccumOffset: 32
; Occupancy: 8
; WaveLimiterHint : 0
; COMPUTE_PGM_RSRC2:SCRATCH_EN: 0
; COMPUTE_PGM_RSRC2:USER_SGPR: 6
; COMPUTE_PGM_RSRC2:TRAP_HANDLER: 0
; COMPUTE_PGM_RSRC2:TGID_X_EN: 1
; COMPUTE_PGM_RSRC2:TGID_Y_EN: 0
; COMPUTE_PGM_RSRC2:TGID_Z_EN: 0
; COMPUTE_PGM_RSRC2:TIDIG_COMP_CNT: 0
; COMPUTE_PGM_RSRC3_GFX90A:ACCUM_OFFSET: 7
; COMPUTE_PGM_RSRC3_GFX90A:TG_SPLIT: 0
	.section	.text._ZN5aiter19grouped_topk_kernelIN3c108BFloat16EDv4_fLi1ELb1ELb0ELb0EEEvPT_PKS4_PfPimiiiif,"axG",@progbits,_ZN5aiter19grouped_topk_kernelIN3c108BFloat16EDv4_fLi1ELb1ELb0ELb0EEEvPT_PKS4_PfPimiiiif,comdat
	.protected	_ZN5aiter19grouped_topk_kernelIN3c108BFloat16EDv4_fLi1ELb1ELb0ELb0EEEvPT_PKS4_PfPimiiiif ; -- Begin function _ZN5aiter19grouped_topk_kernelIN3c108BFloat16EDv4_fLi1ELb1ELb0ELb0EEEvPT_PKS4_PfPimiiiif
	.globl	_ZN5aiter19grouped_topk_kernelIN3c108BFloat16EDv4_fLi1ELb1ELb0ELb0EEEvPT_PKS4_PfPimiiiif
	.p2align	8
	.type	_ZN5aiter19grouped_topk_kernelIN3c108BFloat16EDv4_fLi1ELb1ELb0ELb0EEEvPT_PKS4_PfPimiiiif,@function
_ZN5aiter19grouped_topk_kernelIN3c108BFloat16EDv4_fLi1ELb1ELb0ELb0EEEvPT_PKS4_PfPimiiiif: ; @_ZN5aiter19grouped_topk_kernelIN3c108BFloat16EDv4_fLi1ELb1ELb0ELb0EEEvPT_PKS4_PfPimiiiif
; %bb.0:
	s_load_dwordx2 s[16:17], s[4:5], 0x28
	s_load_dwordx4 s[12:15], s[4:5], 0x10
	v_lshl_add_u32 v1, v0, 4, 0
	s_waitcnt lgkmcnt(0)
	s_ashr_i32 s0, s16, 31
	s_lshr_b32 s0, s0, 30
	s_add_i32 s0, s16, s0
	s_ashr_i32 s7, s0, 2
	v_cmp_gt_i32_e64 s[0:1], s7, v0
	s_and_saveexec_b64 s[18:19], s[0:1]
	s_cbranch_execz .LBB84_3
; %bb.1:
	s_load_dword s10, s[4:5], 0x4c
	s_load_dwordx2 s[2:3], s[4:5], 0x0
	s_mul_i32 s8, s6, s16
	s_ashr_i32 s9, s8, 31
	s_lshl_b64 s[8:9], s[8:9], 1
	s_waitcnt lgkmcnt(0)
	s_and_b32 s16, s10, 0xffff
	s_add_u32 s2, s2, s8
	v_lshlrev_b32_e32 v2, 3, v0
	s_addc_u32 s3, s3, s9
	s_mov_b32 s10, 0
	v_mov_b32_e32 v3, s3
	v_add_co_u32_e32 v2, vcc, s2, v2
	v_addc_co_u32_e32 v3, vcc, 0, v3, vcc
	s_lshl_b32 s22, s16, 3
	v_lshl_add_u32 v6, v0, 4, 0
	s_lshl_b32 s23, s16, 4
	s_mov_b64 s[20:21], 0
	s_mov_b32 s24, 0xbfb8aa3b
	s_mov_b32 s25, 0x42ce8ed0
	;; [unrolled: 1-line block ×3, first 2 shown]
	v_mov_b32_e32 v7, 0x7f800000
	v_mov_b32_e32 v8, s10
	;; [unrolled: 1-line block ×3, first 2 shown]
.LBB84_2:                               ; =>This Inner Loop Header: Depth=1
	global_load_dwordx2 v[4:5], v[2:3], off
	v_add_co_u32_e32 v2, vcc, s22, v2
	v_add_u32_e32 v9, s16, v9
	v_addc_co_u32_e32 v3, vcc, v3, v8, vcc
	v_cmp_le_i32_e32 vcc, s7, v9
	s_or_b64 s[20:21], vcc, s[20:21]
	s_waitcnt vmcnt(0)
	v_cvt_f32_u32_sdwa v10, v5 dst_sel:DWORD dst_unused:UNUSED_PAD src0_sel:WORD_1
	v_cvt_f32_u32_sdwa v5, v5 dst_sel:DWORD dst_unused:UNUSED_PAD src0_sel:WORD_0
	v_cvt_f32_u32_sdwa v11, v4 dst_sel:DWORD dst_unused:UNUSED_PAD src0_sel:WORD_1
	v_cvt_f32_u32_sdwa v4, v4 dst_sel:DWORD dst_unused:UNUSED_PAD src0_sel:WORD_0
	v_mul_f32_e32 v12, 0xbfb8aa3b, v10
	v_mul_f32_e32 v13, 0xbfb8aa3b, v5
	v_fma_f32 v16, v10, s24, -v12
	v_mul_f32_e32 v15, 0xbfb8aa3b, v4
	v_rndne_f32_e32 v17, v12
	v_fma_f32 v18, v5, s24, -v13
	v_rndne_f32_e32 v19, v13
	v_mul_f32_e32 v14, 0xbfb8aa3b, v11
	v_fma_f32 v22, v4, s24, -v15
	v_rndne_f32_e32 v23, v15
	v_fmac_f32_e32 v16, 0xb2a5705f, v10
	v_sub_f32_e32 v12, v12, v17
	v_fmac_f32_e32 v18, 0xb2a5705f, v5
	v_sub_f32_e32 v13, v13, v19
	v_fma_f32 v20, v11, s24, -v14
	v_rndne_f32_e32 v21, v14
	v_fmac_f32_e32 v22, 0xb2a5705f, v4
	v_sub_f32_e32 v15, v15, v23
	v_add_f32_e32 v12, v12, v16
	v_add_f32_e32 v13, v13, v18
	v_cvt_i32_f32_e32 v17, v17
	v_cvt_i32_f32_e32 v19, v19
	v_fmac_f32_e32 v20, 0xb2a5705f, v11
	v_sub_f32_e32 v14, v14, v21
	v_add_f32_e32 v15, v15, v22
	v_exp_f32_e32 v12, v12
	v_exp_f32_e32 v13, v13
	v_cvt_i32_f32_e32 v23, v23
	v_add_f32_e32 v14, v14, v20
	v_exp_f32_e32 v15, v15
	v_cvt_i32_f32_e32 v21, v21
	v_exp_f32_e32 v14, v14
	v_ldexp_f32 v12, v12, v17
	v_ldexp_f32 v13, v13, v19
	v_cmp_nlt_f32_e32 vcc, s25, v5
	v_cmp_nlt_f32_e64 s[10:11], s25, v10
	v_ldexp_f32 v15, v15, v23
	v_cmp_nlt_f32_e64 s[8:9], s25, v4
	v_cndmask_b32_e64 v12, 0, v12, s[10:11]
	v_cndmask_b32_e32 v13, 0, v13, vcc
	v_cmp_ngt_f32_e32 vcc, s26, v5
	v_cmp_ngt_f32_e64 s[10:11], s26, v10
	v_ldexp_f32 v14, v14, v21
	v_cmp_nlt_f32_e64 s[2:3], s25, v11
	v_cndmask_b32_e64 v15, 0, v15, s[8:9]
	v_cmp_ngt_f32_e64 s[8:9], s26, v4
	v_cndmask_b32_e64 v5, v7, v12, s[10:11]
	v_cndmask_b32_e32 v4, v7, v13, vcc
	v_cndmask_b32_e64 v14, 0, v14, s[2:3]
	v_cmp_ngt_f32_e64 s[2:3], s26, v11
	v_pk_add_f32 v[4:5], v[4:5], 1.0 op_sel_hi:[1,0]
	v_cndmask_b32_e64 v11, v7, v14, s[2:3]
	v_cndmask_b32_e64 v10, v7, v15, s[8:9]
	v_div_scale_f32 v12, s[2:3], v5, v5, 1.0
	v_pk_add_f32 v[10:11], v[10:11], 1.0 op_sel_hi:[1,0]
	v_div_scale_f32 v14, s[2:3], v4, v4, 1.0
	v_rcp_f32_e32 v20, v12
	v_div_scale_f32 v16, s[8:9], v11, v11, 1.0
	v_rcp_f32_e32 v21, v14
	;; [unrolled: 2-line block ×3, first 2 shown]
	v_rcp_f32_e32 v23, v18
	v_fma_f32 v24, -v12, v20, 1.0
	v_div_scale_f32 v13, vcc, 1.0, v5, 1.0
	v_fma_f32 v25, -v14, v21, 1.0
	v_fmac_f32_e32 v20, v24, v20
	v_div_scale_f32 v15, s[2:3], 1.0, v4, 1.0
	v_fma_f32 v26, -v16, v22, 1.0
	v_fmac_f32_e32 v21, v25, v21
	v_mul_f32_e32 v24, v13, v20
	v_div_scale_f32 v17, s[8:9], 1.0, v11, 1.0
	v_fma_f32 v27, -v18, v23, 1.0
	v_fmac_f32_e32 v22, v26, v22
	v_mul_f32_e32 v25, v15, v21
	v_fma_f32 v28, -v12, v24, v13
	v_div_scale_f32 v19, s[10:11], 1.0, v10, 1.0
	v_fmac_f32_e32 v23, v27, v23
	v_mul_f32_e32 v26, v17, v22
	v_fma_f32 v29, -v14, v25, v15
	v_fmac_f32_e32 v24, v28, v20
	v_mul_f32_e32 v27, v19, v23
	v_fma_f32 v30, -v16, v26, v17
	v_fmac_f32_e32 v25, v29, v21
	v_fma_f32 v12, -v12, v24, v13
	v_fma_f32 v31, -v18, v27, v19
	v_fmac_f32_e32 v26, v30, v22
	v_fma_f32 v14, -v14, v25, v15
	v_div_fmas_f32 v12, v12, v20, v24
	s_mov_b64 vcc, s[2:3]
	v_fmac_f32_e32 v27, v31, v23
	v_fma_f32 v15, -v16, v26, v17
	v_div_fixup_f32 v13, v12, v5, 1.0
	v_div_fmas_f32 v5, v14, v21, v25
	s_mov_b64 vcc, s[8:9]
	v_fma_f32 v16, -v18, v27, v19
	v_div_fixup_f32 v12, v5, v4, 1.0
	v_div_fmas_f32 v4, v15, v22, v26
	s_mov_b64 vcc, s[10:11]
	v_div_fixup_f32 v11, v4, v11, 1.0
	v_div_fmas_f32 v4, v16, v23, v27
	v_div_fixup_f32 v10, v4, v10, 1.0
	ds_write_b128 v6, v[10:13]
	v_add_u32_e32 v6, s23, v6
	s_andn2_b64 exec, exec, s[20:21]
	s_cbranch_execnz .LBB84_2
.LBB84_3:
	s_or_b64 exec, exec, s[18:19]
	s_cmp_lt_i32 s17, 1
	s_waitcnt lgkmcnt(0)
	s_barrier
	s_cbranch_scc1 .LBB84_10
; %bb.4:
	s_add_u32 s2, s4, 64
	s_addc_u32 s3, s5, 0
	v_lshlrev_b32_e32 v5, 2, v0
	s_mov_b32 s16, 0
	v_mov_b32_e32 v3, 0
	v_mov_b32_e32 v6, 0xff800000
                                        ; implicit-def: $vgpr4
                                        ; implicit-def: $vgpr2
	s_branch .LBB84_6
.LBB84_5:                               ;   in Loop: Header=BB84_6 Depth=1
	s_or_b64 exec, exec, s[8:9]
	v_mov_b32_dpp v10, v8 quad_perm:[1,0,3,2] row_mask:0xf bank_mask:0xf
	v_cmp_lt_f32_e32 vcc, v8, v10
	v_cndmask_b32_e32 v8, v8, v10, vcc
	v_mov_b32_dpp v9, v7 quad_perm:[1,0,3,2] row_mask:0xf bank_mask:0xf
	v_cndmask_b32_e32 v7, v7, v9, vcc
	v_mov_b32_dpp v10, v8 quad_perm:[2,3,0,1] row_mask:0xf bank_mask:0xf
	v_cmp_gt_f32_e32 vcc, v10, v8
	v_cndmask_b32_e32 v8, v8, v10, vcc
	v_mov_b32_dpp v9, v7 quad_perm:[2,3,0,1] row_mask:0xf bank_mask:0xf
	v_cndmask_b32_e32 v7, v7, v9, vcc
	v_mov_b32_dpp v10, v8 row_half_mirror row_mask:0xf bank_mask:0xf
	v_cmp_gt_f32_e32 vcc, v10, v8
	v_cndmask_b32_e32 v8, v8, v10, vcc
	v_mov_b32_dpp v9, v7 row_half_mirror row_mask:0xf bank_mask:0xf
	v_cndmask_b32_e32 v7, v7, v9, vcc
	v_mov_b32_dpp v10, v8 row_mirror row_mask:0xf bank_mask:0xf
	v_cmp_gt_f32_e32 vcc, v10, v8
	v_cndmask_b32_e32 v8, v8, v10, vcc
	v_mov_b32_dpp v9, v7 row_mirror row_mask:0xf bank_mask:0xf
	v_cndmask_b32_e32 v7, v7, v9, vcc
	v_mov_b32_dpp v10, v8 row_bcast:15 row_mask:0xf bank_mask:0xf
	v_cmp_gt_f32_e32 vcc, v10, v8
	v_mov_b32_dpp v9, v7 row_bcast:15 row_mask:0xf bank_mask:0xf
	v_cndmask_b32_e32 v8, v8, v10, vcc
	v_cndmask_b32_e32 v7, v7, v9, vcc
	s_nop 0
	v_mov_b32_dpp v10, v8 row_bcast:31 row_mask:0xf bank_mask:0xf
	v_mov_b32_dpp v9, v7 row_bcast:31 row_mask:0xf bank_mask:0xf
	v_cmp_gt_f32_e32 vcc, v10, v8
	v_cndmask_b32_e32 v7, v7, v9, vcc
	v_readlane_b32 s9, v7, 63
	s_lshl_b32 s10, s9, 2
	s_add_i32 s10, s10, 0
	v_cndmask_b32_e32 v8, v8, v10, vcc
	v_mov_b32_e32 v7, s10
	v_readlane_b32 s8, v8, 63
	ds_write_b32 v7, v6
	v_mov_b32_e32 v7, s9
	v_cmp_eq_u32_e32 vcc, s16, v0
	v_cndmask_b32_e32 v2, v2, v7, vcc
	v_mov_b32_e32 v7, s8
	s_add_i32 s16, s16, 1
	v_cndmask_b32_e32 v4, v4, v7, vcc
	s_cmp_eq_u32 s16, s17
	v_add_f32_e32 v3, s8, v3
	s_cbranch_scc1 .LBB84_11
.LBB84_6:                               ; =>This Loop Header: Depth=1
                                        ;     Child Loop BB84_8 Depth 2
	v_mov_b32_e32 v7, s16
	v_mov_b32_e32 v8, 0xff800000
	s_and_saveexec_b64 s[8:9], s[0:1]
	s_cbranch_execz .LBB84_5
; %bb.7:                                ;   in Loop: Header=BB84_6 Depth=1
	s_load_dword s18, s[2:3], 0xc
	s_mov_b64 s[10:11], 0
	v_mov_b32_e32 v7, s16
	v_mov_b32_e32 v8, 0xff800000
	;; [unrolled: 1-line block ×3, first 2 shown]
	s_waitcnt lgkmcnt(0)
	s_and_b32 s18, s18, 0xffff
	s_lshl_b32 s19, s18, 2
	s_lshl_b32 s20, s18, 4
	v_mov_b32_e32 v10, v5
	v_mov_b32_e32 v11, v0
.LBB84_8:                               ;   Parent Loop BB84_6 Depth=1
                                        ; =>  This Inner Loop Header: Depth=2
	ds_read_b128 v[12:15], v9
	v_add_u32_e32 v11, s18, v11
	v_cmp_le_i32_e32 vcc, s7, v11
	s_or_b64 s[10:11], vcc, s[10:11]
	v_add_u32_e32 v16, 1, v10
	s_waitcnt lgkmcnt(0)
	v_cmp_gt_f32_e32 vcc, v12, v8
	v_cndmask_b32_e32 v8, v8, v12, vcc
	v_cndmask_b32_e32 v7, v7, v10, vcc
	v_cmp_gt_f32_e32 vcc, v13, v8
	v_cndmask_b32_e32 v8, v8, v13, vcc
	v_cndmask_b32_e32 v7, v7, v16, vcc
	v_cmp_gt_f32_e32 vcc, v14, v8
	v_add_u32_e32 v17, 2, v10
	v_cndmask_b32_e32 v8, v8, v14, vcc
	v_add_u32_e32 v18, 3, v10
	v_cndmask_b32_e32 v7, v7, v17, vcc
	v_cmp_gt_f32_e32 vcc, v15, v8
	v_add_u32_e32 v9, s20, v9
	v_add_u32_e32 v10, s19, v10
	v_cndmask_b32_e32 v8, v8, v15, vcc
	v_cndmask_b32_e32 v7, v7, v18, vcc
	s_andn2_b64 exec, exec, s[10:11]
	s_cbranch_execnz .LBB84_8
; %bb.9:                                ;   in Loop: Header=BB84_6 Depth=1
	s_or_b64 exec, exec, s[10:11]
	s_branch .LBB84_5
.LBB84_10:
	v_mov_b32_e32 v3, 0
                                        ; implicit-def: $vgpr4
                                        ; implicit-def: $vgpr2
.LBB84_11:
	v_cmp_gt_i32_e32 vcc, s17, v0
	s_and_saveexec_b64 s[0:1], vcc
	s_cbranch_execz .LBB84_14
; %bb.12:
	s_load_dword s7, s[4:5], 0x38
	s_load_dwordx2 s[0:1], s[4:5], 0x20
	s_load_dword s8, s[4:5], 0x4c
	s_waitcnt lgkmcnt(0)
	v_div_scale_f32 v1, s[2:3], v3, v3, s7
	v_rcp_f32_e32 v5, v1
	v_div_scale_f32 v6, vcc, s7, v3, s7
	s_ashr_i32 s2, s6, 31
	v_fma_f32 v7, -v1, v5, 1.0
	v_fmac_f32_e32 v5, v7, v5
	v_mul_f32_e32 v7, v6, v5
	v_fma_f32 v8, -v1, v7, v6
	v_fmac_f32_e32 v7, v8, v5
	v_fma_f32 v1, -v1, v7, v6
	s_mul_i32 s1, s6, s1
	s_mul_hi_u32 s3, s6, s0
	v_div_fmas_f32 v1, v1, v5, v7
	s_add_i32 s1, s3, s1
	s_mul_i32 s2, s2, s0
	v_div_fixup_f32 v1, v1, v3, s7
	s_add_i32 s4, s1, s2
	v_mul_f32_e32 v1, v1, v4
	s_mul_i32 s2, s6, s0
	s_and_b32 s3, s8, 0xffff
	s_mov_b64 s[0:1], 0
	v_mov_b32_e32 v3, s4
	v_mov_b32_e32 v4, s13
	v_mov_b32_e32 v5, s15
.LBB84_13:                              ; =>This Inner Loop Header: Depth=1
	v_ashrrev_i32_e32 v7, 31, v0
	v_add_co_u32_e32 v6, vcc, s2, v0
	v_addc_co_u32_e32 v7, vcc, v3, v7, vcc
	v_add_u32_e32 v0, s3, v0
	v_cmp_le_i32_e32 vcc, s17, v0
	v_lshlrev_b64 v[6:7], 2, v[6:7]
	s_or_b64 s[0:1], vcc, s[0:1]
	v_add_co_u32_e32 v8, vcc, s12, v6
	v_addc_co_u32_e32 v9, vcc, v4, v7, vcc
	v_add_co_u32_e32 v6, vcc, s14, v6
	v_addc_co_u32_e32 v7, vcc, v5, v7, vcc
	global_store_dword v[8:9], v1, off
	global_store_dword v[6:7], v2, off
	s_andn2_b64 exec, exec, s[0:1]
	s_cbranch_execnz .LBB84_13
.LBB84_14:
	s_endpgm
	.section	.rodata,"a",@progbits
	.p2align	6, 0x0
	.amdhsa_kernel _ZN5aiter19grouped_topk_kernelIN3c108BFloat16EDv4_fLi1ELb1ELb0ELb0EEEvPT_PKS4_PfPimiiiif
		.amdhsa_group_segment_fixed_size 0
		.amdhsa_private_segment_fixed_size 0
		.amdhsa_kernarg_size 320
		.amdhsa_user_sgpr_count 6
		.amdhsa_user_sgpr_private_segment_buffer 1
		.amdhsa_user_sgpr_dispatch_ptr 0
		.amdhsa_user_sgpr_queue_ptr 0
		.amdhsa_user_sgpr_kernarg_segment_ptr 1
		.amdhsa_user_sgpr_dispatch_id 0
		.amdhsa_user_sgpr_flat_scratch_init 0
		.amdhsa_user_sgpr_kernarg_preload_length 0
		.amdhsa_user_sgpr_kernarg_preload_offset 0
		.amdhsa_user_sgpr_private_segment_size 0
		.amdhsa_uses_dynamic_stack 0
		.amdhsa_system_sgpr_private_segment_wavefront_offset 0
		.amdhsa_system_sgpr_workgroup_id_x 1
		.amdhsa_system_sgpr_workgroup_id_y 0
		.amdhsa_system_sgpr_workgroup_id_z 0
		.amdhsa_system_sgpr_workgroup_info 0
		.amdhsa_system_vgpr_workitem_id 0
		.amdhsa_next_free_vgpr 32
		.amdhsa_next_free_sgpr 27
		.amdhsa_accum_offset 32
		.amdhsa_reserve_vcc 1
		.amdhsa_reserve_flat_scratch 0
		.amdhsa_float_round_mode_32 0
		.amdhsa_float_round_mode_16_64 0
		.amdhsa_float_denorm_mode_32 3
		.amdhsa_float_denorm_mode_16_64 3
		.amdhsa_dx10_clamp 1
		.amdhsa_ieee_mode 1
		.amdhsa_fp16_overflow 0
		.amdhsa_tg_split 0
		.amdhsa_exception_fp_ieee_invalid_op 0
		.amdhsa_exception_fp_denorm_src 0
		.amdhsa_exception_fp_ieee_div_zero 0
		.amdhsa_exception_fp_ieee_overflow 0
		.amdhsa_exception_fp_ieee_underflow 0
		.amdhsa_exception_fp_ieee_inexact 0
		.amdhsa_exception_int_div_zero 0
	.end_amdhsa_kernel
	.section	.text._ZN5aiter19grouped_topk_kernelIN3c108BFloat16EDv4_fLi1ELb1ELb0ELb0EEEvPT_PKS4_PfPimiiiif,"axG",@progbits,_ZN5aiter19grouped_topk_kernelIN3c108BFloat16EDv4_fLi1ELb1ELb0ELb0EEEvPT_PKS4_PfPimiiiif,comdat
.Lfunc_end84:
	.size	_ZN5aiter19grouped_topk_kernelIN3c108BFloat16EDv4_fLi1ELb1ELb0ELb0EEEvPT_PKS4_PfPimiiiif, .Lfunc_end84-_ZN5aiter19grouped_topk_kernelIN3c108BFloat16EDv4_fLi1ELb1ELb0ELb0EEEvPT_PKS4_PfPimiiiif
                                        ; -- End function
	.section	.AMDGPU.csdata,"",@progbits
; Kernel info:
; codeLenInByte = 1640
; NumSgprs: 31
; NumVgprs: 32
; NumAgprs: 0
; TotalNumVgprs: 32
; ScratchSize: 0
; MemoryBound: 0
; FloatMode: 240
; IeeeMode: 1
; LDSByteSize: 0 bytes/workgroup (compile time only)
; SGPRBlocks: 3
; VGPRBlocks: 3
; NumSGPRsForWavesPerEU: 31
; NumVGPRsForWavesPerEU: 32
; AccumOffset: 32
; Occupancy: 8
; WaveLimiterHint : 0
; COMPUTE_PGM_RSRC2:SCRATCH_EN: 0
; COMPUTE_PGM_RSRC2:USER_SGPR: 6
; COMPUTE_PGM_RSRC2:TRAP_HANDLER: 0
; COMPUTE_PGM_RSRC2:TGID_X_EN: 1
; COMPUTE_PGM_RSRC2:TGID_Y_EN: 0
; COMPUTE_PGM_RSRC2:TGID_Z_EN: 0
; COMPUTE_PGM_RSRC2:TIDIG_COMP_CNT: 0
; COMPUTE_PGM_RSRC3_GFX90A:ACCUM_OFFSET: 7
; COMPUTE_PGM_RSRC3_GFX90A:TG_SPLIT: 0
	.section	.text._ZN5aiter28grouped_topk_opt_sort_kernelIfDv4_fLi1ELb0ELb1ELb0EEEvPT_PKS2_PfPimiiiif,"axG",@progbits,_ZN5aiter28grouped_topk_opt_sort_kernelIfDv4_fLi1ELb0ELb1ELb0EEEvPT_PKS2_PfPimiiiif,comdat
	.protected	_ZN5aiter28grouped_topk_opt_sort_kernelIfDv4_fLi1ELb0ELb1ELb0EEEvPT_PKS2_PfPimiiiif ; -- Begin function _ZN5aiter28grouped_topk_opt_sort_kernelIfDv4_fLi1ELb0ELb1ELb0EEEvPT_PKS2_PfPimiiiif
	.globl	_ZN5aiter28grouped_topk_opt_sort_kernelIfDv4_fLi1ELb0ELb1ELb0EEEvPT_PKS2_PfPimiiiif
	.p2align	8
	.type	_ZN5aiter28grouped_topk_opt_sort_kernelIfDv4_fLi1ELb0ELb1ELb0EEEvPT_PKS2_PfPimiiiif,@function
_ZN5aiter28grouped_topk_opt_sort_kernelIfDv4_fLi1ELb0ELb1ELb0EEEvPT_PKS2_PfPimiiiif: ; @_ZN5aiter28grouped_topk_opt_sort_kernelIfDv4_fLi1ELb0ELb1ELb0EEEvPT_PKS2_PfPimiiiif
; %bb.0:
	s_load_dword s8, s[4:5], 0x28
	s_load_dwordx4 s[0:3], s[4:5], 0x0
	s_load_dword s7, s[4:5], 0x30
	v_lshlrev_b32_e32 v12, 4, v0
	v_mov_b32_e32 v13, 0x42800000
	s_waitcnt lgkmcnt(0)
	s_mul_i32 s4, s6, s8
	s_ashr_i32 s5, s4, 31
	s_lshl_b64 s[4:5], s[4:5], 2
	s_add_u32 s0, s0, s4
	s_addc_u32 s1, s1, s5
	global_load_dwordx4 v[0:3], v12, s[0:1]
	global_load_dwordx4 v[4:7], v12, s[2:3]
	s_mov_b32 s0, 0x652b82fe
	s_mov_b32 s1, 0xbff71547
	;; [unrolled: 1-line block ×3, first 2 shown]
	v_mov_b32_e32 v14, 0x1f800000
	s_cmp_lt_i32 s7, 1
	s_waitcnt vmcnt(1)
	v_cvt_f64_f32_e32 v[8:9], v0
	v_cvt_f64_f32_e32 v[0:1], v1
	;; [unrolled: 1-line block ×4, first 2 shown]
	v_mul_f64 v[8:9], v[8:9], s[0:1]
	v_mul_f64 v[0:1], v[0:1], s[0:1]
	;; [unrolled: 1-line block ×4, first 2 shown]
	v_cvt_f32_f64_e32 v8, v[8:9]
	v_cvt_f32_f64_e32 v0, v[0:1]
	;; [unrolled: 1-line block ×4, first 2 shown]
	v_cmp_gt_f32_e32 vcc, s4, v8
	v_cmp_gt_f32_e64 s[0:1], s4, v0
	v_cmp_gt_f32_e64 s[2:3], s4, v1
	;; [unrolled: 1-line block ×3, first 2 shown]
	v_cndmask_b32_e32 v3, 0, v13, vcc
	v_cndmask_b32_e64 v9, 0, v13, s[0:1]
	v_cndmask_b32_e64 v10, 0, v13, s[2:3]
	;; [unrolled: 1-line block ×3, first 2 shown]
	v_add_f32_e32 v3, v8, v3
	v_add_f32_e32 v0, v0, v9
	;; [unrolled: 1-line block ×4, first 2 shown]
	v_exp_f32_e32 v3, v3
	v_exp_f32_e32 v0, v0
	;; [unrolled: 1-line block ×4, first 2 shown]
	v_cndmask_b32_e32 v8, 1.0, v14, vcc
	v_cndmask_b32_e64 v9, 1.0, v14, s[0:1]
	v_cndmask_b32_e64 v10, 1.0, v14, s[2:3]
	;; [unrolled: 1-line block ×3, first 2 shown]
	v_fma_f32 v3, v3, v8, 1.0
	v_fma_f32 v8, v0, v9, 1.0
	;; [unrolled: 1-line block ×4, first 2 shown]
	v_rcp_f32_e32 v0, v3
	v_rcp_f32_e32 v2, v9
	;; [unrolled: 1-line block ×4, first 2 shown]
	v_mov_b32_e32 v8, 0xff800000
	v_add_u32_e32 v9, 0, v12
	s_waitcnt vmcnt(0)
	v_pk_add_f32 v[2:3], v[6:7], v[2:3]
	v_cmp_o_f32_e32 vcc, v3, v3
	v_pk_add_f32 v[0:1], v[4:5], v[0:1]
	v_cndmask_b32_e32 v3, v8, v3, vcc
	v_cmp_o_f32_e32 vcc, v2, v2
	v_cndmask_b32_e32 v2, v8, v2, vcc
	v_cmp_o_f32_e32 vcc, v1, v1
	;; [unrolled: 2-line block ×3, first 2 shown]
	v_cndmask_b32_e32 v0, v8, v0, vcc
	ds_write_b128 v9, v[0:3]
	s_cbranch_scc1 .LBB85_7
; %bb.1:
	s_lshl_b32 s0, s8, 2
	s_add_i32 s0, s0, 0
	s_cmp_lt_u32 s7, 8
	s_cbranch_scc1 .LBB85_4
; %bb.2:
	s_and_b32 s1, s7, 0x7ffffff8
	v_mov_b32_e32 v0, s0
	s_mov_b32 s2, 0xff800000
	v_mov_b32_e32 v1, 0xff800000
.LBB85_3:                               ; =>This Inner Loop Header: Depth=1
	ds_read_b32 v2, v0
	s_add_i32 s1, s1, -8
	s_cmp_lg_u32 s1, 0
	s_waitcnt lgkmcnt(0)
	v_cmp_nlg_f32_e32 vcc, s2, v2
	v_cndmask_b32_e64 v2, 0, 1, vcc
	v_lshlrev_b32_e32 v2, 2, v2
	v_add_u32_e32 v2, s0, v2
	ds_write_b32 v2, v1
	ds_read_b32 v2, v0
	s_waitcnt lgkmcnt(0)
	v_cmp_nlg_f32_e32 vcc, s2, v2
	v_cndmask_b32_e64 v2, 0, 1, vcc
	v_lshlrev_b32_e32 v2, 2, v2
	v_add_u32_e32 v2, s0, v2
	ds_write_b32 v2, v1
	ds_read_b32 v2, v0
	;; [unrolled: 7-line block ×7, first 2 shown]
	s_waitcnt lgkmcnt(0)
	v_cmp_nlg_f32_e32 vcc, s2, v2
	v_cndmask_b32_e64 v2, 0, 1, vcc
	v_lshlrev_b32_e32 v2, 2, v2
	v_add_u32_e32 v2, s0, v2
	ds_write_b32 v2, v1
	s_cbranch_scc1 .LBB85_3
.LBB85_4:
	s_and_b32 s1, s7, 7
	s_cmp_eq_u32 s1, 0
	s_cbranch_scc1 .LBB85_7
; %bb.5:
	v_mov_b32_e32 v0, s0
	s_mov_b32 s2, 0xff800000
	v_mov_b32_e32 v1, 0xff800000
.LBB85_6:                               ; =>This Inner Loop Header: Depth=1
	ds_read_b32 v2, v0
	s_add_i32 s1, s1, -1
	s_cmp_lg_u32 s1, 0
	s_waitcnt lgkmcnt(0)
	v_cmp_nlg_f32_e32 vcc, s2, v2
	v_cndmask_b32_e64 v2, 0, 1, vcc
	v_lshlrev_b32_e32 v2, 2, v2
	v_add_u32_e32 v2, s0, v2
	ds_write_b32 v2, v1
	s_cbranch_scc1 .LBB85_6
.LBB85_7:
	s_endpgm
	.section	.rodata,"a",@progbits
	.p2align	6, 0x0
	.amdhsa_kernel _ZN5aiter28grouped_topk_opt_sort_kernelIfDv4_fLi1ELb0ELb1ELb0EEEvPT_PKS2_PfPimiiiif
		.amdhsa_group_segment_fixed_size 0
		.amdhsa_private_segment_fixed_size 0
		.amdhsa_kernarg_size 60
		.amdhsa_user_sgpr_count 6
		.amdhsa_user_sgpr_private_segment_buffer 1
		.amdhsa_user_sgpr_dispatch_ptr 0
		.amdhsa_user_sgpr_queue_ptr 0
		.amdhsa_user_sgpr_kernarg_segment_ptr 1
		.amdhsa_user_sgpr_dispatch_id 0
		.amdhsa_user_sgpr_flat_scratch_init 0
		.amdhsa_user_sgpr_kernarg_preload_length 0
		.amdhsa_user_sgpr_kernarg_preload_offset 0
		.amdhsa_user_sgpr_private_segment_size 0
		.amdhsa_uses_dynamic_stack 0
		.amdhsa_system_sgpr_private_segment_wavefront_offset 0
		.amdhsa_system_sgpr_workgroup_id_x 1
		.amdhsa_system_sgpr_workgroup_id_y 0
		.amdhsa_system_sgpr_workgroup_id_z 0
		.amdhsa_system_sgpr_workgroup_info 0
		.amdhsa_system_vgpr_workitem_id 0
		.amdhsa_next_free_vgpr 15
		.amdhsa_next_free_sgpr 9
		.amdhsa_accum_offset 16
		.amdhsa_reserve_vcc 1
		.amdhsa_reserve_flat_scratch 0
		.amdhsa_float_round_mode_32 0
		.amdhsa_float_round_mode_16_64 0
		.amdhsa_float_denorm_mode_32 3
		.amdhsa_float_denorm_mode_16_64 3
		.amdhsa_dx10_clamp 1
		.amdhsa_ieee_mode 1
		.amdhsa_fp16_overflow 0
		.amdhsa_tg_split 0
		.amdhsa_exception_fp_ieee_invalid_op 0
		.amdhsa_exception_fp_denorm_src 0
		.amdhsa_exception_fp_ieee_div_zero 0
		.amdhsa_exception_fp_ieee_overflow 0
		.amdhsa_exception_fp_ieee_underflow 0
		.amdhsa_exception_fp_ieee_inexact 0
		.amdhsa_exception_int_div_zero 0
	.end_amdhsa_kernel
	.section	.text._ZN5aiter28grouped_topk_opt_sort_kernelIfDv4_fLi1ELb0ELb1ELb0EEEvPT_PKS2_PfPimiiiif,"axG",@progbits,_ZN5aiter28grouped_topk_opt_sort_kernelIfDv4_fLi1ELb0ELb1ELb0EEEvPT_PKS2_PfPimiiiif,comdat
.Lfunc_end85:
	.size	_ZN5aiter28grouped_topk_opt_sort_kernelIfDv4_fLi1ELb0ELb1ELb0EEEvPT_PKS2_PfPimiiiif, .Lfunc_end85-_ZN5aiter28grouped_topk_opt_sort_kernelIfDv4_fLi1ELb0ELb1ELb0EEEvPT_PKS2_PfPimiiiif
                                        ; -- End function
	.section	.AMDGPU.csdata,"",@progbits
; Kernel info:
; codeLenInByte = 884
; NumSgprs: 13
; NumVgprs: 15
; NumAgprs: 0
; TotalNumVgprs: 15
; ScratchSize: 0
; MemoryBound: 0
; FloatMode: 240
; IeeeMode: 1
; LDSByteSize: 0 bytes/workgroup (compile time only)
; SGPRBlocks: 1
; VGPRBlocks: 1
; NumSGPRsForWavesPerEU: 13
; NumVGPRsForWavesPerEU: 15
; AccumOffset: 16
; Occupancy: 8
; WaveLimiterHint : 0
; COMPUTE_PGM_RSRC2:SCRATCH_EN: 0
; COMPUTE_PGM_RSRC2:USER_SGPR: 6
; COMPUTE_PGM_RSRC2:TRAP_HANDLER: 0
; COMPUTE_PGM_RSRC2:TGID_X_EN: 1
; COMPUTE_PGM_RSRC2:TGID_Y_EN: 0
; COMPUTE_PGM_RSRC2:TGID_Z_EN: 0
; COMPUTE_PGM_RSRC2:TIDIG_COMP_CNT: 0
; COMPUTE_PGM_RSRC3_GFX90A:ACCUM_OFFSET: 3
; COMPUTE_PGM_RSRC3_GFX90A:TG_SPLIT: 0
	.section	.text._ZN5aiter28grouped_topk_opt_sort_kernelIN3c104HalfEDv4_fLi1ELb0ELb1ELb0EEEvPT_PKS4_PfPimiiiif,"axG",@progbits,_ZN5aiter28grouped_topk_opt_sort_kernelIN3c104HalfEDv4_fLi1ELb0ELb1ELb0EEEvPT_PKS4_PfPimiiiif,comdat
	.protected	_ZN5aiter28grouped_topk_opt_sort_kernelIN3c104HalfEDv4_fLi1ELb0ELb1ELb0EEEvPT_PKS4_PfPimiiiif ; -- Begin function _ZN5aiter28grouped_topk_opt_sort_kernelIN3c104HalfEDv4_fLi1ELb0ELb1ELb0EEEvPT_PKS4_PfPimiiiif
	.globl	_ZN5aiter28grouped_topk_opt_sort_kernelIN3c104HalfEDv4_fLi1ELb0ELb1ELb0EEEvPT_PKS4_PfPimiiiif
	.p2align	8
	.type	_ZN5aiter28grouped_topk_opt_sort_kernelIN3c104HalfEDv4_fLi1ELb0ELb1ELb0EEEvPT_PKS4_PfPimiiiif,@function
_ZN5aiter28grouped_topk_opt_sort_kernelIN3c104HalfEDv4_fLi1ELb0ELb1ELb0EEEvPT_PKS4_PfPimiiiif: ; @_ZN5aiter28grouped_topk_opt_sort_kernelIN3c104HalfEDv4_fLi1ELb0ELb1ELb0EEEvPT_PKS4_PfPimiiiif
; %bb.0:
	s_load_dword s8, s[4:5], 0x28
	s_load_dwordx4 s[0:3], s[4:5], 0x0
	s_load_dword s7, s[4:5], 0x30
	v_lshlrev_b32_e32 v1, 3, v0
	v_mov_b32_e32 v14, 0x1f800000
	s_waitcnt lgkmcnt(0)
	s_mul_i32 s4, s6, s8
	s_ashr_i32 s5, s4, 31
	global_load_dwordx2 v[2:3], v1, s[2:3]
	s_lshl_b64 s[2:3], s[4:5], 1
	s_add_u32 s0, s0, s2
	s_addc_u32 s1, s1, s3
	global_load_dwordx2 v[4:5], v1, s[0:1]
	s_mov_b32 s0, 0x652b82fe
	s_mov_b32 s1, 0xbff71547
	;; [unrolled: 1-line block ×3, first 2 shown]
	v_mov_b32_e32 v1, 0x42800000
	s_cmp_lt_i32 s7, 1
	s_waitcnt vmcnt(1)
	v_cvt_f32_f16_e32 v6, v2
	v_cvt_f32_f16_sdwa v7, v2 dst_sel:DWORD dst_unused:UNUSED_PAD src0_sel:WORD_1
	v_cvt_f32_f16_e32 v2, v3
	v_cvt_f32_f16_sdwa v3, v3 dst_sel:DWORD dst_unused:UNUSED_PAD src0_sel:WORD_1
	s_waitcnt vmcnt(0)
	v_cvt_f32_f16_e32 v8, v4
	v_cvt_f32_f16_sdwa v9, v4 dst_sel:DWORD dst_unused:UNUSED_PAD src0_sel:WORD_1
	v_cvt_f32_f16_e32 v10, v5
	v_cvt_f32_f16_sdwa v12, v5 dst_sel:DWORD dst_unused:UNUSED_PAD src0_sel:WORD_1
	v_cvt_f64_f32_e32 v[4:5], v8
	v_cvt_f64_f32_e32 v[8:9], v9
	;; [unrolled: 1-line block ×4, first 2 shown]
	v_mul_f64 v[4:5], v[4:5], s[0:1]
	v_mul_f64 v[8:9], v[8:9], s[0:1]
	;; [unrolled: 1-line block ×4, first 2 shown]
	v_cvt_f32_f64_e32 v4, v[4:5]
	v_cvt_f32_f64_e32 v5, v[8:9]
	v_cvt_f32_f64_e32 v8, v[10:11]
	v_cvt_f32_f64_e32 v9, v[12:13]
	v_cmp_gt_f32_e32 vcc, s4, v4
	v_cmp_gt_f32_e64 s[0:1], s4, v5
	v_cmp_gt_f32_e64 s[2:3], s4, v8
	;; [unrolled: 1-line block ×3, first 2 shown]
	v_cndmask_b32_e32 v10, 0, v1, vcc
	v_cndmask_b32_e64 v11, 0, v1, s[0:1]
	v_cndmask_b32_e64 v12, 0, v1, s[2:3]
	;; [unrolled: 1-line block ×3, first 2 shown]
	v_add_f32_e32 v8, v8, v12
	v_add_f32_e32 v1, v9, v1
	v_exp_f32_e32 v8, v8
	v_exp_f32_e32 v1, v1
	v_add_f32_e32 v4, v4, v10
	v_add_f32_e32 v5, v5, v11
	v_exp_f32_e32 v4, v4
	v_exp_f32_e32 v5, v5
	v_cndmask_b32_e64 v12, 1.0, v14, s[2:3]
	v_cndmask_b32_e64 v9, 1.0, v14, s[4:5]
	v_fma_f32 v8, v8, v12, 1.0
	v_fma_f32 v1, v1, v9, 1.0
	v_cndmask_b32_e32 v10, 1.0, v14, vcc
	v_cndmask_b32_e64 v11, 1.0, v14, s[0:1]
	v_rcp_f32_e32 v8, v8
	v_rcp_f32_e32 v9, v1
	v_fma_f32 v4, v4, v10, 1.0
	v_fma_f32 v5, v5, v11, 1.0
	v_rcp_f32_e32 v4, v4
	v_rcp_f32_e32 v5, v5
	v_pk_add_f32 v[2:3], v[8:9], v[2:3]
	v_mov_b32_e32 v10, 0xff800000
	v_cmp_o_f32_e32 vcc, v3, v3
	v_lshl_add_u32 v11, v0, 4, 0
	v_pk_add_f32 v[0:1], v[4:5], v[6:7]
	v_cndmask_b32_e32 v3, v10, v3, vcc
	v_cmp_o_f32_e32 vcc, v2, v2
	v_cndmask_b32_e32 v2, v10, v2, vcc
	v_cmp_o_f32_e32 vcc, v1, v1
	;; [unrolled: 2-line block ×3, first 2 shown]
	v_cndmask_b32_e32 v0, v10, v0, vcc
	ds_write_b128 v11, v[0:3]
	s_cbranch_scc1 .LBB86_7
; %bb.1:
	s_lshl_b32 s0, s8, 2
	s_add_i32 s0, s0, 0
	s_cmp_lt_u32 s7, 8
	s_cbranch_scc1 .LBB86_4
; %bb.2:
	s_and_b32 s1, s7, 0x7ffffff8
	v_mov_b32_e32 v0, s0
	s_mov_b32 s2, 0xff800000
	v_mov_b32_e32 v1, 0xff800000
.LBB86_3:                               ; =>This Inner Loop Header: Depth=1
	ds_read_b32 v2, v0
	s_add_i32 s1, s1, -8
	s_cmp_lg_u32 s1, 0
	s_waitcnt lgkmcnt(0)
	v_cmp_nlg_f32_e32 vcc, s2, v2
	v_cndmask_b32_e64 v2, 0, 1, vcc
	v_lshlrev_b32_e32 v2, 2, v2
	v_add_u32_e32 v2, s0, v2
	ds_write_b32 v2, v1
	ds_read_b32 v2, v0
	s_waitcnt lgkmcnt(0)
	v_cmp_nlg_f32_e32 vcc, s2, v2
	v_cndmask_b32_e64 v2, 0, 1, vcc
	v_lshlrev_b32_e32 v2, 2, v2
	v_add_u32_e32 v2, s0, v2
	ds_write_b32 v2, v1
	ds_read_b32 v2, v0
	;; [unrolled: 7-line block ×7, first 2 shown]
	s_waitcnt lgkmcnt(0)
	v_cmp_nlg_f32_e32 vcc, s2, v2
	v_cndmask_b32_e64 v2, 0, 1, vcc
	v_lshlrev_b32_e32 v2, 2, v2
	v_add_u32_e32 v2, s0, v2
	ds_write_b32 v2, v1
	s_cbranch_scc1 .LBB86_3
.LBB86_4:
	s_and_b32 s1, s7, 7
	s_cmp_eq_u32 s1, 0
	s_cbranch_scc1 .LBB86_7
; %bb.5:
	v_mov_b32_e32 v0, s0
	s_mov_b32 s2, 0xff800000
	v_mov_b32_e32 v1, 0xff800000
.LBB86_6:                               ; =>This Inner Loop Header: Depth=1
	ds_read_b32 v2, v0
	s_add_i32 s1, s1, -1
	s_cmp_lg_u32 s1, 0
	s_waitcnt lgkmcnt(0)
	v_cmp_nlg_f32_e32 vcc, s2, v2
	v_cndmask_b32_e64 v2, 0, 1, vcc
	v_lshlrev_b32_e32 v2, 2, v2
	v_add_u32_e32 v2, s0, v2
	ds_write_b32 v2, v1
	s_cbranch_scc1 .LBB86_6
.LBB86_7:
	s_endpgm
	.section	.rodata,"a",@progbits
	.p2align	6, 0x0
	.amdhsa_kernel _ZN5aiter28grouped_topk_opt_sort_kernelIN3c104HalfEDv4_fLi1ELb0ELb1ELb0EEEvPT_PKS4_PfPimiiiif
		.amdhsa_group_segment_fixed_size 0
		.amdhsa_private_segment_fixed_size 0
		.amdhsa_kernarg_size 60
		.amdhsa_user_sgpr_count 6
		.amdhsa_user_sgpr_private_segment_buffer 1
		.amdhsa_user_sgpr_dispatch_ptr 0
		.amdhsa_user_sgpr_queue_ptr 0
		.amdhsa_user_sgpr_kernarg_segment_ptr 1
		.amdhsa_user_sgpr_dispatch_id 0
		.amdhsa_user_sgpr_flat_scratch_init 0
		.amdhsa_user_sgpr_kernarg_preload_length 0
		.amdhsa_user_sgpr_kernarg_preload_offset 0
		.amdhsa_user_sgpr_private_segment_size 0
		.amdhsa_uses_dynamic_stack 0
		.amdhsa_system_sgpr_private_segment_wavefront_offset 0
		.amdhsa_system_sgpr_workgroup_id_x 1
		.amdhsa_system_sgpr_workgroup_id_y 0
		.amdhsa_system_sgpr_workgroup_id_z 0
		.amdhsa_system_sgpr_workgroup_info 0
		.amdhsa_system_vgpr_workitem_id 0
		.amdhsa_next_free_vgpr 15
		.amdhsa_next_free_sgpr 9
		.amdhsa_accum_offset 16
		.amdhsa_reserve_vcc 1
		.amdhsa_reserve_flat_scratch 0
		.amdhsa_float_round_mode_32 0
		.amdhsa_float_round_mode_16_64 0
		.amdhsa_float_denorm_mode_32 3
		.amdhsa_float_denorm_mode_16_64 3
		.amdhsa_dx10_clamp 1
		.amdhsa_ieee_mode 1
		.amdhsa_fp16_overflow 0
		.amdhsa_tg_split 0
		.amdhsa_exception_fp_ieee_invalid_op 0
		.amdhsa_exception_fp_denorm_src 0
		.amdhsa_exception_fp_ieee_div_zero 0
		.amdhsa_exception_fp_ieee_overflow 0
		.amdhsa_exception_fp_ieee_underflow 0
		.amdhsa_exception_fp_ieee_inexact 0
		.amdhsa_exception_int_div_zero 0
	.end_amdhsa_kernel
	.section	.text._ZN5aiter28grouped_topk_opt_sort_kernelIN3c104HalfEDv4_fLi1ELb0ELb1ELb0EEEvPT_PKS4_PfPimiiiif,"axG",@progbits,_ZN5aiter28grouped_topk_opt_sort_kernelIN3c104HalfEDv4_fLi1ELb0ELb1ELb0EEEvPT_PKS4_PfPimiiiif,comdat
.Lfunc_end86:
	.size	_ZN5aiter28grouped_topk_opt_sort_kernelIN3c104HalfEDv4_fLi1ELb0ELb1ELb0EEEvPT_PKS4_PfPimiiiif, .Lfunc_end86-_ZN5aiter28grouped_topk_opt_sort_kernelIN3c104HalfEDv4_fLi1ELb0ELb1ELb0EEEvPT_PKS4_PfPimiiiif
                                        ; -- End function
	.section	.AMDGPU.csdata,"",@progbits
; Kernel info:
; codeLenInByte = 936
; NumSgprs: 13
; NumVgprs: 15
; NumAgprs: 0
; TotalNumVgprs: 15
; ScratchSize: 0
; MemoryBound: 0
; FloatMode: 240
; IeeeMode: 1
; LDSByteSize: 0 bytes/workgroup (compile time only)
; SGPRBlocks: 1
; VGPRBlocks: 1
; NumSGPRsForWavesPerEU: 13
; NumVGPRsForWavesPerEU: 15
; AccumOffset: 16
; Occupancy: 8
; WaveLimiterHint : 0
; COMPUTE_PGM_RSRC2:SCRATCH_EN: 0
; COMPUTE_PGM_RSRC2:USER_SGPR: 6
; COMPUTE_PGM_RSRC2:TRAP_HANDLER: 0
; COMPUTE_PGM_RSRC2:TGID_X_EN: 1
; COMPUTE_PGM_RSRC2:TGID_Y_EN: 0
; COMPUTE_PGM_RSRC2:TGID_Z_EN: 0
; COMPUTE_PGM_RSRC2:TIDIG_COMP_CNT: 0
; COMPUTE_PGM_RSRC3_GFX90A:ACCUM_OFFSET: 3
; COMPUTE_PGM_RSRC3_GFX90A:TG_SPLIT: 0
	.section	.text._ZN5aiter28grouped_topk_opt_sort_kernelIN3c108BFloat16EDv4_fLi1ELb0ELb1ELb0EEEvPT_PKS4_PfPimiiiif,"axG",@progbits,_ZN5aiter28grouped_topk_opt_sort_kernelIN3c108BFloat16EDv4_fLi1ELb0ELb1ELb0EEEvPT_PKS4_PfPimiiiif,comdat
	.protected	_ZN5aiter28grouped_topk_opt_sort_kernelIN3c108BFloat16EDv4_fLi1ELb0ELb1ELb0EEEvPT_PKS4_PfPimiiiif ; -- Begin function _ZN5aiter28grouped_topk_opt_sort_kernelIN3c108BFloat16EDv4_fLi1ELb0ELb1ELb0EEEvPT_PKS4_PfPimiiiif
	.globl	_ZN5aiter28grouped_topk_opt_sort_kernelIN3c108BFloat16EDv4_fLi1ELb0ELb1ELb0EEEvPT_PKS4_PfPimiiiif
	.p2align	8
	.type	_ZN5aiter28grouped_topk_opt_sort_kernelIN3c108BFloat16EDv4_fLi1ELb0ELb1ELb0EEEvPT_PKS4_PfPimiiiif,@function
_ZN5aiter28grouped_topk_opt_sort_kernelIN3c108BFloat16EDv4_fLi1ELb0ELb1ELb0EEEvPT_PKS4_PfPimiiiif: ; @_ZN5aiter28grouped_topk_opt_sort_kernelIN3c108BFloat16EDv4_fLi1ELb0ELb1ELb0EEEvPT_PKS4_PfPimiiiif
; %bb.0:
	s_load_dword s8, s[4:5], 0x28
	s_load_dwordx4 s[0:3], s[4:5], 0x0
	s_load_dword s7, s[4:5], 0x30
	v_lshlrev_b32_e32 v1, 3, v0
	v_mov_b32_e32 v14, 0x1f800000
	s_waitcnt lgkmcnt(0)
	s_mul_i32 s4, s6, s8
	s_ashr_i32 s5, s4, 31
	global_load_dwordx2 v[2:3], v1, s[2:3]
	s_lshl_b64 s[2:3], s[4:5], 1
	s_add_u32 s0, s0, s2
	s_addc_u32 s1, s1, s3
	global_load_dwordx2 v[4:5], v1, s[0:1]
	s_mov_b32 s0, 0x652b82fe
	s_mov_b32 s1, 0xbff71547
	;; [unrolled: 1-line block ×3, first 2 shown]
	v_mov_b32_e32 v1, 0x42800000
	s_cmp_lt_i32 s7, 1
	s_waitcnt vmcnt(1)
	v_cvt_f32_u32_sdwa v7, v2 dst_sel:DWORD dst_unused:UNUSED_PAD src0_sel:WORD_1
	v_cvt_f32_u32_sdwa v6, v2 dst_sel:DWORD dst_unused:UNUSED_PAD src0_sel:WORD_0
	v_cvt_f32_u32_sdwa v9, v3 dst_sel:DWORD dst_unused:UNUSED_PAD src0_sel:WORD_1
	v_cvt_f32_u32_sdwa v8, v3 dst_sel:DWORD dst_unused:UNUSED_PAD src0_sel:WORD_0
	s_waitcnt vmcnt(0)
	v_and_b32_e32 v2, 0xffff, v4
	v_lshrrev_b32_e32 v4, 16, v4
	v_and_b32_e32 v10, 0xffff, v5
	v_lshrrev_b32_e32 v12, 16, v5
	v_cvt_f64_u32_e32 v[2:3], v2
	v_cvt_f64_u32_e32 v[4:5], v4
	;; [unrolled: 1-line block ×4, first 2 shown]
	v_mul_f64 v[2:3], v[2:3], s[0:1]
	v_mul_f64 v[4:5], v[4:5], s[0:1]
	;; [unrolled: 1-line block ×4, first 2 shown]
	v_cvt_f32_f64_e32 v2, v[2:3]
	v_cvt_f32_f64_e32 v3, v[4:5]
	;; [unrolled: 1-line block ×4, first 2 shown]
	v_cmp_gt_f32_e32 vcc, s4, v2
	v_cmp_gt_f32_e64 s[0:1], s4, v3
	v_cmp_gt_f32_e64 s[2:3], s4, v4
	;; [unrolled: 1-line block ×3, first 2 shown]
	v_cndmask_b32_e32 v10, 0, v1, vcc
	v_cndmask_b32_e64 v11, 0, v1, s[0:1]
	v_cndmask_b32_e64 v12, 0, v1, s[2:3]
	;; [unrolled: 1-line block ×3, first 2 shown]
	v_add_f32_e32 v2, v2, v10
	v_add_f32_e32 v3, v3, v11
	v_add_f32_e32 v4, v4, v12
	v_add_f32_e32 v1, v5, v1
	v_exp_f32_e32 v2, v2
	v_exp_f32_e32 v3, v3
	;; [unrolled: 1-line block ×4, first 2 shown]
	v_cndmask_b32_e32 v10, 1.0, v14, vcc
	v_cndmask_b32_e64 v11, 1.0, v14, s[0:1]
	v_cndmask_b32_e64 v12, 1.0, v14, s[2:3]
	;; [unrolled: 1-line block ×3, first 2 shown]
	v_fma_f32 v2, v2, v10, 1.0
	v_fma_f32 v3, v3, v11, 1.0
	;; [unrolled: 1-line block ×4, first 2 shown]
	v_rcp_f32_e32 v2, v2
	v_rcp_f32_e32 v3, v3
	;; [unrolled: 1-line block ×4, first 2 shown]
	v_lshl_add_u32 v11, v0, 4, 0
	v_pk_add_f32 v[0:1], v[2:3], v[6:7]
	v_mov_b32_e32 v10, 0xff800000
	v_pk_add_f32 v[2:3], v[4:5], v[8:9]
	v_cmp_o_f32_e32 vcc, v3, v3
	v_cndmask_b32_e32 v3, v10, v3, vcc
	v_cmp_o_f32_e32 vcc, v2, v2
	v_cndmask_b32_e32 v2, v10, v2, vcc
	;; [unrolled: 2-line block ×4, first 2 shown]
	ds_write_b128 v11, v[0:3]
	s_cbranch_scc1 .LBB87_7
; %bb.1:
	s_lshl_b32 s0, s8, 2
	s_add_i32 s0, s0, 0
	s_cmp_lt_u32 s7, 8
	s_cbranch_scc1 .LBB87_4
; %bb.2:
	s_and_b32 s1, s7, 0x7ffffff8
	v_mov_b32_e32 v0, s0
	s_mov_b32 s2, 0xff800000
	v_mov_b32_e32 v1, 0xff800000
.LBB87_3:                               ; =>This Inner Loop Header: Depth=1
	ds_read_b32 v2, v0
	s_add_i32 s1, s1, -8
	s_cmp_lg_u32 s1, 0
	s_waitcnt lgkmcnt(0)
	v_cmp_nlg_f32_e32 vcc, s2, v2
	v_cndmask_b32_e64 v2, 0, 1, vcc
	v_lshlrev_b32_e32 v2, 2, v2
	v_add_u32_e32 v2, s0, v2
	ds_write_b32 v2, v1
	ds_read_b32 v2, v0
	s_waitcnt lgkmcnt(0)
	v_cmp_nlg_f32_e32 vcc, s2, v2
	v_cndmask_b32_e64 v2, 0, 1, vcc
	v_lshlrev_b32_e32 v2, 2, v2
	v_add_u32_e32 v2, s0, v2
	ds_write_b32 v2, v1
	ds_read_b32 v2, v0
	;; [unrolled: 7-line block ×7, first 2 shown]
	s_waitcnt lgkmcnt(0)
	v_cmp_nlg_f32_e32 vcc, s2, v2
	v_cndmask_b32_e64 v2, 0, 1, vcc
	v_lshlrev_b32_e32 v2, 2, v2
	v_add_u32_e32 v2, s0, v2
	ds_write_b32 v2, v1
	s_cbranch_scc1 .LBB87_3
.LBB87_4:
	s_and_b32 s1, s7, 7
	s_cmp_eq_u32 s1, 0
	s_cbranch_scc1 .LBB87_7
; %bb.5:
	v_mov_b32_e32 v0, s0
	s_mov_b32 s2, 0xff800000
	v_mov_b32_e32 v1, 0xff800000
.LBB87_6:                               ; =>This Inner Loop Header: Depth=1
	ds_read_b32 v2, v0
	s_add_i32 s1, s1, -1
	s_cmp_lg_u32 s1, 0
	s_waitcnt lgkmcnt(0)
	v_cmp_nlg_f32_e32 vcc, s2, v2
	v_cndmask_b32_e64 v2, 0, 1, vcc
	v_lshlrev_b32_e32 v2, 2, v2
	v_add_u32_e32 v2, s0, v2
	ds_write_b32 v2, v1
	s_cbranch_scc1 .LBB87_6
.LBB87_7:
	s_endpgm
	.section	.rodata,"a",@progbits
	.p2align	6, 0x0
	.amdhsa_kernel _ZN5aiter28grouped_topk_opt_sort_kernelIN3c108BFloat16EDv4_fLi1ELb0ELb1ELb0EEEvPT_PKS4_PfPimiiiif
		.amdhsa_group_segment_fixed_size 0
		.amdhsa_private_segment_fixed_size 0
		.amdhsa_kernarg_size 60
		.amdhsa_user_sgpr_count 6
		.amdhsa_user_sgpr_private_segment_buffer 1
		.amdhsa_user_sgpr_dispatch_ptr 0
		.amdhsa_user_sgpr_queue_ptr 0
		.amdhsa_user_sgpr_kernarg_segment_ptr 1
		.amdhsa_user_sgpr_dispatch_id 0
		.amdhsa_user_sgpr_flat_scratch_init 0
		.amdhsa_user_sgpr_kernarg_preload_length 0
		.amdhsa_user_sgpr_kernarg_preload_offset 0
		.amdhsa_user_sgpr_private_segment_size 0
		.amdhsa_uses_dynamic_stack 0
		.amdhsa_system_sgpr_private_segment_wavefront_offset 0
		.amdhsa_system_sgpr_workgroup_id_x 1
		.amdhsa_system_sgpr_workgroup_id_y 0
		.amdhsa_system_sgpr_workgroup_id_z 0
		.amdhsa_system_sgpr_workgroup_info 0
		.amdhsa_system_vgpr_workitem_id 0
		.amdhsa_next_free_vgpr 15
		.amdhsa_next_free_sgpr 9
		.amdhsa_accum_offset 16
		.amdhsa_reserve_vcc 1
		.amdhsa_reserve_flat_scratch 0
		.amdhsa_float_round_mode_32 0
		.amdhsa_float_round_mode_16_64 0
		.amdhsa_float_denorm_mode_32 3
		.amdhsa_float_denorm_mode_16_64 3
		.amdhsa_dx10_clamp 1
		.amdhsa_ieee_mode 1
		.amdhsa_fp16_overflow 0
		.amdhsa_tg_split 0
		.amdhsa_exception_fp_ieee_invalid_op 0
		.amdhsa_exception_fp_denorm_src 0
		.amdhsa_exception_fp_ieee_div_zero 0
		.amdhsa_exception_fp_ieee_overflow 0
		.amdhsa_exception_fp_ieee_underflow 0
		.amdhsa_exception_fp_ieee_inexact 0
		.amdhsa_exception_int_div_zero 0
	.end_amdhsa_kernel
	.section	.text._ZN5aiter28grouped_topk_opt_sort_kernelIN3c108BFloat16EDv4_fLi1ELb0ELb1ELb0EEEvPT_PKS4_PfPimiiiif,"axG",@progbits,_ZN5aiter28grouped_topk_opt_sort_kernelIN3c108BFloat16EDv4_fLi1ELb0ELb1ELb0EEEvPT_PKS4_PfPimiiiif,comdat
.Lfunc_end87:
	.size	_ZN5aiter28grouped_topk_opt_sort_kernelIN3c108BFloat16EDv4_fLi1ELb0ELb1ELb0EEEvPT_PKS4_PfPimiiiif, .Lfunc_end87-_ZN5aiter28grouped_topk_opt_sort_kernelIN3c108BFloat16EDv4_fLi1ELb0ELb1ELb0EEEvPT_PKS4_PfPimiiiif
                                        ; -- End function
	.section	.AMDGPU.csdata,"",@progbits
; Kernel info:
; codeLenInByte = 944
; NumSgprs: 13
; NumVgprs: 15
; NumAgprs: 0
; TotalNumVgprs: 15
; ScratchSize: 0
; MemoryBound: 0
; FloatMode: 240
; IeeeMode: 1
; LDSByteSize: 0 bytes/workgroup (compile time only)
; SGPRBlocks: 1
; VGPRBlocks: 1
; NumSGPRsForWavesPerEU: 13
; NumVGPRsForWavesPerEU: 15
; AccumOffset: 16
; Occupancy: 8
; WaveLimiterHint : 0
; COMPUTE_PGM_RSRC2:SCRATCH_EN: 0
; COMPUTE_PGM_RSRC2:USER_SGPR: 6
; COMPUTE_PGM_RSRC2:TRAP_HANDLER: 0
; COMPUTE_PGM_RSRC2:TGID_X_EN: 1
; COMPUTE_PGM_RSRC2:TGID_Y_EN: 0
; COMPUTE_PGM_RSRC2:TGID_Z_EN: 0
; COMPUTE_PGM_RSRC2:TIDIG_COMP_CNT: 0
; COMPUTE_PGM_RSRC3_GFX90A:ACCUM_OFFSET: 3
; COMPUTE_PGM_RSRC3_GFX90A:TG_SPLIT: 0
	.section	.text._ZN5aiter19grouped_topk_kernelIfDv4_fLi1ELb0ELb1ELb0EEEvPT_PKS2_PfPimiiiif,"axG",@progbits,_ZN5aiter19grouped_topk_kernelIfDv4_fLi1ELb0ELb1ELb0EEEvPT_PKS2_PfPimiiiif,comdat
	.protected	_ZN5aiter19grouped_topk_kernelIfDv4_fLi1ELb0ELb1ELb0EEEvPT_PKS2_PfPimiiiif ; -- Begin function _ZN5aiter19grouped_topk_kernelIfDv4_fLi1ELb0ELb1ELb0EEEvPT_PKS2_PfPimiiiif
	.globl	_ZN5aiter19grouped_topk_kernelIfDv4_fLi1ELb0ELb1ELb0EEEvPT_PKS2_PfPimiiiif
	.p2align	8
	.type	_ZN5aiter19grouped_topk_kernelIfDv4_fLi1ELb0ELb1ELb0EEEvPT_PKS2_PfPimiiiif,@function
_ZN5aiter19grouped_topk_kernelIfDv4_fLi1ELb0ELb1ELb0EEEvPT_PKS2_PfPimiiiif: ; @_ZN5aiter19grouped_topk_kernelIfDv4_fLi1ELb0ELb1ELb0EEEvPT_PKS2_PfPimiiiif
; %bb.0:
	s_load_dwordx2 s[16:17], s[4:5], 0x28
	s_load_dwordx4 s[12:15], s[4:5], 0x8
	s_load_dwordx2 s[18:19], s[4:5], 0x18
	s_waitcnt lgkmcnt(0)
	s_ashr_i32 s0, s16, 31
	s_lshr_b32 s0, s0, 30
	s_add_i32 s0, s16, s0
	s_ashr_i32 s7, s0, 2
	v_cmp_gt_i32_e64 s[0:1], s7, v0
	s_and_saveexec_b64 s[20:21], s[0:1]
	s_cbranch_execz .LBB88_3
; %bb.1:
	s_load_dwordx2 s[2:3], s[4:5], 0x0
	s_load_dword s10, s[4:5], 0x4c
	s_mul_i32 s8, s6, s16
	s_ashr_i32 s9, s8, 31
	s_lshl_b64 s[8:9], s[8:9], 2
	s_waitcnt lgkmcnt(0)
	s_add_u32 s16, s2, s8
	s_addc_u32 s2, s3, s9
	s_and_b32 s24, s10, 0xffff
	s_mov_b32 s3, 0
	v_lshlrev_b32_e32 v2, 4, v0
	v_mov_b32_e32 v1, 0
	s_lshl_b32 s25, s24, 4
	v_add_u32_e32 v3, 0, v2
	s_mov_b64 s[22:23], 0
	v_mov_b32_e32 v8, s2
	v_mov_b32_e32 v9, s13
	s_mov_b32 s26, 0xbfb8aa3b
	s_mov_b32 s27, 0x42ce8ed0
	;; [unrolled: 1-line block ×3, first 2 shown]
	v_mov_b32_e32 v10, 0x7f800000
	v_mov_b32_e32 v11, s3
	;; [unrolled: 1-line block ×3, first 2 shown]
.LBB88_2:                               ; =>This Inner Loop Header: Depth=1
	v_add_co_u32_e32 v4, vcc, s16, v2
	v_addc_co_u32_e32 v5, vcc, v8, v1, vcc
	v_add_co_u32_e32 v6, vcc, s12, v2
	v_addc_co_u32_e32 v7, vcc, v9, v1, vcc
	global_load_dwordx4 v[14:17], v[4:5], off
	global_load_dwordx4 v[18:21], v[6:7], off
	v_add_co_u32_e32 v2, vcc, s25, v2
	v_add_u32_e32 v12, s24, v12
	v_addc_co_u32_e32 v1, vcc, v1, v11, vcc
	v_cmp_le_i32_e32 vcc, s7, v12
	s_or_b64 s[22:23], vcc, s[22:23]
	s_waitcnt vmcnt(1)
	v_mul_f32_e32 v4, 0xbfb8aa3b, v15
	v_mul_f32_e32 v5, 0xbfb8aa3b, v14
	v_fma_f32 v13, v15, s26, -v4
	v_rndne_f32_e32 v22, v4
	v_fma_f32 v23, v14, s26, -v5
	v_rndne_f32_e32 v24, v5
	v_mul_f32_e32 v6, 0xbfb8aa3b, v17
	v_mul_f32_e32 v7, 0xbfb8aa3b, v16
	v_fmac_f32_e32 v13, 0xb2a5705f, v15
	v_sub_f32_e32 v4, v4, v22
	v_fmac_f32_e32 v23, 0xb2a5705f, v14
	v_sub_f32_e32 v5, v5, v24
	v_fma_f32 v25, v17, s26, -v6
	v_rndne_f32_e32 v26, v6
	v_fma_f32 v27, v16, s26, -v7
	v_rndne_f32_e32 v28, v7
	v_add_f32_e32 v4, v4, v13
	v_add_f32_e32 v5, v5, v23
	v_cvt_i32_f32_e32 v22, v22
	v_cvt_i32_f32_e32 v24, v24
	v_fmac_f32_e32 v25, 0xb2a5705f, v17
	v_sub_f32_e32 v6, v6, v26
	v_fmac_f32_e32 v27, 0xb2a5705f, v16
	v_sub_f32_e32 v7, v7, v28
	v_exp_f32_e32 v4, v4
	v_exp_f32_e32 v5, v5
	v_add_f32_e32 v6, v6, v25
	v_add_f32_e32 v7, v7, v27
	v_cvt_i32_f32_e32 v26, v26
	v_cvt_i32_f32_e32 v28, v28
	v_exp_f32_e32 v6, v6
	v_exp_f32_e32 v7, v7
	v_ldexp_f32 v4, v4, v22
	v_ldexp_f32 v5, v5, v24
	v_cmp_nlt_f32_e32 vcc, s27, v14
	v_cmp_nlt_f32_e64 s[10:11], s27, v15
	v_cndmask_b32_e64 v4, 0, v4, s[10:11]
	v_cndmask_b32_e32 v13, 0, v5, vcc
	v_cmp_ngt_f32_e32 vcc, s28, v14
	v_cmp_ngt_f32_e64 s[10:11], s28, v15
	v_ldexp_f32 v6, v6, v26
	v_cmp_nlt_f32_e64 s[2:3], s27, v17
	v_ldexp_f32 v7, v7, v28
	v_cmp_nlt_f32_e64 s[8:9], s27, v16
	v_cndmask_b32_e64 v5, v10, v4, s[10:11]
	v_cndmask_b32_e32 v4, v10, v13, vcc
	v_cndmask_b32_e64 v6, 0, v6, s[2:3]
	v_cmp_ngt_f32_e64 s[2:3], s28, v17
	v_cndmask_b32_e64 v14, 0, v7, s[8:9]
	v_cmp_ngt_f32_e64 s[8:9], s28, v16
	v_pk_add_f32 v[4:5], v[4:5], 1.0 op_sel_hi:[1,0]
	v_cndmask_b32_e64 v7, v10, v6, s[2:3]
	v_cndmask_b32_e64 v6, v10, v14, s[8:9]
	v_div_scale_f32 v13, s[2:3], v5, v5, 1.0
	v_pk_add_f32 v[6:7], v[6:7], 1.0 op_sel_hi:[1,0]
	v_div_scale_f32 v15, s[2:3], v4, v4, 1.0
	v_rcp_f32_e32 v25, v13
	v_div_scale_f32 v17, s[8:9], v7, v7, 1.0
	v_rcp_f32_e32 v26, v15
	;; [unrolled: 2-line block ×3, first 2 shown]
	v_rcp_f32_e32 v28, v23
	v_fma_f32 v29, -v13, v25, 1.0
	v_div_scale_f32 v14, vcc, 1.0, v5, 1.0
	v_fma_f32 v30, -v15, v26, 1.0
	v_fmac_f32_e32 v25, v29, v25
	v_div_scale_f32 v16, s[2:3], 1.0, v4, 1.0
	v_fma_f32 v31, -v17, v27, 1.0
	v_fmac_f32_e32 v26, v30, v26
	v_mul_f32_e32 v29, v14, v25
	v_div_scale_f32 v22, s[8:9], 1.0, v7, 1.0
	v_fma_f32 v32, -v23, v28, 1.0
	v_fmac_f32_e32 v27, v31, v27
	v_mul_f32_e32 v30, v16, v26
	v_fma_f32 v33, -v13, v29, v14
	v_div_scale_f32 v24, s[10:11], 1.0, v6, 1.0
	v_fmac_f32_e32 v28, v32, v28
	v_mul_f32_e32 v31, v22, v27
	v_fma_f32 v34, -v15, v30, v16
	v_fmac_f32_e32 v29, v33, v25
	v_mul_f32_e32 v32, v24, v28
	v_fma_f32 v35, -v17, v31, v22
	v_fmac_f32_e32 v30, v34, v26
	v_fma_f32 v13, -v13, v29, v14
	v_fma_f32 v36, -v23, v32, v24
	v_fmac_f32_e32 v31, v35, v27
	v_fma_f32 v14, -v15, v30, v16
	v_div_fmas_f32 v13, v13, v25, v29
	s_mov_b64 vcc, s[2:3]
	v_fmac_f32_e32 v32, v36, v28
	v_fma_f32 v15, -v17, v31, v22
	v_div_fixup_f32 v5, v13, v5, 1.0
	v_div_fmas_f32 v13, v14, v26, v30
	s_mov_b64 vcc, s[8:9]
	v_fma_f32 v16, -v23, v32, v24
	v_div_fixup_f32 v4, v13, v4, 1.0
	v_div_fmas_f32 v13, v15, v27, v31
	s_mov_b64 vcc, s[10:11]
	v_div_fixup_f32 v7, v13, v7, 1.0
	v_div_fmas_f32 v13, v16, v28, v32
	v_div_fixup_f32 v6, v13, v6, 1.0
	s_waitcnt vmcnt(0)
	v_pk_add_f32 v[4:5], v[18:19], v[4:5]
	v_pk_add_f32 v[6:7], v[20:21], v[6:7]
	ds_write_b128 v3, v[4:7]
	v_add_u32_e32 v3, s25, v3
	s_andn2_b64 exec, exec, s[22:23]
	s_cbranch_execnz .LBB88_2
.LBB88_3:
	s_or_b64 exec, exec, s[20:21]
	s_cmp_lt_i32 s17, 1
	s_waitcnt lgkmcnt(0)
	s_barrier
	s_cbranch_scc1 .LBB88_10
; %bb.4:
	s_add_u32 s2, s4, 64
	s_addc_u32 s3, s5, 0
	v_lshlrev_b32_e32 v3, 2, v0
	s_mov_b32 s16, 0
	v_lshl_add_u32 v4, v0, 4, 0
	v_mov_b32_e32 v5, 0xff800000
                                        ; implicit-def: $vgpr2
                                        ; implicit-def: $vgpr1
	s_branch .LBB88_6
.LBB88_5:                               ;   in Loop: Header=BB88_6 Depth=1
	s_or_b64 exec, exec, s[8:9]
	v_mov_b32_dpp v9, v7 quad_perm:[1,0,3,2] row_mask:0xf bank_mask:0xf
	v_cmp_lt_f32_e32 vcc, v7, v9
	v_cndmask_b32_e32 v7, v7, v9, vcc
	v_mov_b32_dpp v8, v6 quad_perm:[1,0,3,2] row_mask:0xf bank_mask:0xf
	v_cndmask_b32_e32 v6, v6, v8, vcc
	v_mov_b32_dpp v9, v7 quad_perm:[2,3,0,1] row_mask:0xf bank_mask:0xf
	v_cmp_gt_f32_e32 vcc, v9, v7
	v_cndmask_b32_e32 v7, v7, v9, vcc
	v_mov_b32_dpp v8, v6 quad_perm:[2,3,0,1] row_mask:0xf bank_mask:0xf
	v_cndmask_b32_e32 v6, v6, v8, vcc
	v_mov_b32_dpp v9, v7 row_half_mirror row_mask:0xf bank_mask:0xf
	v_cmp_gt_f32_e32 vcc, v9, v7
	v_cndmask_b32_e32 v7, v7, v9, vcc
	v_mov_b32_dpp v8, v6 row_half_mirror row_mask:0xf bank_mask:0xf
	v_cndmask_b32_e32 v6, v6, v8, vcc
	v_mov_b32_dpp v9, v7 row_mirror row_mask:0xf bank_mask:0xf
	v_cmp_gt_f32_e32 vcc, v9, v7
	v_cndmask_b32_e32 v7, v7, v9, vcc
	v_mov_b32_dpp v8, v6 row_mirror row_mask:0xf bank_mask:0xf
	v_cndmask_b32_e32 v6, v6, v8, vcc
	v_mov_b32_dpp v9, v7 row_bcast:15 row_mask:0xf bank_mask:0xf
	v_cmp_gt_f32_e32 vcc, v9, v7
	v_mov_b32_dpp v8, v6 row_bcast:15 row_mask:0xf bank_mask:0xf
	v_cndmask_b32_e32 v7, v7, v9, vcc
	v_cndmask_b32_e32 v6, v6, v8, vcc
	s_nop 0
	v_mov_b32_dpp v9, v7 row_bcast:31 row_mask:0xf bank_mask:0xf
	v_mov_b32_dpp v8, v6 row_bcast:31 row_mask:0xf bank_mask:0xf
	v_cmp_gt_f32_e32 vcc, v9, v7
	v_cndmask_b32_e32 v6, v6, v8, vcc
	v_readlane_b32 s8, v6, 63
	s_ashr_i32 s9, s8, 31
	s_lshl_b64 s[10:11], s[8:9], 2
	s_add_u32 s10, s12, s10
	s_addc_u32 s11, s13, s11
	s_load_dword s9, s[10:11], 0x0
	v_cndmask_b32_e32 v6, v7, v9, vcc
	v_readlane_b32 s10, v6, 63
	v_cmp_eq_u32_e32 vcc, s16, v0
	s_add_i32 s16, s16, 1
	s_waitcnt lgkmcnt(0)
	v_mov_b32_e32 v6, s9
	s_lshl_b32 s9, s8, 2
	s_add_i32 s9, s9, 0
	v_mov_b32_e32 v7, s9
	v_sub_f32_e32 v6, s10, v6
	ds_write_b32 v7, v5
	v_mov_b32_e32 v7, s8
	v_cndmask_b32_e32 v1, v1, v7, vcc
	s_cmp_eq_u32 s16, s17
	v_cndmask_b32_e32 v2, v2, v6, vcc
	s_cbranch_scc1 .LBB88_11
.LBB88_6:                               ; =>This Loop Header: Depth=1
                                        ;     Child Loop BB88_8 Depth 2
	v_mov_b32_e32 v6, s16
	v_mov_b32_e32 v7, 0xff800000
	s_and_saveexec_b64 s[8:9], s[0:1]
	s_cbranch_execz .LBB88_5
; %bb.7:                                ;   in Loop: Header=BB88_6 Depth=1
	s_load_dword s20, s[2:3], 0xc
	s_mov_b64 s[10:11], 0
	v_mov_b32_e32 v6, s16
	v_mov_b32_e32 v7, 0xff800000
	;; [unrolled: 1-line block ×3, first 2 shown]
	s_waitcnt lgkmcnt(0)
	s_and_b32 s20, s20, 0xffff
	s_lshl_b32 s21, s20, 2
	s_lshl_b32 s22, s20, 4
	v_mov_b32_e32 v9, v3
	v_mov_b32_e32 v10, v0
.LBB88_8:                               ;   Parent Loop BB88_6 Depth=1
                                        ; =>  This Inner Loop Header: Depth=2
	ds_read_b128 v[12:15], v8
	v_add_u32_e32 v10, s20, v10
	v_cmp_le_i32_e32 vcc, s7, v10
	s_or_b64 s[10:11], vcc, s[10:11]
	v_add_u32_e32 v11, 1, v9
	s_waitcnt lgkmcnt(0)
	v_cmp_gt_f32_e32 vcc, v12, v7
	v_cndmask_b32_e32 v7, v7, v12, vcc
	v_cndmask_b32_e32 v6, v6, v9, vcc
	v_cmp_gt_f32_e32 vcc, v13, v7
	v_cndmask_b32_e32 v7, v7, v13, vcc
	v_cndmask_b32_e32 v6, v6, v11, vcc
	v_cmp_gt_f32_e32 vcc, v14, v7
	v_add_u32_e32 v16, 2, v9
	v_cndmask_b32_e32 v7, v7, v14, vcc
	v_add_u32_e32 v17, 3, v9
	v_cndmask_b32_e32 v6, v6, v16, vcc
	v_cmp_gt_f32_e32 vcc, v15, v7
	v_add_u32_e32 v8, s22, v8
	v_add_u32_e32 v9, s21, v9
	v_cndmask_b32_e32 v7, v7, v15, vcc
	v_cndmask_b32_e32 v6, v6, v17, vcc
	s_andn2_b64 exec, exec, s[10:11]
	s_cbranch_execnz .LBB88_8
; %bb.9:                                ;   in Loop: Header=BB88_6 Depth=1
	s_or_b64 exec, exec, s[10:11]
	s_branch .LBB88_5
.LBB88_10:
                                        ; implicit-def: $vgpr2
                                        ; implicit-def: $vgpr1
.LBB88_11:
	v_cmp_gt_i32_e32 vcc, s17, v0
	s_and_saveexec_b64 s[0:1], vcc
	s_cbranch_execz .LBB88_14
; %bb.12:
	s_load_dword s2, s[4:5], 0x38
	s_load_dwordx2 s[0:1], s[4:5], 0x20
	s_ashr_i32 s3, s6, 31
	s_load_dword s4, s[4:5], 0x4c
	v_mov_b32_e32 v4, s15
	s_waitcnt lgkmcnt(0)
	v_mul_f32_e32 v2, s2, v2
	s_mul_i32 s1, s6, s1
	s_mul_hi_u32 s2, s6, s0
	s_add_i32 s1, s2, s1
	s_mul_i32 s3, s3, s0
	s_add_i32 s5, s1, s3
	s_mul_i32 s2, s6, s0
	s_and_b32 s3, s4, 0xffff
	s_mov_b64 s[0:1], 0
	v_mov_b32_e32 v3, s5
	v_mov_b32_e32 v5, s19
.LBB88_13:                              ; =>This Inner Loop Header: Depth=1
	v_ashrrev_i32_e32 v7, 31, v0
	v_add_co_u32_e32 v6, vcc, s2, v0
	v_addc_co_u32_e32 v7, vcc, v3, v7, vcc
	v_add_u32_e32 v0, s3, v0
	v_cmp_le_i32_e32 vcc, s17, v0
	v_lshlrev_b64 v[6:7], 2, v[6:7]
	s_or_b64 s[0:1], vcc, s[0:1]
	v_add_co_u32_e32 v8, vcc, s14, v6
	v_addc_co_u32_e32 v9, vcc, v4, v7, vcc
	v_add_co_u32_e32 v6, vcc, s18, v6
	v_addc_co_u32_e32 v7, vcc, v5, v7, vcc
	global_store_dword v[8:9], v2, off
	global_store_dword v[6:7], v1, off
	s_andn2_b64 exec, exec, s[0:1]
	s_cbranch_execnz .LBB88_13
.LBB88_14:
	s_endpgm
	.section	.rodata,"a",@progbits
	.p2align	6, 0x0
	.amdhsa_kernel _ZN5aiter19grouped_topk_kernelIfDv4_fLi1ELb0ELb1ELb0EEEvPT_PKS2_PfPimiiiif
		.amdhsa_group_segment_fixed_size 0
		.amdhsa_private_segment_fixed_size 0
		.amdhsa_kernarg_size 320
		.amdhsa_user_sgpr_count 6
		.amdhsa_user_sgpr_private_segment_buffer 1
		.amdhsa_user_sgpr_dispatch_ptr 0
		.amdhsa_user_sgpr_queue_ptr 0
		.amdhsa_user_sgpr_kernarg_segment_ptr 1
		.amdhsa_user_sgpr_dispatch_id 0
		.amdhsa_user_sgpr_flat_scratch_init 0
		.amdhsa_user_sgpr_kernarg_preload_length 0
		.amdhsa_user_sgpr_kernarg_preload_offset 0
		.amdhsa_user_sgpr_private_segment_size 0
		.amdhsa_uses_dynamic_stack 0
		.amdhsa_system_sgpr_private_segment_wavefront_offset 0
		.amdhsa_system_sgpr_workgroup_id_x 1
		.amdhsa_system_sgpr_workgroup_id_y 0
		.amdhsa_system_sgpr_workgroup_id_z 0
		.amdhsa_system_sgpr_workgroup_info 0
		.amdhsa_system_vgpr_workitem_id 0
		.amdhsa_next_free_vgpr 37
		.amdhsa_next_free_sgpr 29
		.amdhsa_accum_offset 40
		.amdhsa_reserve_vcc 1
		.amdhsa_reserve_flat_scratch 0
		.amdhsa_float_round_mode_32 0
		.amdhsa_float_round_mode_16_64 0
		.amdhsa_float_denorm_mode_32 3
		.amdhsa_float_denorm_mode_16_64 3
		.amdhsa_dx10_clamp 1
		.amdhsa_ieee_mode 1
		.amdhsa_fp16_overflow 0
		.amdhsa_tg_split 0
		.amdhsa_exception_fp_ieee_invalid_op 0
		.amdhsa_exception_fp_denorm_src 0
		.amdhsa_exception_fp_ieee_div_zero 0
		.amdhsa_exception_fp_ieee_overflow 0
		.amdhsa_exception_fp_ieee_underflow 0
		.amdhsa_exception_fp_ieee_inexact 0
		.amdhsa_exception_int_div_zero 0
	.end_amdhsa_kernel
	.section	.text._ZN5aiter19grouped_topk_kernelIfDv4_fLi1ELb0ELb1ELb0EEEvPT_PKS2_PfPimiiiif,"axG",@progbits,_ZN5aiter19grouped_topk_kernelIfDv4_fLi1ELb0ELb1ELb0EEEvPT_PKS2_PfPimiiiif,comdat
.Lfunc_end88:
	.size	_ZN5aiter19grouped_topk_kernelIfDv4_fLi1ELb0ELb1ELb0EEEvPT_PKS2_PfPimiiiif, .Lfunc_end88-_ZN5aiter19grouped_topk_kernelIfDv4_fLi1ELb0ELb1ELb0EEEvPT_PKS2_PfPimiiiif
                                        ; -- End function
	.section	.AMDGPU.csdata,"",@progbits
; Kernel info:
; codeLenInByte = 1600
; NumSgprs: 33
; NumVgprs: 37
; NumAgprs: 0
; TotalNumVgprs: 37
; ScratchSize: 0
; MemoryBound: 0
; FloatMode: 240
; IeeeMode: 1
; LDSByteSize: 0 bytes/workgroup (compile time only)
; SGPRBlocks: 4
; VGPRBlocks: 4
; NumSGPRsForWavesPerEU: 33
; NumVGPRsForWavesPerEU: 37
; AccumOffset: 40
; Occupancy: 8
; WaveLimiterHint : 0
; COMPUTE_PGM_RSRC2:SCRATCH_EN: 0
; COMPUTE_PGM_RSRC2:USER_SGPR: 6
; COMPUTE_PGM_RSRC2:TRAP_HANDLER: 0
; COMPUTE_PGM_RSRC2:TGID_X_EN: 1
; COMPUTE_PGM_RSRC2:TGID_Y_EN: 0
; COMPUTE_PGM_RSRC2:TGID_Z_EN: 0
; COMPUTE_PGM_RSRC2:TIDIG_COMP_CNT: 0
; COMPUTE_PGM_RSRC3_GFX90A:ACCUM_OFFSET: 9
; COMPUTE_PGM_RSRC3_GFX90A:TG_SPLIT: 0
	.section	.text._ZN5aiter19grouped_topk_kernelIN3c104HalfEDv4_fLi1ELb0ELb1ELb0EEEvPT_PKS4_PfPimiiiif,"axG",@progbits,_ZN5aiter19grouped_topk_kernelIN3c104HalfEDv4_fLi1ELb0ELb1ELb0EEEvPT_PKS4_PfPimiiiif,comdat
	.protected	_ZN5aiter19grouped_topk_kernelIN3c104HalfEDv4_fLi1ELb0ELb1ELb0EEEvPT_PKS4_PfPimiiiif ; -- Begin function _ZN5aiter19grouped_topk_kernelIN3c104HalfEDv4_fLi1ELb0ELb1ELb0EEEvPT_PKS4_PfPimiiiif
	.globl	_ZN5aiter19grouped_topk_kernelIN3c104HalfEDv4_fLi1ELb0ELb1ELb0EEEvPT_PKS4_PfPimiiiif
	.p2align	8
	.type	_ZN5aiter19grouped_topk_kernelIN3c104HalfEDv4_fLi1ELb0ELb1ELb0EEEvPT_PKS4_PfPimiiiif,@function
_ZN5aiter19grouped_topk_kernelIN3c104HalfEDv4_fLi1ELb0ELb1ELb0EEEvPT_PKS4_PfPimiiiif: ; @_ZN5aiter19grouped_topk_kernelIN3c104HalfEDv4_fLi1ELb0ELb1ELb0EEEvPT_PKS4_PfPimiiiif
; %bb.0:
	s_load_dwordx2 s[16:17], s[4:5], 0x28
	s_load_dwordx4 s[12:15], s[4:5], 0x8
	s_load_dwordx2 s[18:19], s[4:5], 0x18
	v_lshl_add_u32 v3, v0, 4, 0
	s_waitcnt lgkmcnt(0)
	s_ashr_i32 s0, s16, 31
	s_lshr_b32 s0, s0, 30
	s_add_i32 s0, s16, s0
	s_ashr_i32 s7, s0, 2
	v_cmp_gt_i32_e64 s[0:1], s7, v0
	s_and_saveexec_b64 s[20:21], s[0:1]
	s_cbranch_execz .LBB89_3
; %bb.1:
	s_load_dwordx2 s[2:3], s[4:5], 0x0
	s_load_dword s10, s[4:5], 0x4c
	s_mul_i32 s8, s6, s16
	s_ashr_i32 s9, s8, 31
	s_lshl_b64 s[8:9], s[8:9], 1
	s_waitcnt lgkmcnt(0)
	s_add_u32 s16, s2, s8
	s_addc_u32 s2, s3, s9
	s_and_b32 s24, s10, 0xffff
	s_mov_b32 s3, 0
	v_lshlrev_b32_e32 v2, 3, v0
	v_mov_b32_e32 v1, 0
	s_lshl_b32 s25, s24, 3
	v_lshl_add_u32 v8, v0, 4, 0
	s_lshl_b32 s26, s24, 4
	s_mov_b64 s[22:23], 0
	v_mov_b32_e32 v9, s2
	v_mov_b32_e32 v10, s13
	s_mov_b32 s27, 0x3fb8aa3b
	s_mov_b32 s28, 0x32a5705f
	;; [unrolled: 1-line block ×4, first 2 shown]
	v_mov_b32_e32 v11, 0x7f800000
	v_mov_b32_e32 v12, s3
	;; [unrolled: 1-line block ×3, first 2 shown]
.LBB89_2:                               ; =>This Inner Loop Header: Depth=1
	v_add_co_u32_e32 v4, vcc, s16, v2
	v_addc_co_u32_e32 v5, vcc, v9, v1, vcc
	v_add_co_u32_e32 v6, vcc, s12, v2
	v_addc_co_u32_e32 v7, vcc, v10, v1, vcc
	global_load_dwordx2 v[14:15], v[6:7], off
	global_load_dwordx2 v[16:17], v[4:5], off
	v_add_co_u32_e32 v2, vcc, s25, v2
	v_add_u32_e32 v13, s24, v13
	v_addc_co_u32_e32 v1, vcc, v1, v12, vcc
	v_cmp_le_i32_e32 vcc, s7, v13
	s_or_b64 s[22:23], vcc, s[22:23]
	s_waitcnt vmcnt(1)
	v_cvt_f32_f16_e32 v4, v14
	v_cvt_f32_f16_sdwa v5, v14 dst_sel:DWORD dst_unused:UNUSED_PAD src0_sel:WORD_1
	v_cvt_f32_f16_e32 v6, v15
	v_cvt_f32_f16_sdwa v7, v15 dst_sel:DWORD dst_unused:UNUSED_PAD src0_sel:WORD_1
	s_waitcnt vmcnt(0)
	v_cvt_f32_f16_e64 v14, -v16
	v_cvt_f32_f16_sdwa v15, -v16 dst_sel:DWORD dst_unused:UNUSED_PAD src0_sel:WORD_1
	v_cvt_f32_f16_e64 v18, -v17
	v_cvt_f32_f16_sdwa v19, -v17 dst_sel:DWORD dst_unused:UNUSED_PAD src0_sel:WORD_1
	v_mul_f32_e32 v20, 0x3fb8aa3b, v14
	v_mul_f32_e32 v21, 0x3fb8aa3b, v15
	v_fma_mix_f32 v24, -v16, s27, -v20 op_sel_hi:[1,0,0]
	v_rndne_f32_e32 v25, v20
	v_fma_mix_f32 v26, -v16, s27, -v21 op_sel:[1,0,0] op_sel_hi:[1,0,0]
	v_rndne_f32_e32 v27, v21
	v_mul_f32_e32 v22, 0x3fb8aa3b, v18
	v_mul_f32_e32 v23, 0x3fb8aa3b, v19
	v_fma_mix_f32 v24, -v16, s28, v24 op_sel_hi:[1,0,0]
	v_sub_f32_e32 v20, v20, v25
	v_fma_mix_f32 v16, -v16, s28, v26 op_sel:[1,0,0] op_sel_hi:[1,0,0]
	v_sub_f32_e32 v21, v21, v27
	v_fma_mix_f32 v28, -v17, s27, -v22 op_sel_hi:[1,0,0]
	v_rndne_f32_e32 v29, v22
	v_fma_mix_f32 v30, -v17, s27, -v23 op_sel:[1,0,0] op_sel_hi:[1,0,0]
	v_rndne_f32_e32 v31, v23
	v_add_f32_e32 v20, v20, v24
	v_add_f32_e32 v16, v21, v16
	v_cvt_i32_f32_e32 v25, v25
	v_cvt_i32_f32_e32 v26, v27
	v_fma_mix_f32 v27, -v17, s28, v28 op_sel_hi:[1,0,0]
	v_sub_f32_e32 v22, v22, v29
	v_fma_mix_f32 v17, -v17, s28, v30 op_sel:[1,0,0] op_sel_hi:[1,0,0]
	v_sub_f32_e32 v23, v23, v31
	v_exp_f32_e32 v20, v20
	v_exp_f32_e32 v16, v16
	v_add_f32_e32 v21, v22, v27
	v_add_f32_e32 v17, v23, v17
	v_cvt_i32_f32_e32 v28, v29
	v_cvt_i32_f32_e32 v29, v31
	v_exp_f32_e32 v21, v21
	v_exp_f32_e32 v17, v17
	v_ldexp_f32 v20, v20, v25
	v_ldexp_f32 v16, v16, v26
	v_cmp_ngt_f32_e32 vcc, s29, v15
	v_cmp_ngt_f32_e64 s[10:11], s29, v14
	v_cndmask_b32_e64 v20, 0, v20, s[10:11]
	v_cndmask_b32_e32 v16, 0, v16, vcc
	v_cmp_nlt_f32_e32 vcc, s30, v15
	v_cmp_nlt_f32_e64 s[10:11], s30, v14
	v_ldexp_f32 v21, v21, v28
	v_cmp_ngt_f32_e64 s[2:3], s29, v18
	v_ldexp_f32 v17, v17, v29
	v_cmp_ngt_f32_e64 s[8:9], s29, v19
	v_cndmask_b32_e64 v14, v11, v20, s[10:11]
	v_cndmask_b32_e32 v15, v11, v16, vcc
	v_cndmask_b32_e64 v21, 0, v21, s[2:3]
	v_cmp_nlt_f32_e64 s[2:3], s30, v18
	v_cndmask_b32_e64 v17, 0, v17, s[8:9]
	v_cmp_nlt_f32_e64 s[8:9], s30, v19
	v_pk_add_f32 v[14:15], v[14:15], 1.0 op_sel_hi:[1,0]
	v_cndmask_b32_e64 v16, v11, v21, s[2:3]
	v_cndmask_b32_e64 v17, v11, v17, s[8:9]
	v_div_scale_f32 v18, s[2:3], v15, v15, 1.0
	v_pk_add_f32 v[16:17], v[16:17], 1.0 op_sel_hi:[1,0]
	v_div_scale_f32 v20, s[2:3], v14, v14, 1.0
	v_rcp_f32_e32 v26, v18
	v_div_scale_f32 v22, s[8:9], v17, v17, 1.0
	v_rcp_f32_e32 v27, v20
	;; [unrolled: 2-line block ×3, first 2 shown]
	v_rcp_f32_e32 v29, v24
	v_fma_f32 v30, -v18, v26, 1.0
	v_div_scale_f32 v19, vcc, 1.0, v15, 1.0
	v_fma_f32 v31, -v20, v27, 1.0
	v_fmac_f32_e32 v26, v30, v26
	v_div_scale_f32 v21, s[2:3], 1.0, v14, 1.0
	v_fma_f32 v32, -v22, v28, 1.0
	v_fmac_f32_e32 v27, v31, v27
	v_mul_f32_e32 v30, v19, v26
	v_div_scale_f32 v23, s[8:9], 1.0, v17, 1.0
	v_fma_f32 v33, -v24, v29, 1.0
	v_fmac_f32_e32 v28, v32, v28
	v_mul_f32_e32 v31, v21, v27
	v_fma_f32 v34, -v18, v30, v19
	v_div_scale_f32 v25, s[10:11], 1.0, v16, 1.0
	v_fmac_f32_e32 v29, v33, v29
	v_mul_f32_e32 v32, v23, v28
	v_fma_f32 v35, -v20, v31, v21
	v_fmac_f32_e32 v30, v34, v26
	v_mul_f32_e32 v33, v25, v29
	v_fma_f32 v36, -v22, v32, v23
	v_fmac_f32_e32 v31, v35, v27
	v_fma_f32 v18, -v18, v30, v19
	v_fma_f32 v37, -v24, v33, v25
	v_fmac_f32_e32 v32, v36, v28
	v_fma_f32 v19, -v20, v31, v21
	v_div_fmas_f32 v18, v18, v26, v30
	s_mov_b64 vcc, s[2:3]
	v_fmac_f32_e32 v33, v37, v29
	v_fma_f32 v20, -v22, v32, v23
	v_div_fixup_f32 v15, v18, v15, 1.0
	v_div_fmas_f32 v18, v19, v27, v31
	s_mov_b64 vcc, s[8:9]
	v_fma_f32 v21, -v24, v33, v25
	v_div_fixup_f32 v14, v18, v14, 1.0
	v_div_fmas_f32 v18, v20, v28, v32
	s_mov_b64 vcc, s[10:11]
	v_div_fixup_f32 v17, v18, v17, 1.0
	v_div_fmas_f32 v18, v21, v29, v33
	v_div_fixup_f32 v16, v18, v16, 1.0
	v_pk_add_f32 v[4:5], v[14:15], v[4:5]
	v_pk_add_f32 v[6:7], v[16:17], v[6:7]
	ds_write_b128 v8, v[4:7]
	v_add_u32_e32 v8, s26, v8
	s_andn2_b64 exec, exec, s[22:23]
	s_cbranch_execnz .LBB89_2
.LBB89_3:
	s_or_b64 exec, exec, s[20:21]
	s_cmp_lt_i32 s17, 1
	s_waitcnt lgkmcnt(0)
	s_barrier
	s_cbranch_scc1 .LBB89_10
; %bb.4:
	s_add_u32 s2, s4, 64
	s_addc_u32 s3, s5, 0
	v_lshlrev_b32_e32 v4, 2, v0
	s_mov_b32 s16, 0
	v_mov_b32_e32 v5, 0
	v_mov_b32_e32 v6, 0xff800000
                                        ; implicit-def: $vgpr2
                                        ; implicit-def: $vgpr1
	s_branch .LBB89_6
.LBB89_5:                               ;   in Loop: Header=BB89_6 Depth=1
	s_or_b64 exec, exec, s[8:9]
	v_mov_b32_dpp v10, v8 quad_perm:[1,0,3,2] row_mask:0xf bank_mask:0xf
	v_cmp_lt_f32_e32 vcc, v8, v10
	v_cndmask_b32_e32 v8, v8, v10, vcc
	v_mov_b32_dpp v9, v7 quad_perm:[1,0,3,2] row_mask:0xf bank_mask:0xf
	v_cndmask_b32_e32 v7, v7, v9, vcc
	v_mov_b32_dpp v10, v8 quad_perm:[2,3,0,1] row_mask:0xf bank_mask:0xf
	v_cmp_gt_f32_e32 vcc, v10, v8
	v_cndmask_b32_e32 v8, v8, v10, vcc
	v_mov_b32_dpp v9, v7 quad_perm:[2,3,0,1] row_mask:0xf bank_mask:0xf
	v_cndmask_b32_e32 v7, v7, v9, vcc
	v_mov_b32_dpp v10, v8 row_half_mirror row_mask:0xf bank_mask:0xf
	v_cmp_gt_f32_e32 vcc, v10, v8
	v_cndmask_b32_e32 v8, v8, v10, vcc
	v_mov_b32_dpp v9, v7 row_half_mirror row_mask:0xf bank_mask:0xf
	v_cndmask_b32_e32 v7, v7, v9, vcc
	v_mov_b32_dpp v10, v8 row_mirror row_mask:0xf bank_mask:0xf
	v_cmp_gt_f32_e32 vcc, v10, v8
	v_cndmask_b32_e32 v8, v8, v10, vcc
	v_mov_b32_dpp v9, v7 row_mirror row_mask:0xf bank_mask:0xf
	v_cndmask_b32_e32 v7, v7, v9, vcc
	v_mov_b32_dpp v10, v8 row_bcast:15 row_mask:0xf bank_mask:0xf
	v_cmp_gt_f32_e32 vcc, v10, v8
	v_mov_b32_dpp v9, v7 row_bcast:15 row_mask:0xf bank_mask:0xf
	v_cndmask_b32_e32 v8, v8, v10, vcc
	v_cndmask_b32_e32 v7, v7, v9, vcc
	s_nop 0
	v_mov_b32_dpp v10, v8 row_bcast:31 row_mask:0xf bank_mask:0xf
	v_mov_b32_dpp v9, v7 row_bcast:31 row_mask:0xf bank_mask:0xf
	v_cmp_gt_f32_e32 vcc, v10, v8
	v_cndmask_b32_e32 v7, v7, v9, vcc
	v_readlane_b32 s8, v7, 63
	s_ashr_i32 s9, s8, 31
	s_lshl_b64 s[10:11], s[8:9], 1
	s_add_u32 s10, s12, s10
	s_addc_u32 s11, s13, s11
	global_load_ushort v7, v5, s[10:11]
	v_cndmask_b32_e32 v8, v8, v10, vcc
	v_readlane_b32 s9, v8, 63
	v_mov_b32_e32 v8, s8
	s_lshl_b32 s8, s8, 2
	v_cmp_eq_u32_e32 vcc, s16, v0
	s_add_i32 s16, s16, 1
	s_add_i32 s8, s8, 0
	v_cndmask_b32_e32 v1, v1, v8, vcc
	v_mov_b32_e32 v8, s8
	s_cmp_eq_u32 s16, s17
	ds_write_b32 v8, v6
	s_waitcnt vmcnt(0)
	v_cvt_f32_f16_e32 v7, v7
	v_sub_f32_e32 v7, s9, v7
	v_cndmask_b32_e32 v2, v2, v7, vcc
	s_cbranch_scc1 .LBB89_11
.LBB89_6:                               ; =>This Loop Header: Depth=1
                                        ;     Child Loop BB89_8 Depth 2
	v_mov_b32_e32 v7, s16
	v_mov_b32_e32 v8, 0xff800000
	s_and_saveexec_b64 s[8:9], s[0:1]
	s_cbranch_execz .LBB89_5
; %bb.7:                                ;   in Loop: Header=BB89_6 Depth=1
	s_load_dword s20, s[2:3], 0xc
	s_mov_b64 s[10:11], 0
	v_mov_b32_e32 v7, s16
	v_mov_b32_e32 v8, 0xff800000
	;; [unrolled: 1-line block ×3, first 2 shown]
	s_waitcnt lgkmcnt(0)
	s_and_b32 s20, s20, 0xffff
	s_lshl_b32 s21, s20, 2
	s_lshl_b32 s22, s20, 4
	v_mov_b32_e32 v10, v4
	v_mov_b32_e32 v11, v0
.LBB89_8:                               ;   Parent Loop BB89_6 Depth=1
                                        ; =>  This Inner Loop Header: Depth=2
	ds_read_b128 v[12:15], v9
	v_add_u32_e32 v11, s20, v11
	v_cmp_le_i32_e32 vcc, s7, v11
	s_or_b64 s[10:11], vcc, s[10:11]
	v_add_u32_e32 v16, 1, v10
	s_waitcnt lgkmcnt(0)
	v_cmp_gt_f32_e32 vcc, v12, v8
	v_cndmask_b32_e32 v8, v8, v12, vcc
	v_cndmask_b32_e32 v7, v7, v10, vcc
	v_cmp_gt_f32_e32 vcc, v13, v8
	v_cndmask_b32_e32 v8, v8, v13, vcc
	v_cndmask_b32_e32 v7, v7, v16, vcc
	v_cmp_gt_f32_e32 vcc, v14, v8
	v_add_u32_e32 v17, 2, v10
	v_cndmask_b32_e32 v8, v8, v14, vcc
	v_add_u32_e32 v18, 3, v10
	v_cndmask_b32_e32 v7, v7, v17, vcc
	v_cmp_gt_f32_e32 vcc, v15, v8
	v_add_u32_e32 v9, s22, v9
	v_add_u32_e32 v10, s21, v10
	v_cndmask_b32_e32 v8, v8, v15, vcc
	v_cndmask_b32_e32 v7, v7, v18, vcc
	s_andn2_b64 exec, exec, s[10:11]
	s_cbranch_execnz .LBB89_8
; %bb.9:                                ;   in Loop: Header=BB89_6 Depth=1
	s_or_b64 exec, exec, s[10:11]
	s_branch .LBB89_5
.LBB89_10:
                                        ; implicit-def: $vgpr2
                                        ; implicit-def: $vgpr1
.LBB89_11:
	v_cmp_gt_i32_e32 vcc, s17, v0
	s_and_saveexec_b64 s[0:1], vcc
	s_cbranch_execz .LBB89_14
; %bb.12:
	s_load_dword s2, s[4:5], 0x38
	s_load_dwordx2 s[0:1], s[4:5], 0x20
	s_ashr_i32 s3, s6, 31
	s_load_dword s4, s[4:5], 0x4c
	v_mov_b32_e32 v4, s15
	s_waitcnt lgkmcnt(0)
	v_mul_f32_e32 v2, s2, v2
	s_mul_i32 s1, s6, s1
	s_mul_hi_u32 s2, s6, s0
	s_add_i32 s1, s2, s1
	s_mul_i32 s3, s3, s0
	s_add_i32 s5, s1, s3
	s_mul_i32 s2, s6, s0
	s_and_b32 s3, s4, 0xffff
	s_mov_b64 s[0:1], 0
	v_mov_b32_e32 v3, s5
	v_mov_b32_e32 v5, s19
.LBB89_13:                              ; =>This Inner Loop Header: Depth=1
	v_ashrrev_i32_e32 v7, 31, v0
	v_add_co_u32_e32 v6, vcc, s2, v0
	v_addc_co_u32_e32 v7, vcc, v3, v7, vcc
	v_add_u32_e32 v0, s3, v0
	v_cmp_le_i32_e32 vcc, s17, v0
	v_lshlrev_b64 v[6:7], 2, v[6:7]
	s_or_b64 s[0:1], vcc, s[0:1]
	v_add_co_u32_e32 v8, vcc, s14, v6
	v_addc_co_u32_e32 v9, vcc, v4, v7, vcc
	v_add_co_u32_e32 v6, vcc, s18, v6
	v_addc_co_u32_e32 v7, vcc, v5, v7, vcc
	global_store_dword v[8:9], v2, off
	global_store_dword v[6:7], v1, off
	s_andn2_b64 exec, exec, s[0:1]
	s_cbranch_execnz .LBB89_13
.LBB89_14:
	s_endpgm
	.section	.rodata,"a",@progbits
	.p2align	6, 0x0
	.amdhsa_kernel _ZN5aiter19grouped_topk_kernelIN3c104HalfEDv4_fLi1ELb0ELb1ELb0EEEvPT_PKS4_PfPimiiiif
		.amdhsa_group_segment_fixed_size 0
		.amdhsa_private_segment_fixed_size 0
		.amdhsa_kernarg_size 320
		.amdhsa_user_sgpr_count 6
		.amdhsa_user_sgpr_private_segment_buffer 1
		.amdhsa_user_sgpr_dispatch_ptr 0
		.amdhsa_user_sgpr_queue_ptr 0
		.amdhsa_user_sgpr_kernarg_segment_ptr 1
		.amdhsa_user_sgpr_dispatch_id 0
		.amdhsa_user_sgpr_flat_scratch_init 0
		.amdhsa_user_sgpr_kernarg_preload_length 0
		.amdhsa_user_sgpr_kernarg_preload_offset 0
		.amdhsa_user_sgpr_private_segment_size 0
		.amdhsa_uses_dynamic_stack 0
		.amdhsa_system_sgpr_private_segment_wavefront_offset 0
		.amdhsa_system_sgpr_workgroup_id_x 1
		.amdhsa_system_sgpr_workgroup_id_y 0
		.amdhsa_system_sgpr_workgroup_id_z 0
		.amdhsa_system_sgpr_workgroup_info 0
		.amdhsa_system_vgpr_workitem_id 0
		.amdhsa_next_free_vgpr 38
		.amdhsa_next_free_sgpr 31
		.amdhsa_accum_offset 40
		.amdhsa_reserve_vcc 1
		.amdhsa_reserve_flat_scratch 0
		.amdhsa_float_round_mode_32 0
		.amdhsa_float_round_mode_16_64 0
		.amdhsa_float_denorm_mode_32 3
		.amdhsa_float_denorm_mode_16_64 3
		.amdhsa_dx10_clamp 1
		.amdhsa_ieee_mode 1
		.amdhsa_fp16_overflow 0
		.amdhsa_tg_split 0
		.amdhsa_exception_fp_ieee_invalid_op 0
		.amdhsa_exception_fp_denorm_src 0
		.amdhsa_exception_fp_ieee_div_zero 0
		.amdhsa_exception_fp_ieee_overflow 0
		.amdhsa_exception_fp_ieee_underflow 0
		.amdhsa_exception_fp_ieee_inexact 0
		.amdhsa_exception_int_div_zero 0
	.end_amdhsa_kernel
	.section	.text._ZN5aiter19grouped_topk_kernelIN3c104HalfEDv4_fLi1ELb0ELb1ELb0EEEvPT_PKS4_PfPimiiiif,"axG",@progbits,_ZN5aiter19grouped_topk_kernelIN3c104HalfEDv4_fLi1ELb0ELb1ELb0EEEvPT_PKS4_PfPimiiiif,comdat
.Lfunc_end89:
	.size	_ZN5aiter19grouped_topk_kernelIN3c104HalfEDv4_fLi1ELb0ELb1ELb0EEEvPT_PKS4_PfPimiiiif, .Lfunc_end89-_ZN5aiter19grouped_topk_kernelIN3c104HalfEDv4_fLi1ELb0ELb1ELb0EEEvPT_PKS4_PfPimiiiif
                                        ; -- End function
	.section	.AMDGPU.csdata,"",@progbits
; Kernel info:
; codeLenInByte = 1676
; NumSgprs: 35
; NumVgprs: 38
; NumAgprs: 0
; TotalNumVgprs: 38
; ScratchSize: 0
; MemoryBound: 0
; FloatMode: 240
; IeeeMode: 1
; LDSByteSize: 0 bytes/workgroup (compile time only)
; SGPRBlocks: 4
; VGPRBlocks: 4
; NumSGPRsForWavesPerEU: 35
; NumVGPRsForWavesPerEU: 38
; AccumOffset: 40
; Occupancy: 8
; WaveLimiterHint : 0
; COMPUTE_PGM_RSRC2:SCRATCH_EN: 0
; COMPUTE_PGM_RSRC2:USER_SGPR: 6
; COMPUTE_PGM_RSRC2:TRAP_HANDLER: 0
; COMPUTE_PGM_RSRC2:TGID_X_EN: 1
; COMPUTE_PGM_RSRC2:TGID_Y_EN: 0
; COMPUTE_PGM_RSRC2:TGID_Z_EN: 0
; COMPUTE_PGM_RSRC2:TIDIG_COMP_CNT: 0
; COMPUTE_PGM_RSRC3_GFX90A:ACCUM_OFFSET: 9
; COMPUTE_PGM_RSRC3_GFX90A:TG_SPLIT: 0
	.section	.text._ZN5aiter19grouped_topk_kernelIN3c108BFloat16EDv4_fLi1ELb0ELb1ELb0EEEvPT_PKS4_PfPimiiiif,"axG",@progbits,_ZN5aiter19grouped_topk_kernelIN3c108BFloat16EDv4_fLi1ELb0ELb1ELb0EEEvPT_PKS4_PfPimiiiif,comdat
	.protected	_ZN5aiter19grouped_topk_kernelIN3c108BFloat16EDv4_fLi1ELb0ELb1ELb0EEEvPT_PKS4_PfPimiiiif ; -- Begin function _ZN5aiter19grouped_topk_kernelIN3c108BFloat16EDv4_fLi1ELb0ELb1ELb0EEEvPT_PKS4_PfPimiiiif
	.globl	_ZN5aiter19grouped_topk_kernelIN3c108BFloat16EDv4_fLi1ELb0ELb1ELb0EEEvPT_PKS4_PfPimiiiif
	.p2align	8
	.type	_ZN5aiter19grouped_topk_kernelIN3c108BFloat16EDv4_fLi1ELb0ELb1ELb0EEEvPT_PKS4_PfPimiiiif,@function
_ZN5aiter19grouped_topk_kernelIN3c108BFloat16EDv4_fLi1ELb0ELb1ELb0EEEvPT_PKS4_PfPimiiiif: ; @_ZN5aiter19grouped_topk_kernelIN3c108BFloat16EDv4_fLi1ELb0ELb1ELb0EEEvPT_PKS4_PfPimiiiif
; %bb.0:
	s_load_dwordx2 s[16:17], s[4:5], 0x28
	s_load_dwordx4 s[12:15], s[4:5], 0x8
	s_load_dwordx2 s[18:19], s[4:5], 0x18
	v_lshl_add_u32 v3, v0, 4, 0
	s_waitcnt lgkmcnt(0)
	s_ashr_i32 s0, s16, 31
	s_lshr_b32 s0, s0, 30
	s_add_i32 s0, s16, s0
	s_ashr_i32 s7, s0, 2
	v_cmp_gt_i32_e64 s[0:1], s7, v0
	s_and_saveexec_b64 s[20:21], s[0:1]
	s_cbranch_execz .LBB90_3
; %bb.1:
	s_load_dwordx2 s[2:3], s[4:5], 0x0
	s_load_dword s10, s[4:5], 0x4c
	s_mul_i32 s8, s6, s16
	s_ashr_i32 s9, s8, 31
	s_lshl_b64 s[8:9], s[8:9], 1
	s_waitcnt lgkmcnt(0)
	s_add_u32 s16, s2, s8
	s_addc_u32 s2, s3, s9
	s_and_b32 s24, s10, 0xffff
	s_mov_b32 s3, 0
	v_lshlrev_b32_e32 v2, 3, v0
	v_mov_b32_e32 v1, 0
	s_lshl_b32 s25, s24, 3
	v_lshl_add_u32 v8, v0, 4, 0
	s_lshl_b32 s26, s24, 4
	s_mov_b64 s[22:23], 0
	v_mov_b32_e32 v9, s2
	v_mov_b32_e32 v10, s13
	s_mov_b32 s27, 0xbfb8aa3b
	s_mov_b32 s28, 0x42ce8ed0
	;; [unrolled: 1-line block ×3, first 2 shown]
	v_mov_b32_e32 v11, 0x7f800000
	v_mov_b32_e32 v12, s3
	;; [unrolled: 1-line block ×3, first 2 shown]
.LBB90_2:                               ; =>This Inner Loop Header: Depth=1
	v_add_co_u32_e32 v4, vcc, s16, v2
	v_addc_co_u32_e32 v5, vcc, v9, v1, vcc
	v_add_co_u32_e32 v6, vcc, s12, v2
	v_addc_co_u32_e32 v7, vcc, v10, v1, vcc
	global_load_dwordx2 v[14:15], v[4:5], off
	global_load_dwordx2 v[16:17], v[6:7], off
	v_add_co_u32_e32 v2, vcc, s25, v2
	v_add_u32_e32 v13, s24, v13
	v_addc_co_u32_e32 v1, vcc, v1, v12, vcc
	v_cmp_le_i32_e32 vcc, s7, v13
	s_or_b64 s[22:23], vcc, s[22:23]
	s_waitcnt vmcnt(1)
	v_cvt_f32_u32_sdwa v18, v14 dst_sel:DWORD dst_unused:UNUSED_PAD src0_sel:WORD_0
	v_cvt_f32_u32_sdwa v14, v14 dst_sel:DWORD dst_unused:UNUSED_PAD src0_sel:WORD_1
	s_waitcnt vmcnt(0)
	v_cvt_f32_u32_sdwa v5, v16 dst_sel:DWORD dst_unused:UNUSED_PAD src0_sel:WORD_1
	v_cvt_f32_u32_sdwa v4, v16 dst_sel:DWORD dst_unused:UNUSED_PAD src0_sel:WORD_0
	v_cvt_f32_u32_sdwa v16, v15 dst_sel:DWORD dst_unused:UNUSED_PAD src0_sel:WORD_0
	v_cvt_f32_u32_sdwa v15, v15 dst_sel:DWORD dst_unused:UNUSED_PAD src0_sel:WORD_1
	v_cvt_f32_u32_sdwa v7, v17 dst_sel:DWORD dst_unused:UNUSED_PAD src0_sel:WORD_1
	v_cvt_f32_u32_sdwa v6, v17 dst_sel:DWORD dst_unused:UNUSED_PAD src0_sel:WORD_0
	v_mul_f32_e32 v17, 0xbfb8aa3b, v14
	v_mul_f32_e32 v19, 0xbfb8aa3b, v18
	;; [unrolled: 1-line block ×3, first 2 shown]
	v_fma_f32 v22, v14, s27, -v17
	v_rndne_f32_e32 v23, v17
	v_fma_f32 v24, v18, s27, -v19
	v_rndne_f32_e32 v25, v19
	v_mul_f32_e32 v21, 0xbfb8aa3b, v16
	v_fma_f32 v26, v15, s27, -v20
	v_rndne_f32_e32 v27, v20
	v_fmac_f32_e32 v22, 0xb2a5705f, v14
	v_sub_f32_e32 v17, v17, v23
	v_fmac_f32_e32 v24, 0xb2a5705f, v18
	v_sub_f32_e32 v19, v19, v25
	v_fma_f32 v28, v16, s27, -v21
	v_rndne_f32_e32 v29, v21
	v_fmac_f32_e32 v26, 0xb2a5705f, v15
	v_sub_f32_e32 v20, v20, v27
	v_add_f32_e32 v17, v17, v22
	v_add_f32_e32 v19, v19, v24
	v_cvt_i32_f32_e32 v23, v23
	v_cvt_i32_f32_e32 v25, v25
	v_fmac_f32_e32 v28, 0xb2a5705f, v16
	v_sub_f32_e32 v21, v21, v29
	v_add_f32_e32 v20, v20, v26
	v_exp_f32_e32 v17, v17
	v_exp_f32_e32 v19, v19
	v_cvt_i32_f32_e32 v27, v27
	v_add_f32_e32 v21, v21, v28
	v_exp_f32_e32 v20, v20
	v_cvt_i32_f32_e32 v29, v29
	v_exp_f32_e32 v21, v21
	v_ldexp_f32 v17, v17, v23
	v_ldexp_f32 v19, v19, v25
	v_cmp_nlt_f32_e32 vcc, s28, v18
	v_cmp_nlt_f32_e64 s[10:11], s28, v14
	v_ldexp_f32 v20, v20, v27
	v_cmp_nlt_f32_e64 s[2:3], s28, v15
	v_cndmask_b32_e64 v17, 0, v17, s[10:11]
	v_cndmask_b32_e32 v19, 0, v19, vcc
	v_cmp_ngt_f32_e32 vcc, s29, v18
	v_cmp_ngt_f32_e64 s[10:11], s29, v14
	v_ldexp_f32 v21, v21, v29
	v_cmp_nlt_f32_e64 s[8:9], s28, v16
	v_cndmask_b32_e64 v18, 0, v20, s[2:3]
	v_cmp_ngt_f32_e64 s[2:3], s29, v15
	v_cndmask_b32_e64 v15, v11, v17, s[10:11]
	v_cndmask_b32_e32 v14, v11, v19, vcc
	v_cndmask_b32_e64 v20, 0, v21, s[8:9]
	v_cmp_ngt_f32_e64 s[8:9], s29, v16
	v_pk_add_f32 v[14:15], v[14:15], 1.0 op_sel_hi:[1,0]
	v_cndmask_b32_e64 v17, v11, v18, s[2:3]
	v_cndmask_b32_e64 v16, v11, v20, s[8:9]
	v_div_scale_f32 v18, s[2:3], v15, v15, 1.0
	v_pk_add_f32 v[16:17], v[16:17], 1.0 op_sel_hi:[1,0]
	v_div_scale_f32 v20, s[2:3], v14, v14, 1.0
	v_rcp_f32_e32 v26, v18
	v_div_scale_f32 v22, s[8:9], v17, v17, 1.0
	v_rcp_f32_e32 v27, v20
	;; [unrolled: 2-line block ×3, first 2 shown]
	v_rcp_f32_e32 v29, v24
	v_fma_f32 v30, -v18, v26, 1.0
	v_div_scale_f32 v19, vcc, 1.0, v15, 1.0
	v_fma_f32 v31, -v20, v27, 1.0
	v_fmac_f32_e32 v26, v30, v26
	v_div_scale_f32 v21, s[2:3], 1.0, v14, 1.0
	v_fma_f32 v32, -v22, v28, 1.0
	v_fmac_f32_e32 v27, v31, v27
	v_mul_f32_e32 v30, v19, v26
	v_div_scale_f32 v23, s[8:9], 1.0, v17, 1.0
	v_fma_f32 v33, -v24, v29, 1.0
	v_fmac_f32_e32 v28, v32, v28
	v_mul_f32_e32 v31, v21, v27
	v_fma_f32 v34, -v18, v30, v19
	v_div_scale_f32 v25, s[10:11], 1.0, v16, 1.0
	v_fmac_f32_e32 v29, v33, v29
	v_mul_f32_e32 v32, v23, v28
	v_fma_f32 v35, -v20, v31, v21
	v_fmac_f32_e32 v30, v34, v26
	v_mul_f32_e32 v33, v25, v29
	v_fma_f32 v36, -v22, v32, v23
	v_fmac_f32_e32 v31, v35, v27
	v_fma_f32 v18, -v18, v30, v19
	v_fma_f32 v37, -v24, v33, v25
	v_fmac_f32_e32 v32, v36, v28
	v_fma_f32 v19, -v20, v31, v21
	v_div_fmas_f32 v18, v18, v26, v30
	s_mov_b64 vcc, s[2:3]
	v_fmac_f32_e32 v33, v37, v29
	v_fma_f32 v20, -v22, v32, v23
	v_div_fixup_f32 v15, v18, v15, 1.0
	v_div_fmas_f32 v18, v19, v27, v31
	s_mov_b64 vcc, s[8:9]
	v_fma_f32 v21, -v24, v33, v25
	v_div_fixup_f32 v14, v18, v14, 1.0
	v_div_fmas_f32 v18, v20, v28, v32
	s_mov_b64 vcc, s[10:11]
	v_div_fixup_f32 v17, v18, v17, 1.0
	v_div_fmas_f32 v18, v21, v29, v33
	v_div_fixup_f32 v16, v18, v16, 1.0
	v_pk_add_f32 v[4:5], v[14:15], v[4:5]
	v_pk_add_f32 v[6:7], v[16:17], v[6:7]
	ds_write_b128 v8, v[4:7]
	v_add_u32_e32 v8, s26, v8
	s_andn2_b64 exec, exec, s[22:23]
	s_cbranch_execnz .LBB90_2
.LBB90_3:
	s_or_b64 exec, exec, s[20:21]
	s_cmp_lt_i32 s17, 1
	s_waitcnt lgkmcnt(0)
	s_barrier
	s_cbranch_scc1 .LBB90_10
; %bb.4:
	s_add_u32 s2, s4, 64
	s_addc_u32 s3, s5, 0
	v_lshlrev_b32_e32 v4, 2, v0
	s_mov_b32 s16, 0
	v_mov_b32_e32 v5, 0
	v_mov_b32_e32 v6, 0xff800000
                                        ; implicit-def: $vgpr2
                                        ; implicit-def: $vgpr1
	s_branch .LBB90_6
.LBB90_5:                               ;   in Loop: Header=BB90_6 Depth=1
	s_or_b64 exec, exec, s[8:9]
	v_mov_b32_dpp v10, v8 quad_perm:[1,0,3,2] row_mask:0xf bank_mask:0xf
	v_cmp_lt_f32_e32 vcc, v8, v10
	v_cndmask_b32_e32 v8, v8, v10, vcc
	v_mov_b32_dpp v9, v7 quad_perm:[1,0,3,2] row_mask:0xf bank_mask:0xf
	v_cndmask_b32_e32 v7, v7, v9, vcc
	v_mov_b32_dpp v10, v8 quad_perm:[2,3,0,1] row_mask:0xf bank_mask:0xf
	v_cmp_gt_f32_e32 vcc, v10, v8
	v_cndmask_b32_e32 v8, v8, v10, vcc
	v_mov_b32_dpp v9, v7 quad_perm:[2,3,0,1] row_mask:0xf bank_mask:0xf
	v_cndmask_b32_e32 v7, v7, v9, vcc
	v_mov_b32_dpp v10, v8 row_half_mirror row_mask:0xf bank_mask:0xf
	v_cmp_gt_f32_e32 vcc, v10, v8
	v_cndmask_b32_e32 v8, v8, v10, vcc
	v_mov_b32_dpp v9, v7 row_half_mirror row_mask:0xf bank_mask:0xf
	v_cndmask_b32_e32 v7, v7, v9, vcc
	v_mov_b32_dpp v10, v8 row_mirror row_mask:0xf bank_mask:0xf
	v_cmp_gt_f32_e32 vcc, v10, v8
	v_cndmask_b32_e32 v8, v8, v10, vcc
	v_mov_b32_dpp v9, v7 row_mirror row_mask:0xf bank_mask:0xf
	v_cndmask_b32_e32 v7, v7, v9, vcc
	v_mov_b32_dpp v10, v8 row_bcast:15 row_mask:0xf bank_mask:0xf
	v_cmp_gt_f32_e32 vcc, v10, v8
	v_mov_b32_dpp v9, v7 row_bcast:15 row_mask:0xf bank_mask:0xf
	v_cndmask_b32_e32 v8, v8, v10, vcc
	v_cndmask_b32_e32 v7, v7, v9, vcc
	s_nop 0
	v_mov_b32_dpp v10, v8 row_bcast:31 row_mask:0xf bank_mask:0xf
	v_mov_b32_dpp v9, v7 row_bcast:31 row_mask:0xf bank_mask:0xf
	v_cmp_gt_f32_e32 vcc, v10, v8
	v_cndmask_b32_e32 v7, v7, v9, vcc
	v_readlane_b32 s8, v7, 63
	s_ashr_i32 s9, s8, 31
	s_lshl_b64 s[10:11], s[8:9], 1
	s_add_u32 s10, s12, s10
	s_addc_u32 s11, s13, s11
	global_load_ushort v7, v5, s[10:11]
	v_cndmask_b32_e32 v8, v8, v10, vcc
	v_readlane_b32 s9, v8, 63
	v_mov_b32_e32 v8, s8
	s_lshl_b32 s8, s8, 2
	v_cmp_eq_u32_e32 vcc, s16, v0
	s_add_i32 s8, s8, 0
	v_cndmask_b32_e32 v1, v1, v8, vcc
	v_mov_b32_e32 v8, s8
	ds_write_b32 v8, v6
	s_add_i32 s16, s16, 1
	s_cmp_eq_u32 s16, s17
	s_waitcnt vmcnt(0)
	v_and_b32_e32 v8, 0xff, v7
	v_lshlrev_b32_e32 v7, 16, v7
	v_lshlrev_b32_e32 v8, 16, v8
	v_and_b32_e32 v7, 0xff000000, v7
	v_or_b32_e32 v7, v8, v7
	v_sub_f32_e32 v7, s9, v7
	v_cndmask_b32_e32 v2, v2, v7, vcc
	s_cbranch_scc1 .LBB90_11
.LBB90_6:                               ; =>This Loop Header: Depth=1
                                        ;     Child Loop BB90_8 Depth 2
	v_mov_b32_e32 v7, s16
	v_mov_b32_e32 v8, 0xff800000
	s_and_saveexec_b64 s[8:9], s[0:1]
	s_cbranch_execz .LBB90_5
; %bb.7:                                ;   in Loop: Header=BB90_6 Depth=1
	s_load_dword s20, s[2:3], 0xc
	s_mov_b64 s[10:11], 0
	v_mov_b32_e32 v7, s16
	v_mov_b32_e32 v8, 0xff800000
	;; [unrolled: 1-line block ×3, first 2 shown]
	s_waitcnt lgkmcnt(0)
	s_and_b32 s20, s20, 0xffff
	s_lshl_b32 s21, s20, 2
	s_lshl_b32 s22, s20, 4
	v_mov_b32_e32 v10, v4
	v_mov_b32_e32 v11, v0
.LBB90_8:                               ;   Parent Loop BB90_6 Depth=1
                                        ; =>  This Inner Loop Header: Depth=2
	ds_read_b128 v[12:15], v9
	v_add_u32_e32 v11, s20, v11
	v_cmp_le_i32_e32 vcc, s7, v11
	s_or_b64 s[10:11], vcc, s[10:11]
	v_add_u32_e32 v16, 1, v10
	s_waitcnt lgkmcnt(0)
	v_cmp_gt_f32_e32 vcc, v12, v8
	v_cndmask_b32_e32 v8, v8, v12, vcc
	v_cndmask_b32_e32 v7, v7, v10, vcc
	v_cmp_gt_f32_e32 vcc, v13, v8
	v_cndmask_b32_e32 v8, v8, v13, vcc
	v_cndmask_b32_e32 v7, v7, v16, vcc
	v_cmp_gt_f32_e32 vcc, v14, v8
	v_add_u32_e32 v17, 2, v10
	v_cndmask_b32_e32 v8, v8, v14, vcc
	v_add_u32_e32 v18, 3, v10
	v_cndmask_b32_e32 v7, v7, v17, vcc
	v_cmp_gt_f32_e32 vcc, v15, v8
	v_add_u32_e32 v9, s22, v9
	v_add_u32_e32 v10, s21, v10
	v_cndmask_b32_e32 v8, v8, v15, vcc
	v_cndmask_b32_e32 v7, v7, v18, vcc
	s_andn2_b64 exec, exec, s[10:11]
	s_cbranch_execnz .LBB90_8
; %bb.9:                                ;   in Loop: Header=BB90_6 Depth=1
	s_or_b64 exec, exec, s[10:11]
	s_branch .LBB90_5
.LBB90_10:
                                        ; implicit-def: $vgpr2
                                        ; implicit-def: $vgpr1
.LBB90_11:
	v_cmp_gt_i32_e32 vcc, s17, v0
	s_and_saveexec_b64 s[0:1], vcc
	s_cbranch_execz .LBB90_14
; %bb.12:
	s_load_dword s2, s[4:5], 0x38
	s_load_dwordx2 s[0:1], s[4:5], 0x20
	s_ashr_i32 s3, s6, 31
	s_load_dword s4, s[4:5], 0x4c
	v_mov_b32_e32 v4, s15
	s_waitcnt lgkmcnt(0)
	v_mul_f32_e32 v2, s2, v2
	s_mul_i32 s1, s6, s1
	s_mul_hi_u32 s2, s6, s0
	s_add_i32 s1, s2, s1
	s_mul_i32 s3, s3, s0
	s_add_i32 s5, s1, s3
	s_mul_i32 s2, s6, s0
	s_and_b32 s3, s4, 0xffff
	s_mov_b64 s[0:1], 0
	v_mov_b32_e32 v3, s5
	v_mov_b32_e32 v5, s19
.LBB90_13:                              ; =>This Inner Loop Header: Depth=1
	v_ashrrev_i32_e32 v7, 31, v0
	v_add_co_u32_e32 v6, vcc, s2, v0
	v_addc_co_u32_e32 v7, vcc, v3, v7, vcc
	v_add_u32_e32 v0, s3, v0
	v_cmp_le_i32_e32 vcc, s17, v0
	v_lshlrev_b64 v[6:7], 2, v[6:7]
	s_or_b64 s[0:1], vcc, s[0:1]
	v_add_co_u32_e32 v8, vcc, s14, v6
	v_addc_co_u32_e32 v9, vcc, v4, v7, vcc
	v_add_co_u32_e32 v6, vcc, s18, v6
	v_addc_co_u32_e32 v7, vcc, v5, v7, vcc
	global_store_dword v[8:9], v2, off
	global_store_dword v[6:7], v1, off
	s_andn2_b64 exec, exec, s[0:1]
	s_cbranch_execnz .LBB90_13
.LBB90_14:
	s_endpgm
	.section	.rodata,"a",@progbits
	.p2align	6, 0x0
	.amdhsa_kernel _ZN5aiter19grouped_topk_kernelIN3c108BFloat16EDv4_fLi1ELb0ELb1ELb0EEEvPT_PKS4_PfPimiiiif
		.amdhsa_group_segment_fixed_size 0
		.amdhsa_private_segment_fixed_size 0
		.amdhsa_kernarg_size 320
		.amdhsa_user_sgpr_count 6
		.amdhsa_user_sgpr_private_segment_buffer 1
		.amdhsa_user_sgpr_dispatch_ptr 0
		.amdhsa_user_sgpr_queue_ptr 0
		.amdhsa_user_sgpr_kernarg_segment_ptr 1
		.amdhsa_user_sgpr_dispatch_id 0
		.amdhsa_user_sgpr_flat_scratch_init 0
		.amdhsa_user_sgpr_kernarg_preload_length 0
		.amdhsa_user_sgpr_kernarg_preload_offset 0
		.amdhsa_user_sgpr_private_segment_size 0
		.amdhsa_uses_dynamic_stack 0
		.amdhsa_system_sgpr_private_segment_wavefront_offset 0
		.amdhsa_system_sgpr_workgroup_id_x 1
		.amdhsa_system_sgpr_workgroup_id_y 0
		.amdhsa_system_sgpr_workgroup_id_z 0
		.amdhsa_system_sgpr_workgroup_info 0
		.amdhsa_system_vgpr_workitem_id 0
		.amdhsa_next_free_vgpr 38
		.amdhsa_next_free_sgpr 30
		.amdhsa_accum_offset 40
		.amdhsa_reserve_vcc 1
		.amdhsa_reserve_flat_scratch 0
		.amdhsa_float_round_mode_32 0
		.amdhsa_float_round_mode_16_64 0
		.amdhsa_float_denorm_mode_32 3
		.amdhsa_float_denorm_mode_16_64 3
		.amdhsa_dx10_clamp 1
		.amdhsa_ieee_mode 1
		.amdhsa_fp16_overflow 0
		.amdhsa_tg_split 0
		.amdhsa_exception_fp_ieee_invalid_op 0
		.amdhsa_exception_fp_denorm_src 0
		.amdhsa_exception_fp_ieee_div_zero 0
		.amdhsa_exception_fp_ieee_overflow 0
		.amdhsa_exception_fp_ieee_underflow 0
		.amdhsa_exception_fp_ieee_inexact 0
		.amdhsa_exception_int_div_zero 0
	.end_amdhsa_kernel
	.section	.text._ZN5aiter19grouped_topk_kernelIN3c108BFloat16EDv4_fLi1ELb0ELb1ELb0EEEvPT_PKS4_PfPimiiiif,"axG",@progbits,_ZN5aiter19grouped_topk_kernelIN3c108BFloat16EDv4_fLi1ELb0ELb1ELb0EEEvPT_PKS4_PfPimiiiif,comdat
.Lfunc_end90:
	.size	_ZN5aiter19grouped_topk_kernelIN3c108BFloat16EDv4_fLi1ELb0ELb1ELb0EEEvPT_PKS4_PfPimiiiif, .Lfunc_end90-_ZN5aiter19grouped_topk_kernelIN3c108BFloat16EDv4_fLi1ELb0ELb1ELb0EEEvPT_PKS4_PfPimiiiif
                                        ; -- End function
	.section	.AMDGPU.csdata,"",@progbits
; Kernel info:
; codeLenInByte = 1700
; NumSgprs: 34
; NumVgprs: 38
; NumAgprs: 0
; TotalNumVgprs: 38
; ScratchSize: 0
; MemoryBound: 0
; FloatMode: 240
; IeeeMode: 1
; LDSByteSize: 0 bytes/workgroup (compile time only)
; SGPRBlocks: 4
; VGPRBlocks: 4
; NumSGPRsForWavesPerEU: 34
; NumVGPRsForWavesPerEU: 38
; AccumOffset: 40
; Occupancy: 8
; WaveLimiterHint : 0
; COMPUTE_PGM_RSRC2:SCRATCH_EN: 0
; COMPUTE_PGM_RSRC2:USER_SGPR: 6
; COMPUTE_PGM_RSRC2:TRAP_HANDLER: 0
; COMPUTE_PGM_RSRC2:TGID_X_EN: 1
; COMPUTE_PGM_RSRC2:TGID_Y_EN: 0
; COMPUTE_PGM_RSRC2:TGID_Z_EN: 0
; COMPUTE_PGM_RSRC2:TIDIG_COMP_CNT: 0
; COMPUTE_PGM_RSRC3_GFX90A:ACCUM_OFFSET: 9
; COMPUTE_PGM_RSRC3_GFX90A:TG_SPLIT: 0
	.section	.text._ZN5aiter19grouped_topk_kernelIfDv4_fLi1ELb0ELb0ELb1EEEvPT_PKS2_PfPimiiiif,"axG",@progbits,_ZN5aiter19grouped_topk_kernelIfDv4_fLi1ELb0ELb0ELb1EEEvPT_PKS2_PfPimiiiif,comdat
	.protected	_ZN5aiter19grouped_topk_kernelIfDv4_fLi1ELb0ELb0ELb1EEEvPT_PKS2_PfPimiiiif ; -- Begin function _ZN5aiter19grouped_topk_kernelIfDv4_fLi1ELb0ELb0ELb1EEEvPT_PKS2_PfPimiiiif
	.globl	_ZN5aiter19grouped_topk_kernelIfDv4_fLi1ELb0ELb0ELb1EEEvPT_PKS2_PfPimiiiif
	.p2align	8
	.type	_ZN5aiter19grouped_topk_kernelIfDv4_fLi1ELb0ELb0ELb1EEEvPT_PKS2_PfPimiiiif,@function
_ZN5aiter19grouped_topk_kernelIfDv4_fLi1ELb0ELb0ELb1EEEvPT_PKS2_PfPimiiiif: ; @_ZN5aiter19grouped_topk_kernelIfDv4_fLi1ELb0ELb0ELb1EEEvPT_PKS2_PfPimiiiif
; %bb.0:
	s_load_dwordx2 s[2:3], s[4:5], 0x28
	s_load_dwordx4 s[8:11], s[4:5], 0x10
	v_mov_b32_e32 v1, 0xff800000
	s_waitcnt lgkmcnt(0)
	v_cmp_gt_i32_e32 vcc, s2, v0
	s_and_saveexec_b64 s[12:13], vcc
	s_cbranch_execz .LBB91_4
; %bb.1:
	s_load_dword s0, s[4:5], 0x4c
	s_load_dwordx2 s[14:15], s[4:5], 0x0
	s_mul_i32 s7, s6, s2
	v_lshl_add_u32 v2, v0, 2, 0
	s_mov_b64 s[16:17], 0
	s_waitcnt lgkmcnt(0)
	s_and_b32 s18, s0, 0xffff
	s_lshl_b32 s19, s18, 2
	v_mov_b32_e32 v1, 0xff800000
	v_mov_b32_e32 v3, s15
	;; [unrolled: 1-line block ×3, first 2 shown]
.LBB91_2:                               ; =>This Inner Loop Header: Depth=1
	v_add_u32_e32 v6, s7, v4
	v_ashrrev_i32_e32 v7, 31, v6
	v_lshlrev_b64 v[6:7], 2, v[6:7]
	v_add_co_u32_e64 v6, s[0:1], s14, v6
	v_addc_co_u32_e64 v7, s[0:1], v3, v7, s[0:1]
	global_load_dword v5, v[6:7], off
	v_add_u32_e32 v4, s18, v4
	v_cmp_le_i32_e64 s[0:1], s2, v4
	s_or_b64 s[16:17], s[0:1], s[16:17]
	s_waitcnt vmcnt(0)
	v_cmp_gt_f32_e64 s[0:1], v5, v1
	ds_write_b32 v2, v5
	v_cndmask_b32_e64 v1, v1, v5, s[0:1]
	v_add_u32_e32 v2, s19, v2
	s_andn2_b64 exec, exec, s[16:17]
	s_cbranch_execnz .LBB91_2
; %bb.3:
	s_or_b64 exec, exec, s[16:17]
.LBB91_4:
	s_or_b64 exec, exec, s[12:13]
	v_mov_b32_dpp v2, v1 quad_perm:[1,0,3,2] row_mask:0xf bank_mask:0xf
	v_cmp_lt_f32_e64 s[0:1], v1, v2
	v_cndmask_b32_e64 v1, v1, v2, s[0:1]
	v_bfrev_b32_e32 v3, 0.5
	s_waitcnt lgkmcnt(0)
	v_mov_b32_dpp v2, v1 quad_perm:[2,3,0,1] row_mask:0xf bank_mask:0xf
	v_cmp_lt_f32_e64 s[0:1], v1, v2
	v_cndmask_b32_e64 v1, v1, v2, s[0:1]
	s_barrier
	s_nop 0
	v_mov_b32_dpp v2, v1 row_half_mirror row_mask:0xf bank_mask:0xf
	v_cmp_lt_f32_e64 s[0:1], v1, v2
	v_cndmask_b32_e64 v1, v1, v2, s[0:1]
	s_nop 1
	v_mov_b32_dpp v2, v1 row_mirror row_mask:0xf bank_mask:0xf
	v_cmp_lt_f32_e64 s[0:1], v1, v2
	v_cndmask_b32_e64 v1, v1, v2, s[0:1]
	s_nop 1
	v_mov_b32_dpp v2, v1 row_bcast:15 row_mask:0xf bank_mask:0xf
	v_cmp_lt_f32_e64 s[0:1], v1, v2
	v_cndmask_b32_e64 v1, v1, v2, s[0:1]
	s_nop 1
	v_mov_b32_dpp v2, v1 row_bcast:31 row_mask:0xf bank_mask:0xf
	v_cmp_lt_f32_e64 s[0:1], v1, v2
	v_cndmask_b32_e64 v2, v1, v2, s[0:1]
	v_mbcnt_lo_u32_b32 v1, -1, 0
	v_mbcnt_hi_u32_b32 v1, -1, v1
	v_lshl_or_b32 v1, v1, 2, v3
	ds_bpermute_b32 v3, v1, v2
	v_mov_b32_e32 v2, 0
	s_and_saveexec_b64 s[12:13], vcc
	s_cbranch_execz .LBB91_8
; %bb.5:
	s_load_dword s0, s[4:5], 0x4c
	v_lshl_add_u32 v4, v0, 2, 0
	s_mov_b64 s[14:15], 0
	v_mov_b32_e32 v2, 0
	s_mov_b32 s7, 0x3fb8aa3b
	s_waitcnt lgkmcnt(0)
	s_and_b32 s16, s0, 0xffff
	s_lshl_b32 s17, s16, 2
	s_mov_b32 s18, 0xc2ce8ed0
	s_mov_b32 s19, 0x42b17218
	v_mov_b32_e32 v5, 0x7f800000
	v_mov_b32_e32 v6, v0
.LBB91_6:                               ; =>This Inner Loop Header: Depth=1
	ds_read_b32 v7, v4
	v_add_u32_e32 v6, s16, v6
	s_waitcnt lgkmcnt(0)
	v_sub_f32_e32 v7, v7, v3
	v_mul_f32_e32 v8, 0x3fb8aa3b, v7
	v_fma_f32 v9, v7, s7, -v8
	v_rndne_f32_e32 v10, v8
	v_fmac_f32_e32 v9, 0x32a5705f, v7
	v_sub_f32_e32 v8, v8, v10
	v_add_f32_e32 v8, v8, v9
	v_cvt_i32_f32_e32 v10, v10
	v_exp_f32_e32 v8, v8
	v_cmp_ngt_f32_e64 s[0:1], s18, v7
	v_ldexp_f32 v8, v8, v10
	v_cndmask_b32_e64 v8, 0, v8, s[0:1]
	v_cmp_nlt_f32_e64 s[0:1], s19, v7
	v_cndmask_b32_e64 v7, v5, v8, s[0:1]
	v_cmp_le_i32_e64 s[0:1], s2, v6
	ds_write_b32 v4, v7
	v_add_f32_e32 v2, v2, v7
	s_or_b64 s[14:15], s[0:1], s[14:15]
	v_add_u32_e32 v4, s17, v4
	s_andn2_b64 exec, exec, s[14:15]
	s_cbranch_execnz .LBB91_6
; %bb.7:
	s_or_b64 exec, exec, s[14:15]
.LBB91_8:
	s_or_b64 exec, exec, s[12:13]
	s_waitcnt lgkmcnt(0)
	v_mov_b32_dpp v3, v2 quad_perm:[1,0,3,2] row_mask:0xf bank_mask:0xf
	v_add_f32_e32 v2, v2, v3
	s_barrier
	s_nop 0
	v_mov_b32_dpp v3, v2 quad_perm:[2,3,0,1] row_mask:0xf bank_mask:0xf
	v_add_f32_e32 v2, v2, v3
	s_nop 1
	v_mov_b32_dpp v3, v2 row_half_mirror row_mask:0xf bank_mask:0xf
	v_add_f32_e32 v2, v2, v3
	s_nop 1
	v_mov_b32_dpp v3, v2 row_mirror row_mask:0xf bank_mask:0xf
	v_add_f32_e32 v2, v2, v3
	s_nop 1
	v_mov_b32_dpp v3, v2 row_bcast:15 row_mask:0xf bank_mask:0xf
	v_add_f32_e32 v2, v2, v3
	s_nop 1
	v_mov_b32_dpp v3, v2 row_bcast:31 row_mask:0xf bank_mask:0xf
	v_add_f32_e32 v2, v2, v3
	ds_bpermute_b32 v1, v1, v2
	s_and_saveexec_b64 s[0:1], vcc
	s_cbranch_execz .LBB91_11
; %bb.9:
	s_load_dword s7, s[4:5], 0x4c
	v_lshl_add_u32 v2, v0, 2, 0
	s_mov_b64 s[12:13], 0
	v_mov_b32_e32 v3, v0
	s_waitcnt lgkmcnt(0)
	s_and_b32 s7, s7, 0xffff
	s_lshl_b32 s14, s7, 2
.LBB91_10:                              ; =>This Inner Loop Header: Depth=1
	ds_read_b32 v4, v2
	v_add_u32_e32 v3, s7, v3
	v_cmp_le_i32_e32 vcc, s2, v3
	s_or_b64 s[12:13], vcc, s[12:13]
	s_waitcnt lgkmcnt(0)
	v_div_scale_f32 v5, s[16:17], v1, v1, v4
	v_rcp_f32_e32 v6, v5
	v_div_scale_f32 v7, vcc, v4, v1, v4
	v_fma_f32 v8, -v5, v6, 1.0
	v_fmac_f32_e32 v6, v8, v6
	v_mul_f32_e32 v8, v7, v6
	v_fma_f32 v9, -v5, v8, v7
	v_fmac_f32_e32 v8, v9, v6
	v_fma_f32 v5, -v5, v8, v7
	v_div_fmas_f32 v5, v5, v6, v8
	v_div_fixup_f32 v4, v5, v1, v4
	ds_write_b32 v2, v4
	v_add_u32_e32 v2, s14, v2
	s_andn2_b64 exec, exec, s[12:13]
	s_cbranch_execnz .LBB91_10
.LBB91_11:
	s_or_b64 exec, exec, s[0:1]
	s_cmp_lt_i32 s3, 1
	s_waitcnt lgkmcnt(0)
	s_barrier
	s_cbranch_scc1 .LBB91_18
; %bb.12:
	s_ashr_i32 s0, s2, 31
	s_lshr_b32 s0, s0, 30
	s_add_i32 s0, s2, s0
	s_ashr_i32 s2, s0, 2
	s_add_u32 s12, s4, 64
	v_cmp_gt_i32_e32 vcc, s2, v0
	s_addc_u32 s13, s5, 0
	v_lshlrev_b32_e32 v3, 2, v0
	s_mov_b32 s7, 0
	v_lshl_add_u32 v4, v0, 4, 0
	v_mov_b32_e32 v5, 0xff800000
                                        ; implicit-def: $vgpr2
                                        ; implicit-def: $vgpr1
	s_branch .LBB91_14
.LBB91_13:                              ;   in Loop: Header=BB91_14 Depth=1
	s_or_b64 exec, exec, s[14:15]
	v_mov_b32_dpp v9, v7 quad_perm:[1,0,3,2] row_mask:0xf bank_mask:0xf
	v_cmp_lt_f32_e64 s[0:1], v7, v9
	v_cndmask_b32_e64 v7, v7, v9, s[0:1]
	v_mov_b32_dpp v8, v6 quad_perm:[1,0,3,2] row_mask:0xf bank_mask:0xf
	v_cndmask_b32_e64 v6, v6, v8, s[0:1]
	v_mov_b32_dpp v9, v7 quad_perm:[2,3,0,1] row_mask:0xf bank_mask:0xf
	v_cmp_gt_f32_e64 s[0:1], v9, v7
	v_cndmask_b32_e64 v7, v7, v9, s[0:1]
	v_mov_b32_dpp v8, v6 quad_perm:[2,3,0,1] row_mask:0xf bank_mask:0xf
	v_cndmask_b32_e64 v6, v6, v8, s[0:1]
	v_mov_b32_dpp v9, v7 row_half_mirror row_mask:0xf bank_mask:0xf
	v_cmp_gt_f32_e64 s[0:1], v9, v7
	v_cndmask_b32_e64 v7, v7, v9, s[0:1]
	v_mov_b32_dpp v8, v6 row_half_mirror row_mask:0xf bank_mask:0xf
	v_cndmask_b32_e64 v6, v6, v8, s[0:1]
	v_mov_b32_dpp v9, v7 row_mirror row_mask:0xf bank_mask:0xf
	v_cmp_gt_f32_e64 s[0:1], v9, v7
	v_cndmask_b32_e64 v7, v7, v9, s[0:1]
	v_mov_b32_dpp v8, v6 row_mirror row_mask:0xf bank_mask:0xf
	v_cndmask_b32_e64 v6, v6, v8, s[0:1]
	v_mov_b32_dpp v9, v7 row_bcast:15 row_mask:0xf bank_mask:0xf
	v_cmp_gt_f32_e64 s[0:1], v9, v7
	v_mov_b32_dpp v8, v6 row_bcast:15 row_mask:0xf bank_mask:0xf
	v_cndmask_b32_e64 v7, v7, v9, s[0:1]
	v_cndmask_b32_e64 v6, v6, v8, s[0:1]
	s_nop 0
	v_mov_b32_dpp v9, v7 row_bcast:31 row_mask:0xf bank_mask:0xf
	v_mov_b32_dpp v8, v6 row_bcast:31 row_mask:0xf bank_mask:0xf
	v_cmp_gt_f32_e64 s[0:1], v9, v7
	v_cndmask_b32_e64 v6, v6, v8, s[0:1]
	v_cndmask_b32_e64 v7, v7, v9, s[0:1]
	v_readlane_b32 s0, v6, 63
	s_lshl_b32 s1, s0, 2
	s_add_i32 s1, s1, 0
	v_mov_b32_e32 v6, s1
	v_readlane_b32 s14, v7, 63
	ds_write_b32 v6, v5
	v_mov_b32_e32 v6, s0
	v_cmp_eq_u32_e64 s[0:1], s7, v0
	v_cndmask_b32_e64 v1, v1, v6, s[0:1]
	v_mov_b32_e32 v6, s14
	s_add_i32 s7, s7, 1
	s_cmp_eq_u32 s7, s3
	v_cndmask_b32_e64 v2, v2, v6, s[0:1]
	s_cbranch_scc1 .LBB91_19
.LBB91_14:                              ; =>This Loop Header: Depth=1
                                        ;     Child Loop BB91_16 Depth 2
	v_mov_b32_e32 v6, s7
	v_mov_b32_e32 v7, 0xff800000
	s_and_saveexec_b64 s[14:15], vcc
	s_cbranch_execz .LBB91_13
; %bb.15:                               ;   in Loop: Header=BB91_14 Depth=1
	s_load_dword s0, s[12:13], 0xc
	s_mov_b64 s[16:17], 0
	v_mov_b32_e32 v6, s7
	v_mov_b32_e32 v7, 0xff800000
	v_mov_b32_e32 v8, v4
	s_waitcnt lgkmcnt(0)
	s_and_b32 s18, s0, 0xffff
	s_lshl_b32 s19, s18, 2
	s_lshl_b32 s20, s18, 4
	v_mov_b32_e32 v9, v3
	v_mov_b32_e32 v10, v0
.LBB91_16:                              ;   Parent Loop BB91_14 Depth=1
                                        ; =>  This Inner Loop Header: Depth=2
	ds_read_b128 v[12:15], v8
	v_add_u32_e32 v10, s18, v10
	v_cmp_le_i32_e64 s[0:1], s2, v10
	s_or_b64 s[16:17], s[0:1], s[16:17]
	v_add_u32_e32 v11, 1, v9
	s_waitcnt lgkmcnt(0)
	v_cmp_gt_f32_e64 s[0:1], v12, v7
	v_cndmask_b32_e64 v7, v7, v12, s[0:1]
	v_cndmask_b32_e64 v6, v6, v9, s[0:1]
	v_cmp_gt_f32_e64 s[0:1], v13, v7
	v_cndmask_b32_e64 v7, v7, v13, s[0:1]
	v_cndmask_b32_e64 v6, v6, v11, s[0:1]
	v_cmp_gt_f32_e64 s[0:1], v14, v7
	v_add_u32_e32 v16, 2, v9
	v_cndmask_b32_e64 v7, v7, v14, s[0:1]
	v_add_u32_e32 v17, 3, v9
	v_cndmask_b32_e64 v6, v6, v16, s[0:1]
	v_cmp_gt_f32_e64 s[0:1], v15, v7
	v_add_u32_e32 v8, s20, v8
	v_add_u32_e32 v9, s19, v9
	v_cndmask_b32_e64 v7, v7, v15, s[0:1]
	v_cndmask_b32_e64 v6, v6, v17, s[0:1]
	s_andn2_b64 exec, exec, s[16:17]
	s_cbranch_execnz .LBB91_16
; %bb.17:                               ;   in Loop: Header=BB91_14 Depth=1
	s_or_b64 exec, exec, s[16:17]
	s_branch .LBB91_13
.LBB91_18:
                                        ; implicit-def: $vgpr2
                                        ; implicit-def: $vgpr1
.LBB91_19:
	v_cmp_gt_i32_e32 vcc, s3, v0
	s_and_saveexec_b64 s[0:1], vcc
	s_cbranch_execz .LBB91_22
; %bb.20:
	s_load_dword s2, s[4:5], 0x38
	s_load_dwordx2 s[0:1], s[4:5], 0x20
	s_ashr_i32 s7, s6, 31
	s_load_dword s4, s[4:5], 0x4c
	v_mov_b32_e32 v4, s9
	s_waitcnt lgkmcnt(0)
	v_mul_f32_e32 v2, s2, v2
	s_mul_i32 s1, s6, s1
	s_mul_hi_u32 s2, s6, s0
	s_add_i32 s1, s2, s1
	s_mul_i32 s7, s7, s0
	s_add_i32 s5, s1, s7
	s_mul_i32 s2, s6, s0
	s_and_b32 s4, s4, 0xffff
	s_mov_b64 s[0:1], 0
	v_mov_b32_e32 v3, s5
	v_mov_b32_e32 v5, s11
.LBB91_21:                              ; =>This Inner Loop Header: Depth=1
	v_ashrrev_i32_e32 v7, 31, v0
	v_add_co_u32_e32 v6, vcc, s2, v0
	v_addc_co_u32_e32 v7, vcc, v3, v7, vcc
	v_add_u32_e32 v0, s4, v0
	v_cmp_le_i32_e32 vcc, s3, v0
	v_lshlrev_b64 v[6:7], 2, v[6:7]
	s_or_b64 s[0:1], vcc, s[0:1]
	v_add_co_u32_e32 v8, vcc, s8, v6
	v_addc_co_u32_e32 v9, vcc, v4, v7, vcc
	v_add_co_u32_e32 v6, vcc, s10, v6
	v_addc_co_u32_e32 v7, vcc, v5, v7, vcc
	global_store_dword v[8:9], v2, off
	global_store_dword v[6:7], v1, off
	s_andn2_b64 exec, exec, s[0:1]
	s_cbranch_execnz .LBB91_21
.LBB91_22:
	s_endpgm
	.section	.rodata,"a",@progbits
	.p2align	6, 0x0
	.amdhsa_kernel _ZN5aiter19grouped_topk_kernelIfDv4_fLi1ELb0ELb0ELb1EEEvPT_PKS2_PfPimiiiif
		.amdhsa_group_segment_fixed_size 0
		.amdhsa_private_segment_fixed_size 0
		.amdhsa_kernarg_size 320
		.amdhsa_user_sgpr_count 6
		.amdhsa_user_sgpr_private_segment_buffer 1
		.amdhsa_user_sgpr_dispatch_ptr 0
		.amdhsa_user_sgpr_queue_ptr 0
		.amdhsa_user_sgpr_kernarg_segment_ptr 1
		.amdhsa_user_sgpr_dispatch_id 0
		.amdhsa_user_sgpr_flat_scratch_init 0
		.amdhsa_user_sgpr_kernarg_preload_length 0
		.amdhsa_user_sgpr_kernarg_preload_offset 0
		.amdhsa_user_sgpr_private_segment_size 0
		.amdhsa_uses_dynamic_stack 0
		.amdhsa_system_sgpr_private_segment_wavefront_offset 0
		.amdhsa_system_sgpr_workgroup_id_x 1
		.amdhsa_system_sgpr_workgroup_id_y 0
		.amdhsa_system_sgpr_workgroup_id_z 0
		.amdhsa_system_sgpr_workgroup_info 0
		.amdhsa_system_vgpr_workitem_id 0
		.amdhsa_next_free_vgpr 18
		.amdhsa_next_free_sgpr 21
		.amdhsa_accum_offset 20
		.amdhsa_reserve_vcc 1
		.amdhsa_reserve_flat_scratch 0
		.amdhsa_float_round_mode_32 0
		.amdhsa_float_round_mode_16_64 0
		.amdhsa_float_denorm_mode_32 3
		.amdhsa_float_denorm_mode_16_64 3
		.amdhsa_dx10_clamp 1
		.amdhsa_ieee_mode 1
		.amdhsa_fp16_overflow 0
		.amdhsa_tg_split 0
		.amdhsa_exception_fp_ieee_invalid_op 0
		.amdhsa_exception_fp_denorm_src 0
		.amdhsa_exception_fp_ieee_div_zero 0
		.amdhsa_exception_fp_ieee_overflow 0
		.amdhsa_exception_fp_ieee_underflow 0
		.amdhsa_exception_fp_ieee_inexact 0
		.amdhsa_exception_int_div_zero 0
	.end_amdhsa_kernel
	.section	.text._ZN5aiter19grouped_topk_kernelIfDv4_fLi1ELb0ELb0ELb1EEEvPT_PKS2_PfPimiiiif,"axG",@progbits,_ZN5aiter19grouped_topk_kernelIfDv4_fLi1ELb0ELb0ELb1EEEvPT_PKS2_PfPimiiiif,comdat
.Lfunc_end91:
	.size	_ZN5aiter19grouped_topk_kernelIfDv4_fLi1ELb0ELb0ELb1EEEvPT_PKS2_PfPimiiiif, .Lfunc_end91-_ZN5aiter19grouped_topk_kernelIfDv4_fLi1ELb0ELb0ELb1EEEvPT_PKS2_PfPimiiiif
                                        ; -- End function
	.section	.AMDGPU.csdata,"",@progbits
; Kernel info:
; codeLenInByte = 1732
; NumSgprs: 25
; NumVgprs: 18
; NumAgprs: 0
; TotalNumVgprs: 18
; ScratchSize: 0
; MemoryBound: 0
; FloatMode: 240
; IeeeMode: 1
; LDSByteSize: 0 bytes/workgroup (compile time only)
; SGPRBlocks: 3
; VGPRBlocks: 2
; NumSGPRsForWavesPerEU: 25
; NumVGPRsForWavesPerEU: 18
; AccumOffset: 20
; Occupancy: 8
; WaveLimiterHint : 0
; COMPUTE_PGM_RSRC2:SCRATCH_EN: 0
; COMPUTE_PGM_RSRC2:USER_SGPR: 6
; COMPUTE_PGM_RSRC2:TRAP_HANDLER: 0
; COMPUTE_PGM_RSRC2:TGID_X_EN: 1
; COMPUTE_PGM_RSRC2:TGID_Y_EN: 0
; COMPUTE_PGM_RSRC2:TGID_Z_EN: 0
; COMPUTE_PGM_RSRC2:TIDIG_COMP_CNT: 0
; COMPUTE_PGM_RSRC3_GFX90A:ACCUM_OFFSET: 4
; COMPUTE_PGM_RSRC3_GFX90A:TG_SPLIT: 0
	.section	.text._ZN5aiter19grouped_topk_kernelIN3c104HalfEDv4_fLi1ELb0ELb0ELb1EEEvPT_PKS4_PfPimiiiif,"axG",@progbits,_ZN5aiter19grouped_topk_kernelIN3c104HalfEDv4_fLi1ELb0ELb0ELb1EEEvPT_PKS4_PfPimiiiif,comdat
	.protected	_ZN5aiter19grouped_topk_kernelIN3c104HalfEDv4_fLi1ELb0ELb0ELb1EEEvPT_PKS4_PfPimiiiif ; -- Begin function _ZN5aiter19grouped_topk_kernelIN3c104HalfEDv4_fLi1ELb0ELb0ELb1EEEvPT_PKS4_PfPimiiiif
	.globl	_ZN5aiter19grouped_topk_kernelIN3c104HalfEDv4_fLi1ELb0ELb0ELb1EEEvPT_PKS4_PfPimiiiif
	.p2align	8
	.type	_ZN5aiter19grouped_topk_kernelIN3c104HalfEDv4_fLi1ELb0ELb0ELb1EEEvPT_PKS4_PfPimiiiif,@function
_ZN5aiter19grouped_topk_kernelIN3c104HalfEDv4_fLi1ELb0ELb0ELb1EEEvPT_PKS4_PfPimiiiif: ; @_ZN5aiter19grouped_topk_kernelIN3c104HalfEDv4_fLi1ELb0ELb0ELb1EEEvPT_PKS4_PfPimiiiif
; %bb.0:
	s_load_dwordx2 s[2:3], s[4:5], 0x28
	s_load_dwordx4 s[8:11], s[4:5], 0x10
	v_mov_b32_e32 v1, 0xff800000
	s_waitcnt lgkmcnt(0)
	v_cmp_gt_i32_e32 vcc, s2, v0
	s_and_saveexec_b64 s[12:13], vcc
	s_cbranch_execz .LBB92_4
; %bb.1:
	s_load_dword s0, s[4:5], 0x4c
	s_load_dwordx2 s[14:15], s[4:5], 0x0
	s_mul_i32 s7, s6, s2
	v_lshl_add_u32 v2, v0, 2, 0
	s_mov_b64 s[16:17], 0
	s_waitcnt lgkmcnt(0)
	s_and_b32 s18, s0, 0xffff
	s_lshl_b32 s19, s18, 2
	v_mov_b32_e32 v1, 0xff800000
	v_mov_b32_e32 v3, s15
	;; [unrolled: 1-line block ×3, first 2 shown]
.LBB92_2:                               ; =>This Inner Loop Header: Depth=1
	v_add_u32_e32 v6, s7, v4
	v_ashrrev_i32_e32 v7, 31, v6
	v_lshlrev_b64 v[6:7], 1, v[6:7]
	v_add_co_u32_e64 v6, s[0:1], s14, v6
	v_addc_co_u32_e64 v7, s[0:1], v3, v7, s[0:1]
	global_load_ushort v5, v[6:7], off
	v_add_u32_e32 v4, s18, v4
	v_cmp_le_i32_e64 s[0:1], s2, v4
	s_or_b64 s[16:17], s[0:1], s[16:17]
	s_waitcnt vmcnt(0)
	v_cvt_f32_f16_e32 v5, v5
	v_cmp_lt_f32_e64 s[0:1], v1, v5
	ds_write_b32 v2, v5
	v_cndmask_b32_e64 v1, v1, v5, s[0:1]
	v_add_u32_e32 v2, s19, v2
	s_andn2_b64 exec, exec, s[16:17]
	s_cbranch_execnz .LBB92_2
; %bb.3:
	s_or_b64 exec, exec, s[16:17]
.LBB92_4:
	s_or_b64 exec, exec, s[12:13]
	v_mov_b32_dpp v2, v1 quad_perm:[1,0,3,2] row_mask:0xf bank_mask:0xf
	v_cmp_lt_f32_e64 s[0:1], v1, v2
	v_cndmask_b32_e64 v1, v1, v2, s[0:1]
	v_bfrev_b32_e32 v3, 0.5
	s_waitcnt lgkmcnt(0)
	v_mov_b32_dpp v2, v1 quad_perm:[2,3,0,1] row_mask:0xf bank_mask:0xf
	v_cmp_lt_f32_e64 s[0:1], v1, v2
	v_cndmask_b32_e64 v1, v1, v2, s[0:1]
	s_barrier
	s_nop 0
	v_mov_b32_dpp v2, v1 row_half_mirror row_mask:0xf bank_mask:0xf
	v_cmp_lt_f32_e64 s[0:1], v1, v2
	v_cndmask_b32_e64 v1, v1, v2, s[0:1]
	s_nop 1
	v_mov_b32_dpp v2, v1 row_mirror row_mask:0xf bank_mask:0xf
	v_cmp_lt_f32_e64 s[0:1], v1, v2
	v_cndmask_b32_e64 v1, v1, v2, s[0:1]
	s_nop 1
	v_mov_b32_dpp v2, v1 row_bcast:15 row_mask:0xf bank_mask:0xf
	v_cmp_lt_f32_e64 s[0:1], v1, v2
	v_cndmask_b32_e64 v1, v1, v2, s[0:1]
	s_nop 1
	v_mov_b32_dpp v2, v1 row_bcast:31 row_mask:0xf bank_mask:0xf
	v_cmp_lt_f32_e64 s[0:1], v1, v2
	v_cndmask_b32_e64 v2, v1, v2, s[0:1]
	v_mbcnt_lo_u32_b32 v1, -1, 0
	v_mbcnt_hi_u32_b32 v1, -1, v1
	v_lshl_or_b32 v1, v1, 2, v3
	ds_bpermute_b32 v3, v1, v2
	v_mov_b32_e32 v2, 0
	s_and_saveexec_b64 s[12:13], vcc
	s_cbranch_execz .LBB92_8
; %bb.5:
	s_load_dword s0, s[4:5], 0x4c
	v_lshl_add_u32 v4, v0, 2, 0
	s_mov_b64 s[14:15], 0
	v_mov_b32_e32 v2, 0
	s_mov_b32 s7, 0x3fb8aa3b
	s_waitcnt lgkmcnt(0)
	s_and_b32 s16, s0, 0xffff
	s_lshl_b32 s17, s16, 2
	s_mov_b32 s18, 0xc2ce8ed0
	s_mov_b32 s19, 0x42b17218
	v_mov_b32_e32 v5, 0x7f800000
	v_mov_b32_e32 v6, v0
.LBB92_6:                               ; =>This Inner Loop Header: Depth=1
	ds_read_b32 v7, v4
	v_add_u32_e32 v6, s16, v6
	s_waitcnt lgkmcnt(0)
	v_sub_f32_e32 v7, v7, v3
	v_mul_f32_e32 v8, 0x3fb8aa3b, v7
	v_fma_f32 v9, v7, s7, -v8
	v_rndne_f32_e32 v10, v8
	v_fmac_f32_e32 v9, 0x32a5705f, v7
	v_sub_f32_e32 v8, v8, v10
	v_add_f32_e32 v8, v8, v9
	v_cvt_i32_f32_e32 v10, v10
	v_exp_f32_e32 v8, v8
	v_cmp_ngt_f32_e64 s[0:1], s18, v7
	v_ldexp_f32 v8, v8, v10
	v_cndmask_b32_e64 v8, 0, v8, s[0:1]
	v_cmp_nlt_f32_e64 s[0:1], s19, v7
	v_cndmask_b32_e64 v7, v5, v8, s[0:1]
	v_cmp_le_i32_e64 s[0:1], s2, v6
	ds_write_b32 v4, v7
	v_add_f32_e32 v2, v2, v7
	s_or_b64 s[14:15], s[0:1], s[14:15]
	v_add_u32_e32 v4, s17, v4
	s_andn2_b64 exec, exec, s[14:15]
	s_cbranch_execnz .LBB92_6
; %bb.7:
	s_or_b64 exec, exec, s[14:15]
.LBB92_8:
	s_or_b64 exec, exec, s[12:13]
	s_waitcnt lgkmcnt(0)
	v_mov_b32_dpp v3, v2 quad_perm:[1,0,3,2] row_mask:0xf bank_mask:0xf
	v_add_f32_e32 v2, v2, v3
	s_barrier
	s_nop 0
	v_mov_b32_dpp v3, v2 quad_perm:[2,3,0,1] row_mask:0xf bank_mask:0xf
	v_add_f32_e32 v2, v2, v3
	s_nop 1
	v_mov_b32_dpp v3, v2 row_half_mirror row_mask:0xf bank_mask:0xf
	v_add_f32_e32 v2, v2, v3
	s_nop 1
	v_mov_b32_dpp v3, v2 row_mirror row_mask:0xf bank_mask:0xf
	v_add_f32_e32 v2, v2, v3
	s_nop 1
	v_mov_b32_dpp v3, v2 row_bcast:15 row_mask:0xf bank_mask:0xf
	v_add_f32_e32 v2, v2, v3
	s_nop 1
	v_mov_b32_dpp v3, v2 row_bcast:31 row_mask:0xf bank_mask:0xf
	v_add_f32_e32 v2, v2, v3
	ds_bpermute_b32 v1, v1, v2
	s_and_saveexec_b64 s[0:1], vcc
	s_cbranch_execz .LBB92_11
; %bb.9:
	s_load_dword s7, s[4:5], 0x4c
	v_lshl_add_u32 v2, v0, 2, 0
	s_mov_b64 s[12:13], 0
	v_mov_b32_e32 v3, v0
	s_waitcnt lgkmcnt(0)
	s_and_b32 s7, s7, 0xffff
	s_lshl_b32 s14, s7, 2
.LBB92_10:                              ; =>This Inner Loop Header: Depth=1
	ds_read_b32 v4, v2
	v_add_u32_e32 v3, s7, v3
	v_cmp_le_i32_e32 vcc, s2, v3
	s_or_b64 s[12:13], vcc, s[12:13]
	s_waitcnt lgkmcnt(0)
	v_div_scale_f32 v5, s[16:17], v1, v1, v4
	v_rcp_f32_e32 v6, v5
	v_div_scale_f32 v7, vcc, v4, v1, v4
	v_fma_f32 v8, -v5, v6, 1.0
	v_fmac_f32_e32 v6, v8, v6
	v_mul_f32_e32 v8, v7, v6
	v_fma_f32 v9, -v5, v8, v7
	v_fmac_f32_e32 v8, v9, v6
	v_fma_f32 v5, -v5, v8, v7
	v_div_fmas_f32 v5, v5, v6, v8
	v_div_fixup_f32 v4, v5, v1, v4
	ds_write_b32 v2, v4
	v_add_u32_e32 v2, s14, v2
	s_andn2_b64 exec, exec, s[12:13]
	s_cbranch_execnz .LBB92_10
.LBB92_11:
	s_or_b64 exec, exec, s[0:1]
	s_cmp_lt_i32 s3, 1
	s_waitcnt lgkmcnt(0)
	s_barrier
	s_cbranch_scc1 .LBB92_18
; %bb.12:
	s_ashr_i32 s0, s2, 31
	s_lshr_b32 s0, s0, 30
	s_add_i32 s0, s2, s0
	s_ashr_i32 s2, s0, 2
	s_add_u32 s12, s4, 64
	v_cmp_gt_i32_e32 vcc, s2, v0
	s_addc_u32 s13, s5, 0
	v_lshlrev_b32_e32 v3, 2, v0
	s_mov_b32 s7, 0
	v_lshl_add_u32 v4, v0, 4, 0
	v_mov_b32_e32 v5, 0xff800000
                                        ; implicit-def: $vgpr2
                                        ; implicit-def: $vgpr1
	s_branch .LBB92_14
.LBB92_13:                              ;   in Loop: Header=BB92_14 Depth=1
	s_or_b64 exec, exec, s[14:15]
	v_mov_b32_dpp v9, v7 quad_perm:[1,0,3,2] row_mask:0xf bank_mask:0xf
	v_cmp_lt_f32_e64 s[0:1], v7, v9
	v_cndmask_b32_e64 v7, v7, v9, s[0:1]
	v_mov_b32_dpp v8, v6 quad_perm:[1,0,3,2] row_mask:0xf bank_mask:0xf
	v_cndmask_b32_e64 v6, v6, v8, s[0:1]
	v_mov_b32_dpp v9, v7 quad_perm:[2,3,0,1] row_mask:0xf bank_mask:0xf
	v_cmp_gt_f32_e64 s[0:1], v9, v7
	v_cndmask_b32_e64 v7, v7, v9, s[0:1]
	v_mov_b32_dpp v8, v6 quad_perm:[2,3,0,1] row_mask:0xf bank_mask:0xf
	v_cndmask_b32_e64 v6, v6, v8, s[0:1]
	v_mov_b32_dpp v9, v7 row_half_mirror row_mask:0xf bank_mask:0xf
	v_cmp_gt_f32_e64 s[0:1], v9, v7
	v_cndmask_b32_e64 v7, v7, v9, s[0:1]
	v_mov_b32_dpp v8, v6 row_half_mirror row_mask:0xf bank_mask:0xf
	v_cndmask_b32_e64 v6, v6, v8, s[0:1]
	v_mov_b32_dpp v9, v7 row_mirror row_mask:0xf bank_mask:0xf
	v_cmp_gt_f32_e64 s[0:1], v9, v7
	v_cndmask_b32_e64 v7, v7, v9, s[0:1]
	v_mov_b32_dpp v8, v6 row_mirror row_mask:0xf bank_mask:0xf
	v_cndmask_b32_e64 v6, v6, v8, s[0:1]
	v_mov_b32_dpp v9, v7 row_bcast:15 row_mask:0xf bank_mask:0xf
	v_cmp_gt_f32_e64 s[0:1], v9, v7
	v_mov_b32_dpp v8, v6 row_bcast:15 row_mask:0xf bank_mask:0xf
	v_cndmask_b32_e64 v7, v7, v9, s[0:1]
	v_cndmask_b32_e64 v6, v6, v8, s[0:1]
	s_nop 0
	v_mov_b32_dpp v9, v7 row_bcast:31 row_mask:0xf bank_mask:0xf
	v_mov_b32_dpp v8, v6 row_bcast:31 row_mask:0xf bank_mask:0xf
	v_cmp_gt_f32_e64 s[0:1], v9, v7
	v_cndmask_b32_e64 v6, v6, v8, s[0:1]
	v_cndmask_b32_e64 v7, v7, v9, s[0:1]
	v_readlane_b32 s0, v6, 63
	s_lshl_b32 s1, s0, 2
	s_add_i32 s1, s1, 0
	v_mov_b32_e32 v6, s1
	v_readlane_b32 s14, v7, 63
	ds_write_b32 v6, v5
	v_mov_b32_e32 v6, s0
	v_cmp_eq_u32_e64 s[0:1], s7, v0
	v_cndmask_b32_e64 v1, v1, v6, s[0:1]
	v_mov_b32_e32 v6, s14
	s_add_i32 s7, s7, 1
	s_cmp_eq_u32 s7, s3
	v_cndmask_b32_e64 v2, v2, v6, s[0:1]
	s_cbranch_scc1 .LBB92_19
.LBB92_14:                              ; =>This Loop Header: Depth=1
                                        ;     Child Loop BB92_16 Depth 2
	v_mov_b32_e32 v6, s7
	v_mov_b32_e32 v7, 0xff800000
	s_and_saveexec_b64 s[14:15], vcc
	s_cbranch_execz .LBB92_13
; %bb.15:                               ;   in Loop: Header=BB92_14 Depth=1
	s_load_dword s0, s[12:13], 0xc
	s_mov_b64 s[16:17], 0
	v_mov_b32_e32 v6, s7
	v_mov_b32_e32 v7, 0xff800000
	;; [unrolled: 1-line block ×3, first 2 shown]
	s_waitcnt lgkmcnt(0)
	s_and_b32 s18, s0, 0xffff
	s_lshl_b32 s19, s18, 2
	s_lshl_b32 s20, s18, 4
	v_mov_b32_e32 v9, v3
	v_mov_b32_e32 v10, v0
.LBB92_16:                              ;   Parent Loop BB92_14 Depth=1
                                        ; =>  This Inner Loop Header: Depth=2
	ds_read_b128 v[12:15], v8
	v_add_u32_e32 v10, s18, v10
	v_cmp_le_i32_e64 s[0:1], s2, v10
	s_or_b64 s[16:17], s[0:1], s[16:17]
	v_add_u32_e32 v11, 1, v9
	s_waitcnt lgkmcnt(0)
	v_cmp_gt_f32_e64 s[0:1], v12, v7
	v_cndmask_b32_e64 v7, v7, v12, s[0:1]
	v_cndmask_b32_e64 v6, v6, v9, s[0:1]
	v_cmp_gt_f32_e64 s[0:1], v13, v7
	v_cndmask_b32_e64 v7, v7, v13, s[0:1]
	v_cndmask_b32_e64 v6, v6, v11, s[0:1]
	v_cmp_gt_f32_e64 s[0:1], v14, v7
	v_add_u32_e32 v16, 2, v9
	v_cndmask_b32_e64 v7, v7, v14, s[0:1]
	v_add_u32_e32 v17, 3, v9
	v_cndmask_b32_e64 v6, v6, v16, s[0:1]
	v_cmp_gt_f32_e64 s[0:1], v15, v7
	v_add_u32_e32 v8, s20, v8
	v_add_u32_e32 v9, s19, v9
	v_cndmask_b32_e64 v7, v7, v15, s[0:1]
	v_cndmask_b32_e64 v6, v6, v17, s[0:1]
	s_andn2_b64 exec, exec, s[16:17]
	s_cbranch_execnz .LBB92_16
; %bb.17:                               ;   in Loop: Header=BB92_14 Depth=1
	s_or_b64 exec, exec, s[16:17]
	s_branch .LBB92_13
.LBB92_18:
                                        ; implicit-def: $vgpr2
                                        ; implicit-def: $vgpr1
.LBB92_19:
	v_cmp_gt_i32_e32 vcc, s3, v0
	s_and_saveexec_b64 s[0:1], vcc
	s_cbranch_execz .LBB92_22
; %bb.20:
	s_load_dword s2, s[4:5], 0x38
	s_load_dwordx2 s[0:1], s[4:5], 0x20
	s_ashr_i32 s7, s6, 31
	s_load_dword s4, s[4:5], 0x4c
	v_mov_b32_e32 v4, s9
	s_waitcnt lgkmcnt(0)
	v_mul_f32_e32 v2, s2, v2
	s_mul_i32 s1, s6, s1
	s_mul_hi_u32 s2, s6, s0
	s_add_i32 s1, s2, s1
	s_mul_i32 s7, s7, s0
	s_add_i32 s5, s1, s7
	s_mul_i32 s2, s6, s0
	s_and_b32 s4, s4, 0xffff
	s_mov_b64 s[0:1], 0
	v_mov_b32_e32 v3, s5
	v_mov_b32_e32 v5, s11
.LBB92_21:                              ; =>This Inner Loop Header: Depth=1
	v_ashrrev_i32_e32 v7, 31, v0
	v_add_co_u32_e32 v6, vcc, s2, v0
	v_addc_co_u32_e32 v7, vcc, v3, v7, vcc
	v_add_u32_e32 v0, s4, v0
	v_cmp_le_i32_e32 vcc, s3, v0
	v_lshlrev_b64 v[6:7], 2, v[6:7]
	s_or_b64 s[0:1], vcc, s[0:1]
	v_add_co_u32_e32 v8, vcc, s8, v6
	v_addc_co_u32_e32 v9, vcc, v4, v7, vcc
	v_add_co_u32_e32 v6, vcc, s10, v6
	v_addc_co_u32_e32 v7, vcc, v5, v7, vcc
	global_store_dword v[8:9], v2, off
	global_store_dword v[6:7], v1, off
	s_andn2_b64 exec, exec, s[0:1]
	s_cbranch_execnz .LBB92_21
.LBB92_22:
	s_endpgm
	.section	.rodata,"a",@progbits
	.p2align	6, 0x0
	.amdhsa_kernel _ZN5aiter19grouped_topk_kernelIN3c104HalfEDv4_fLi1ELb0ELb0ELb1EEEvPT_PKS4_PfPimiiiif
		.amdhsa_group_segment_fixed_size 0
		.amdhsa_private_segment_fixed_size 0
		.amdhsa_kernarg_size 320
		.amdhsa_user_sgpr_count 6
		.amdhsa_user_sgpr_private_segment_buffer 1
		.amdhsa_user_sgpr_dispatch_ptr 0
		.amdhsa_user_sgpr_queue_ptr 0
		.amdhsa_user_sgpr_kernarg_segment_ptr 1
		.amdhsa_user_sgpr_dispatch_id 0
		.amdhsa_user_sgpr_flat_scratch_init 0
		.amdhsa_user_sgpr_kernarg_preload_length 0
		.amdhsa_user_sgpr_kernarg_preload_offset 0
		.amdhsa_user_sgpr_private_segment_size 0
		.amdhsa_uses_dynamic_stack 0
		.amdhsa_system_sgpr_private_segment_wavefront_offset 0
		.amdhsa_system_sgpr_workgroup_id_x 1
		.amdhsa_system_sgpr_workgroup_id_y 0
		.amdhsa_system_sgpr_workgroup_id_z 0
		.amdhsa_system_sgpr_workgroup_info 0
		.amdhsa_system_vgpr_workitem_id 0
		.amdhsa_next_free_vgpr 18
		.amdhsa_next_free_sgpr 21
		.amdhsa_accum_offset 20
		.amdhsa_reserve_vcc 1
		.amdhsa_reserve_flat_scratch 0
		.amdhsa_float_round_mode_32 0
		.amdhsa_float_round_mode_16_64 0
		.amdhsa_float_denorm_mode_32 3
		.amdhsa_float_denorm_mode_16_64 3
		.amdhsa_dx10_clamp 1
		.amdhsa_ieee_mode 1
		.amdhsa_fp16_overflow 0
		.amdhsa_tg_split 0
		.amdhsa_exception_fp_ieee_invalid_op 0
		.amdhsa_exception_fp_denorm_src 0
		.amdhsa_exception_fp_ieee_div_zero 0
		.amdhsa_exception_fp_ieee_overflow 0
		.amdhsa_exception_fp_ieee_underflow 0
		.amdhsa_exception_fp_ieee_inexact 0
		.amdhsa_exception_int_div_zero 0
	.end_amdhsa_kernel
	.section	.text._ZN5aiter19grouped_topk_kernelIN3c104HalfEDv4_fLi1ELb0ELb0ELb1EEEvPT_PKS4_PfPimiiiif,"axG",@progbits,_ZN5aiter19grouped_topk_kernelIN3c104HalfEDv4_fLi1ELb0ELb0ELb1EEEvPT_PKS4_PfPimiiiif,comdat
.Lfunc_end92:
	.size	_ZN5aiter19grouped_topk_kernelIN3c104HalfEDv4_fLi1ELb0ELb0ELb1EEEvPT_PKS4_PfPimiiiif, .Lfunc_end92-_ZN5aiter19grouped_topk_kernelIN3c104HalfEDv4_fLi1ELb0ELb0ELb1EEEvPT_PKS4_PfPimiiiif
                                        ; -- End function
	.section	.AMDGPU.csdata,"",@progbits
; Kernel info:
; codeLenInByte = 1736
; NumSgprs: 25
; NumVgprs: 18
; NumAgprs: 0
; TotalNumVgprs: 18
; ScratchSize: 0
; MemoryBound: 0
; FloatMode: 240
; IeeeMode: 1
; LDSByteSize: 0 bytes/workgroup (compile time only)
; SGPRBlocks: 3
; VGPRBlocks: 2
; NumSGPRsForWavesPerEU: 25
; NumVGPRsForWavesPerEU: 18
; AccumOffset: 20
; Occupancy: 8
; WaveLimiterHint : 0
; COMPUTE_PGM_RSRC2:SCRATCH_EN: 0
; COMPUTE_PGM_RSRC2:USER_SGPR: 6
; COMPUTE_PGM_RSRC2:TRAP_HANDLER: 0
; COMPUTE_PGM_RSRC2:TGID_X_EN: 1
; COMPUTE_PGM_RSRC2:TGID_Y_EN: 0
; COMPUTE_PGM_RSRC2:TGID_Z_EN: 0
; COMPUTE_PGM_RSRC2:TIDIG_COMP_CNT: 0
; COMPUTE_PGM_RSRC3_GFX90A:ACCUM_OFFSET: 4
; COMPUTE_PGM_RSRC3_GFX90A:TG_SPLIT: 0
	.section	.text._ZN5aiter19grouped_topk_kernelIN3c108BFloat16EDv4_fLi1ELb0ELb0ELb1EEEvPT_PKS4_PfPimiiiif,"axG",@progbits,_ZN5aiter19grouped_topk_kernelIN3c108BFloat16EDv4_fLi1ELb0ELb0ELb1EEEvPT_PKS4_PfPimiiiif,comdat
	.protected	_ZN5aiter19grouped_topk_kernelIN3c108BFloat16EDv4_fLi1ELb0ELb0ELb1EEEvPT_PKS4_PfPimiiiif ; -- Begin function _ZN5aiter19grouped_topk_kernelIN3c108BFloat16EDv4_fLi1ELb0ELb0ELb1EEEvPT_PKS4_PfPimiiiif
	.globl	_ZN5aiter19grouped_topk_kernelIN3c108BFloat16EDv4_fLi1ELb0ELb0ELb1EEEvPT_PKS4_PfPimiiiif
	.p2align	8
	.type	_ZN5aiter19grouped_topk_kernelIN3c108BFloat16EDv4_fLi1ELb0ELb0ELb1EEEvPT_PKS4_PfPimiiiif,@function
_ZN5aiter19grouped_topk_kernelIN3c108BFloat16EDv4_fLi1ELb0ELb0ELb1EEEvPT_PKS4_PfPimiiiif: ; @_ZN5aiter19grouped_topk_kernelIN3c108BFloat16EDv4_fLi1ELb0ELb0ELb1EEEvPT_PKS4_PfPimiiiif
; %bb.0:
	s_load_dwordx2 s[2:3], s[4:5], 0x28
	s_load_dwordx4 s[8:11], s[4:5], 0x10
	v_mov_b32_e32 v1, 0xff800000
	s_waitcnt lgkmcnt(0)
	v_cmp_gt_i32_e32 vcc, s2, v0
	s_and_saveexec_b64 s[12:13], vcc
	s_cbranch_execz .LBB93_4
; %bb.1:
	s_load_dword s0, s[4:5], 0x4c
	s_load_dwordx2 s[14:15], s[4:5], 0x0
	s_mul_i32 s7, s6, s2
	v_lshl_add_u32 v2, v0, 2, 0
	s_mov_b64 s[16:17], 0
	s_waitcnt lgkmcnt(0)
	s_and_b32 s18, s0, 0xffff
	s_lshl_b32 s19, s18, 2
	v_mov_b32_e32 v1, 0xff800000
	v_mov_b32_e32 v3, s15
	;; [unrolled: 1-line block ×3, first 2 shown]
.LBB93_2:                               ; =>This Inner Loop Header: Depth=1
	v_add_u32_e32 v6, s7, v4
	v_ashrrev_i32_e32 v7, 31, v6
	v_lshlrev_b64 v[6:7], 1, v[6:7]
	v_add_co_u32_e64 v6, s[0:1], s14, v6
	v_addc_co_u32_e64 v7, s[0:1], v3, v7, s[0:1]
	global_load_ushort v5, v[6:7], off
	v_add_u32_e32 v4, s18, v4
	v_cmp_le_i32_e64 s[0:1], s2, v4
	s_or_b64 s[16:17], s[0:1], s[16:17]
	s_waitcnt vmcnt(0)
	v_lshrrev_b16_e32 v6, 8, v5
	v_and_b32_e32 v5, 0xff, v5
	v_lshlrev_b32_e32 v5, 16, v5
	v_lshl_or_b32 v5, v6, 24, v5
	v_cmp_lt_f32_e64 s[0:1], v1, v5
	ds_write_b32 v2, v5
	v_cndmask_b32_e64 v1, v1, v5, s[0:1]
	v_add_u32_e32 v2, s19, v2
	s_andn2_b64 exec, exec, s[16:17]
	s_cbranch_execnz .LBB93_2
; %bb.3:
	s_or_b64 exec, exec, s[16:17]
.LBB93_4:
	s_or_b64 exec, exec, s[12:13]
	v_mov_b32_dpp v2, v1 quad_perm:[1,0,3,2] row_mask:0xf bank_mask:0xf
	v_cmp_lt_f32_e64 s[0:1], v1, v2
	v_cndmask_b32_e64 v1, v1, v2, s[0:1]
	v_bfrev_b32_e32 v3, 0.5
	s_waitcnt lgkmcnt(0)
	v_mov_b32_dpp v2, v1 quad_perm:[2,3,0,1] row_mask:0xf bank_mask:0xf
	v_cmp_lt_f32_e64 s[0:1], v1, v2
	v_cndmask_b32_e64 v1, v1, v2, s[0:1]
	s_barrier
	s_nop 0
	v_mov_b32_dpp v2, v1 row_half_mirror row_mask:0xf bank_mask:0xf
	v_cmp_lt_f32_e64 s[0:1], v1, v2
	v_cndmask_b32_e64 v1, v1, v2, s[0:1]
	s_nop 1
	v_mov_b32_dpp v2, v1 row_mirror row_mask:0xf bank_mask:0xf
	v_cmp_lt_f32_e64 s[0:1], v1, v2
	v_cndmask_b32_e64 v1, v1, v2, s[0:1]
	s_nop 1
	v_mov_b32_dpp v2, v1 row_bcast:15 row_mask:0xf bank_mask:0xf
	v_cmp_lt_f32_e64 s[0:1], v1, v2
	v_cndmask_b32_e64 v1, v1, v2, s[0:1]
	s_nop 1
	v_mov_b32_dpp v2, v1 row_bcast:31 row_mask:0xf bank_mask:0xf
	v_cmp_lt_f32_e64 s[0:1], v1, v2
	v_cndmask_b32_e64 v2, v1, v2, s[0:1]
	v_mbcnt_lo_u32_b32 v1, -1, 0
	v_mbcnt_hi_u32_b32 v1, -1, v1
	v_lshl_or_b32 v1, v1, 2, v3
	ds_bpermute_b32 v3, v1, v2
	v_mov_b32_e32 v2, 0
	s_and_saveexec_b64 s[12:13], vcc
	s_cbranch_execz .LBB93_8
; %bb.5:
	s_load_dword s0, s[4:5], 0x4c
	v_lshl_add_u32 v4, v0, 2, 0
	s_mov_b64 s[14:15], 0
	v_mov_b32_e32 v2, 0
	s_mov_b32 s7, 0x3fb8aa3b
	s_waitcnt lgkmcnt(0)
	s_and_b32 s16, s0, 0xffff
	s_lshl_b32 s17, s16, 2
	s_mov_b32 s18, 0xc2ce8ed0
	s_mov_b32 s19, 0x42b17218
	v_mov_b32_e32 v5, 0x7f800000
	v_mov_b32_e32 v6, v0
.LBB93_6:                               ; =>This Inner Loop Header: Depth=1
	ds_read_b32 v7, v4
	v_add_u32_e32 v6, s16, v6
	s_waitcnt lgkmcnt(0)
	v_sub_f32_e32 v7, v7, v3
	v_mul_f32_e32 v8, 0x3fb8aa3b, v7
	v_fma_f32 v9, v7, s7, -v8
	v_rndne_f32_e32 v10, v8
	v_fmac_f32_e32 v9, 0x32a5705f, v7
	v_sub_f32_e32 v8, v8, v10
	v_add_f32_e32 v8, v8, v9
	v_cvt_i32_f32_e32 v10, v10
	v_exp_f32_e32 v8, v8
	v_cmp_ngt_f32_e64 s[0:1], s18, v7
	v_ldexp_f32 v8, v8, v10
	v_cndmask_b32_e64 v8, 0, v8, s[0:1]
	v_cmp_nlt_f32_e64 s[0:1], s19, v7
	v_cndmask_b32_e64 v7, v5, v8, s[0:1]
	v_cmp_le_i32_e64 s[0:1], s2, v6
	ds_write_b32 v4, v7
	v_add_f32_e32 v2, v2, v7
	s_or_b64 s[14:15], s[0:1], s[14:15]
	v_add_u32_e32 v4, s17, v4
	s_andn2_b64 exec, exec, s[14:15]
	s_cbranch_execnz .LBB93_6
; %bb.7:
	s_or_b64 exec, exec, s[14:15]
.LBB93_8:
	s_or_b64 exec, exec, s[12:13]
	s_waitcnt lgkmcnt(0)
	v_mov_b32_dpp v3, v2 quad_perm:[1,0,3,2] row_mask:0xf bank_mask:0xf
	v_add_f32_e32 v2, v2, v3
	s_barrier
	s_nop 0
	v_mov_b32_dpp v3, v2 quad_perm:[2,3,0,1] row_mask:0xf bank_mask:0xf
	v_add_f32_e32 v2, v2, v3
	s_nop 1
	v_mov_b32_dpp v3, v2 row_half_mirror row_mask:0xf bank_mask:0xf
	v_add_f32_e32 v2, v2, v3
	s_nop 1
	v_mov_b32_dpp v3, v2 row_mirror row_mask:0xf bank_mask:0xf
	v_add_f32_e32 v2, v2, v3
	s_nop 1
	v_mov_b32_dpp v3, v2 row_bcast:15 row_mask:0xf bank_mask:0xf
	v_add_f32_e32 v2, v2, v3
	s_nop 1
	v_mov_b32_dpp v3, v2 row_bcast:31 row_mask:0xf bank_mask:0xf
	v_add_f32_e32 v2, v2, v3
	ds_bpermute_b32 v1, v1, v2
	s_and_saveexec_b64 s[0:1], vcc
	s_cbranch_execz .LBB93_11
; %bb.9:
	s_load_dword s7, s[4:5], 0x4c
	v_lshl_add_u32 v2, v0, 2, 0
	s_mov_b64 s[12:13], 0
	v_mov_b32_e32 v3, v0
	s_waitcnt lgkmcnt(0)
	s_and_b32 s7, s7, 0xffff
	s_lshl_b32 s14, s7, 2
.LBB93_10:                              ; =>This Inner Loop Header: Depth=1
	ds_read_b32 v4, v2
	v_add_u32_e32 v3, s7, v3
	v_cmp_le_i32_e32 vcc, s2, v3
	s_or_b64 s[12:13], vcc, s[12:13]
	s_waitcnt lgkmcnt(0)
	v_div_scale_f32 v5, s[16:17], v1, v1, v4
	v_rcp_f32_e32 v6, v5
	v_div_scale_f32 v7, vcc, v4, v1, v4
	v_fma_f32 v8, -v5, v6, 1.0
	v_fmac_f32_e32 v6, v8, v6
	v_mul_f32_e32 v8, v7, v6
	v_fma_f32 v9, -v5, v8, v7
	v_fmac_f32_e32 v8, v9, v6
	v_fma_f32 v5, -v5, v8, v7
	v_div_fmas_f32 v5, v5, v6, v8
	v_div_fixup_f32 v4, v5, v1, v4
	ds_write_b32 v2, v4
	v_add_u32_e32 v2, s14, v2
	s_andn2_b64 exec, exec, s[12:13]
	s_cbranch_execnz .LBB93_10
.LBB93_11:
	s_or_b64 exec, exec, s[0:1]
	s_cmp_lt_i32 s3, 1
	s_waitcnt lgkmcnt(0)
	s_barrier
	s_cbranch_scc1 .LBB93_18
; %bb.12:
	s_ashr_i32 s0, s2, 31
	s_lshr_b32 s0, s0, 30
	s_add_i32 s0, s2, s0
	s_ashr_i32 s2, s0, 2
	s_add_u32 s12, s4, 64
	v_cmp_gt_i32_e32 vcc, s2, v0
	s_addc_u32 s13, s5, 0
	v_lshlrev_b32_e32 v3, 2, v0
	s_mov_b32 s7, 0
	v_lshl_add_u32 v4, v0, 4, 0
	v_mov_b32_e32 v5, 0xff800000
                                        ; implicit-def: $vgpr2
                                        ; implicit-def: $vgpr1
	s_branch .LBB93_14
.LBB93_13:                              ;   in Loop: Header=BB93_14 Depth=1
	s_or_b64 exec, exec, s[14:15]
	v_mov_b32_dpp v9, v7 quad_perm:[1,0,3,2] row_mask:0xf bank_mask:0xf
	v_cmp_lt_f32_e64 s[0:1], v7, v9
	v_cndmask_b32_e64 v7, v7, v9, s[0:1]
	v_mov_b32_dpp v8, v6 quad_perm:[1,0,3,2] row_mask:0xf bank_mask:0xf
	v_cndmask_b32_e64 v6, v6, v8, s[0:1]
	v_mov_b32_dpp v9, v7 quad_perm:[2,3,0,1] row_mask:0xf bank_mask:0xf
	v_cmp_gt_f32_e64 s[0:1], v9, v7
	v_cndmask_b32_e64 v7, v7, v9, s[0:1]
	v_mov_b32_dpp v8, v6 quad_perm:[2,3,0,1] row_mask:0xf bank_mask:0xf
	v_cndmask_b32_e64 v6, v6, v8, s[0:1]
	v_mov_b32_dpp v9, v7 row_half_mirror row_mask:0xf bank_mask:0xf
	v_cmp_gt_f32_e64 s[0:1], v9, v7
	v_cndmask_b32_e64 v7, v7, v9, s[0:1]
	v_mov_b32_dpp v8, v6 row_half_mirror row_mask:0xf bank_mask:0xf
	v_cndmask_b32_e64 v6, v6, v8, s[0:1]
	v_mov_b32_dpp v9, v7 row_mirror row_mask:0xf bank_mask:0xf
	v_cmp_gt_f32_e64 s[0:1], v9, v7
	v_cndmask_b32_e64 v7, v7, v9, s[0:1]
	v_mov_b32_dpp v8, v6 row_mirror row_mask:0xf bank_mask:0xf
	v_cndmask_b32_e64 v6, v6, v8, s[0:1]
	v_mov_b32_dpp v9, v7 row_bcast:15 row_mask:0xf bank_mask:0xf
	v_cmp_gt_f32_e64 s[0:1], v9, v7
	v_mov_b32_dpp v8, v6 row_bcast:15 row_mask:0xf bank_mask:0xf
	v_cndmask_b32_e64 v7, v7, v9, s[0:1]
	v_cndmask_b32_e64 v6, v6, v8, s[0:1]
	s_nop 0
	v_mov_b32_dpp v9, v7 row_bcast:31 row_mask:0xf bank_mask:0xf
	v_mov_b32_dpp v8, v6 row_bcast:31 row_mask:0xf bank_mask:0xf
	v_cmp_gt_f32_e64 s[0:1], v9, v7
	v_cndmask_b32_e64 v6, v6, v8, s[0:1]
	v_cndmask_b32_e64 v7, v7, v9, s[0:1]
	v_readlane_b32 s0, v6, 63
	s_lshl_b32 s1, s0, 2
	s_add_i32 s1, s1, 0
	v_mov_b32_e32 v6, s1
	v_readlane_b32 s14, v7, 63
	ds_write_b32 v6, v5
	v_mov_b32_e32 v6, s0
	v_cmp_eq_u32_e64 s[0:1], s7, v0
	v_cndmask_b32_e64 v1, v1, v6, s[0:1]
	v_mov_b32_e32 v6, s14
	s_add_i32 s7, s7, 1
	s_cmp_eq_u32 s7, s3
	v_cndmask_b32_e64 v2, v2, v6, s[0:1]
	s_cbranch_scc1 .LBB93_19
.LBB93_14:                              ; =>This Loop Header: Depth=1
                                        ;     Child Loop BB93_16 Depth 2
	v_mov_b32_e32 v6, s7
	v_mov_b32_e32 v7, 0xff800000
	s_and_saveexec_b64 s[14:15], vcc
	s_cbranch_execz .LBB93_13
; %bb.15:                               ;   in Loop: Header=BB93_14 Depth=1
	s_load_dword s0, s[12:13], 0xc
	s_mov_b64 s[16:17], 0
	v_mov_b32_e32 v6, s7
	v_mov_b32_e32 v7, 0xff800000
	v_mov_b32_e32 v8, v4
	s_waitcnt lgkmcnt(0)
	s_and_b32 s18, s0, 0xffff
	s_lshl_b32 s19, s18, 2
	s_lshl_b32 s20, s18, 4
	v_mov_b32_e32 v9, v3
	v_mov_b32_e32 v10, v0
.LBB93_16:                              ;   Parent Loop BB93_14 Depth=1
                                        ; =>  This Inner Loop Header: Depth=2
	ds_read_b128 v[12:15], v8
	v_add_u32_e32 v10, s18, v10
	v_cmp_le_i32_e64 s[0:1], s2, v10
	s_or_b64 s[16:17], s[0:1], s[16:17]
	v_add_u32_e32 v11, 1, v9
	s_waitcnt lgkmcnt(0)
	v_cmp_gt_f32_e64 s[0:1], v12, v7
	v_cndmask_b32_e64 v7, v7, v12, s[0:1]
	v_cndmask_b32_e64 v6, v6, v9, s[0:1]
	v_cmp_gt_f32_e64 s[0:1], v13, v7
	v_cndmask_b32_e64 v7, v7, v13, s[0:1]
	v_cndmask_b32_e64 v6, v6, v11, s[0:1]
	v_cmp_gt_f32_e64 s[0:1], v14, v7
	v_add_u32_e32 v16, 2, v9
	v_cndmask_b32_e64 v7, v7, v14, s[0:1]
	v_add_u32_e32 v17, 3, v9
	v_cndmask_b32_e64 v6, v6, v16, s[0:1]
	v_cmp_gt_f32_e64 s[0:1], v15, v7
	v_add_u32_e32 v8, s20, v8
	v_add_u32_e32 v9, s19, v9
	v_cndmask_b32_e64 v7, v7, v15, s[0:1]
	v_cndmask_b32_e64 v6, v6, v17, s[0:1]
	s_andn2_b64 exec, exec, s[16:17]
	s_cbranch_execnz .LBB93_16
; %bb.17:                               ;   in Loop: Header=BB93_14 Depth=1
	s_or_b64 exec, exec, s[16:17]
	s_branch .LBB93_13
.LBB93_18:
                                        ; implicit-def: $vgpr2
                                        ; implicit-def: $vgpr1
.LBB93_19:
	v_cmp_gt_i32_e32 vcc, s3, v0
	s_and_saveexec_b64 s[0:1], vcc
	s_cbranch_execz .LBB93_22
; %bb.20:
	s_load_dword s2, s[4:5], 0x38
	s_load_dwordx2 s[0:1], s[4:5], 0x20
	s_ashr_i32 s7, s6, 31
	s_load_dword s4, s[4:5], 0x4c
	v_mov_b32_e32 v4, s9
	s_waitcnt lgkmcnt(0)
	v_mul_f32_e32 v2, s2, v2
	s_mul_i32 s1, s6, s1
	s_mul_hi_u32 s2, s6, s0
	s_add_i32 s1, s2, s1
	s_mul_i32 s7, s7, s0
	s_add_i32 s5, s1, s7
	s_mul_i32 s2, s6, s0
	s_and_b32 s4, s4, 0xffff
	s_mov_b64 s[0:1], 0
	v_mov_b32_e32 v3, s5
	v_mov_b32_e32 v5, s11
.LBB93_21:                              ; =>This Inner Loop Header: Depth=1
	v_ashrrev_i32_e32 v7, 31, v0
	v_add_co_u32_e32 v6, vcc, s2, v0
	v_addc_co_u32_e32 v7, vcc, v3, v7, vcc
	v_add_u32_e32 v0, s4, v0
	v_cmp_le_i32_e32 vcc, s3, v0
	v_lshlrev_b64 v[6:7], 2, v[6:7]
	s_or_b64 s[0:1], vcc, s[0:1]
	v_add_co_u32_e32 v8, vcc, s8, v6
	v_addc_co_u32_e32 v9, vcc, v4, v7, vcc
	v_add_co_u32_e32 v6, vcc, s10, v6
	v_addc_co_u32_e32 v7, vcc, v5, v7, vcc
	global_store_dword v[8:9], v2, off
	global_store_dword v[6:7], v1, off
	s_andn2_b64 exec, exec, s[0:1]
	s_cbranch_execnz .LBB93_21
.LBB93_22:
	s_endpgm
	.section	.rodata,"a",@progbits
	.p2align	6, 0x0
	.amdhsa_kernel _ZN5aiter19grouped_topk_kernelIN3c108BFloat16EDv4_fLi1ELb0ELb0ELb1EEEvPT_PKS4_PfPimiiiif
		.amdhsa_group_segment_fixed_size 0
		.amdhsa_private_segment_fixed_size 0
		.amdhsa_kernarg_size 320
		.amdhsa_user_sgpr_count 6
		.amdhsa_user_sgpr_private_segment_buffer 1
		.amdhsa_user_sgpr_dispatch_ptr 0
		.amdhsa_user_sgpr_queue_ptr 0
		.amdhsa_user_sgpr_kernarg_segment_ptr 1
		.amdhsa_user_sgpr_dispatch_id 0
		.amdhsa_user_sgpr_flat_scratch_init 0
		.amdhsa_user_sgpr_kernarg_preload_length 0
		.amdhsa_user_sgpr_kernarg_preload_offset 0
		.amdhsa_user_sgpr_private_segment_size 0
		.amdhsa_uses_dynamic_stack 0
		.amdhsa_system_sgpr_private_segment_wavefront_offset 0
		.amdhsa_system_sgpr_workgroup_id_x 1
		.amdhsa_system_sgpr_workgroup_id_y 0
		.amdhsa_system_sgpr_workgroup_id_z 0
		.amdhsa_system_sgpr_workgroup_info 0
		.amdhsa_system_vgpr_workitem_id 0
		.amdhsa_next_free_vgpr 18
		.amdhsa_next_free_sgpr 21
		.amdhsa_accum_offset 20
		.amdhsa_reserve_vcc 1
		.amdhsa_reserve_flat_scratch 0
		.amdhsa_float_round_mode_32 0
		.amdhsa_float_round_mode_16_64 0
		.amdhsa_float_denorm_mode_32 3
		.amdhsa_float_denorm_mode_16_64 3
		.amdhsa_dx10_clamp 1
		.amdhsa_ieee_mode 1
		.amdhsa_fp16_overflow 0
		.amdhsa_tg_split 0
		.amdhsa_exception_fp_ieee_invalid_op 0
		.amdhsa_exception_fp_denorm_src 0
		.amdhsa_exception_fp_ieee_div_zero 0
		.amdhsa_exception_fp_ieee_overflow 0
		.amdhsa_exception_fp_ieee_underflow 0
		.amdhsa_exception_fp_ieee_inexact 0
		.amdhsa_exception_int_div_zero 0
	.end_amdhsa_kernel
	.section	.text._ZN5aiter19grouped_topk_kernelIN3c108BFloat16EDv4_fLi1ELb0ELb0ELb1EEEvPT_PKS4_PfPimiiiif,"axG",@progbits,_ZN5aiter19grouped_topk_kernelIN3c108BFloat16EDv4_fLi1ELb0ELb0ELb1EEEvPT_PKS4_PfPimiiiif,comdat
.Lfunc_end93:
	.size	_ZN5aiter19grouped_topk_kernelIN3c108BFloat16EDv4_fLi1ELb0ELb0ELb1EEEvPT_PKS4_PfPimiiiif, .Lfunc_end93-_ZN5aiter19grouped_topk_kernelIN3c108BFloat16EDv4_fLi1ELb0ELb0ELb1EEEvPT_PKS4_PfPimiiiif
                                        ; -- End function
	.section	.AMDGPU.csdata,"",@progbits
; Kernel info:
; codeLenInByte = 1756
; NumSgprs: 25
; NumVgprs: 18
; NumAgprs: 0
; TotalNumVgprs: 18
; ScratchSize: 0
; MemoryBound: 0
; FloatMode: 240
; IeeeMode: 1
; LDSByteSize: 0 bytes/workgroup (compile time only)
; SGPRBlocks: 3
; VGPRBlocks: 2
; NumSGPRsForWavesPerEU: 25
; NumVGPRsForWavesPerEU: 18
; AccumOffset: 20
; Occupancy: 8
; WaveLimiterHint : 0
; COMPUTE_PGM_RSRC2:SCRATCH_EN: 0
; COMPUTE_PGM_RSRC2:USER_SGPR: 6
; COMPUTE_PGM_RSRC2:TRAP_HANDLER: 0
; COMPUTE_PGM_RSRC2:TGID_X_EN: 1
; COMPUTE_PGM_RSRC2:TGID_Y_EN: 0
; COMPUTE_PGM_RSRC2:TGID_Z_EN: 0
; COMPUTE_PGM_RSRC2:TIDIG_COMP_CNT: 0
; COMPUTE_PGM_RSRC3_GFX90A:ACCUM_OFFSET: 4
; COMPUTE_PGM_RSRC3_GFX90A:TG_SPLIT: 0
	.section	.text._ZN5aiter19grouped_topk_kernelIfDv4_fLi1ELb0ELb0ELb0EEEvPT_PKS2_PfPimiiiif,"axG",@progbits,_ZN5aiter19grouped_topk_kernelIfDv4_fLi1ELb0ELb0ELb0EEEvPT_PKS2_PfPimiiiif,comdat
	.protected	_ZN5aiter19grouped_topk_kernelIfDv4_fLi1ELb0ELb0ELb0EEEvPT_PKS2_PfPimiiiif ; -- Begin function _ZN5aiter19grouped_topk_kernelIfDv4_fLi1ELb0ELb0ELb0EEEvPT_PKS2_PfPimiiiif
	.globl	_ZN5aiter19grouped_topk_kernelIfDv4_fLi1ELb0ELb0ELb0EEEvPT_PKS2_PfPimiiiif
	.p2align	8
	.type	_ZN5aiter19grouped_topk_kernelIfDv4_fLi1ELb0ELb0ELb0EEEvPT_PKS2_PfPimiiiif,@function
_ZN5aiter19grouped_topk_kernelIfDv4_fLi1ELb0ELb0ELb0EEEvPT_PKS2_PfPimiiiif: ; @_ZN5aiter19grouped_topk_kernelIfDv4_fLi1ELb0ELb0ELb0EEEvPT_PKS2_PfPimiiiif
; %bb.0:
	s_load_dwordx2 s[16:17], s[4:5], 0x28
	s_load_dwordx4 s[12:15], s[4:5], 0x10
	s_waitcnt lgkmcnt(0)
	s_ashr_i32 s0, s16, 31
	s_lshr_b32 s0, s0, 30
	s_add_i32 s0, s16, s0
	s_ashr_i32 s7, s0, 2
	v_cmp_gt_i32_e64 s[0:1], s7, v0
	s_and_saveexec_b64 s[18:19], s[0:1]
	s_cbranch_execz .LBB94_3
; %bb.1:
	s_load_dword s10, s[4:5], 0x4c
	s_load_dwordx2 s[2:3], s[4:5], 0x0
	s_mul_i32 s8, s6, s16
	s_ashr_i32 s9, s8, 31
	s_lshl_b64 s[8:9], s[8:9], 2
	s_waitcnt lgkmcnt(0)
	s_and_b32 s16, s10, 0xffff
	s_add_u32 s2, s2, s8
	v_lshlrev_b32_e32 v1, 4, v0
	s_addc_u32 s3, s3, s9
	s_mov_b32 s11, 0
	v_mov_b32_e32 v2, s3
	v_add_co_u32_e32 v6, vcc, s2, v1
	v_addc_co_u32_e32 v7, vcc, 0, v2, vcc
	s_lshl_b32 s22, s16, 4
	v_add_u32_e32 v1, 0, v1
	s_mov_b64 s[20:21], 0
	s_mov_b32 s23, 0xbfb8aa3b
	s_mov_b32 s24, 0x42ce8ed0
	s_mov_b32 s25, 0xc2b17218
	v_mov_b32_e32 v8, 0x7f800000
	v_mov_b32_e32 v9, s11
	;; [unrolled: 1-line block ×3, first 2 shown]
.LBB94_2:                               ; =>This Inner Loop Header: Depth=1
	global_load_dwordx4 v[2:5], v[6:7], off
	v_add_co_u32_e32 v6, vcc, s22, v6
	v_add_u32_e32 v10, s16, v10
	v_addc_co_u32_e32 v7, vcc, v7, v9, vcc
	v_cmp_le_i32_e32 vcc, s7, v10
	s_or_b64 s[20:21], vcc, s[20:21]
	s_waitcnt vmcnt(0)
	v_mul_f32_e32 v11, 0xbfb8aa3b, v3
	v_mul_f32_e32 v12, 0xbfb8aa3b, v2
	v_rndne_f32_e32 v15, v11
	v_fma_f32 v16, v3, s23, -v11
	v_rndne_f32_e32 v17, v12
	v_fma_f32 v18, v2, s23, -v12
	v_mul_f32_e32 v13, 0xbfb8aa3b, v5
	v_mul_f32_e32 v14, 0xbfb8aa3b, v4
	v_sub_f32_e32 v11, v11, v15
	v_fmac_f32_e32 v16, 0xb2a5705f, v3
	v_sub_f32_e32 v12, v12, v17
	v_fmac_f32_e32 v18, 0xb2a5705f, v2
	v_rndne_f32_e32 v19, v13
	v_fma_f32 v20, v5, s23, -v13
	v_rndne_f32_e32 v21, v14
	v_fma_f32 v22, v4, s23, -v14
	v_add_f32_e32 v11, v11, v16
	v_add_f32_e32 v12, v12, v18
	v_cvt_i32_f32_e32 v15, v15
	v_cvt_i32_f32_e32 v17, v17
	v_sub_f32_e32 v13, v13, v19
	v_fmac_f32_e32 v20, 0xb2a5705f, v5
	v_sub_f32_e32 v14, v14, v21
	v_fmac_f32_e32 v22, 0xb2a5705f, v4
	v_exp_f32_e32 v11, v11
	v_exp_f32_e32 v12, v12
	v_add_f32_e32 v13, v13, v20
	v_add_f32_e32 v14, v14, v22
	v_cvt_i32_f32_e32 v19, v19
	v_cvt_i32_f32_e32 v21, v21
	v_exp_f32_e32 v13, v13
	v_exp_f32_e32 v14, v14
	v_ldexp_f32 v11, v11, v15
	v_ldexp_f32 v12, v12, v17
	v_cmp_nlt_f32_e32 vcc, s24, v2
	v_cmp_nlt_f32_e64 s[10:11], s24, v3
	v_cndmask_b32_e64 v11, 0, v11, s[10:11]
	v_cndmask_b32_e32 v12, 0, v12, vcc
	v_cmp_ngt_f32_e32 vcc, s25, v2
	v_cmp_ngt_f32_e64 s[10:11], s25, v3
	v_ldexp_f32 v13, v13, v19
	v_cmp_nlt_f32_e64 s[2:3], s24, v5
	v_ldexp_f32 v14, v14, v21
	v_cmp_nlt_f32_e64 s[8:9], s24, v4
	v_cndmask_b32_e64 v3, v8, v11, s[10:11]
	v_cndmask_b32_e32 v2, v8, v12, vcc
	v_cndmask_b32_e64 v13, 0, v13, s[2:3]
	v_cmp_ngt_f32_e64 s[2:3], s25, v5
	v_cndmask_b32_e64 v14, 0, v14, s[8:9]
	v_cmp_ngt_f32_e64 s[8:9], s25, v4
	v_pk_add_f32 v[2:3], v[2:3], 1.0 op_sel_hi:[1,0]
	v_cndmask_b32_e64 v5, v8, v13, s[2:3]
	v_cndmask_b32_e64 v4, v8, v14, s[8:9]
	v_div_scale_f32 v11, s[2:3], v3, v3, 1.0
	v_pk_add_f32 v[4:5], v[4:5], 1.0 op_sel_hi:[1,0]
	v_div_scale_f32 v13, s[2:3], v2, v2, 1.0
	v_rcp_f32_e32 v19, v11
	v_div_scale_f32 v15, s[8:9], v5, v5, 1.0
	v_rcp_f32_e32 v20, v13
	;; [unrolled: 2-line block ×3, first 2 shown]
	v_rcp_f32_e32 v22, v17
	v_fma_f32 v23, -v11, v19, 1.0
	v_div_scale_f32 v12, vcc, 1.0, v3, 1.0
	v_fma_f32 v24, -v13, v20, 1.0
	v_fmac_f32_e32 v19, v23, v19
	v_div_scale_f32 v14, s[2:3], 1.0, v2, 1.0
	v_fma_f32 v25, -v15, v21, 1.0
	v_fmac_f32_e32 v20, v24, v20
	v_mul_f32_e32 v23, v12, v19
	v_div_scale_f32 v16, s[8:9], 1.0, v5, 1.0
	v_fma_f32 v26, -v17, v22, 1.0
	v_fmac_f32_e32 v21, v25, v21
	v_mul_f32_e32 v24, v14, v20
	v_fma_f32 v27, -v11, v23, v12
	v_div_scale_f32 v18, s[10:11], 1.0, v4, 1.0
	v_fmac_f32_e32 v22, v26, v22
	v_mul_f32_e32 v25, v16, v21
	v_fma_f32 v28, -v13, v24, v14
	v_fmac_f32_e32 v23, v27, v19
	v_mul_f32_e32 v26, v18, v22
	v_fma_f32 v29, -v15, v25, v16
	v_fmac_f32_e32 v24, v28, v20
	v_fma_f32 v11, -v11, v23, v12
	v_fma_f32 v30, -v17, v26, v18
	v_fmac_f32_e32 v25, v29, v21
	v_fma_f32 v12, -v13, v24, v14
	v_div_fmas_f32 v11, v11, v19, v23
	s_mov_b64 vcc, s[2:3]
	v_fmac_f32_e32 v26, v30, v22
	v_fma_f32 v13, -v15, v25, v16
	v_div_fixup_f32 v3, v11, v3, 1.0
	v_div_fmas_f32 v11, v12, v20, v24
	s_mov_b64 vcc, s[8:9]
	v_fma_f32 v14, -v17, v26, v18
	v_div_fixup_f32 v2, v11, v2, 1.0
	v_div_fmas_f32 v11, v13, v21, v25
	s_mov_b64 vcc, s[10:11]
	v_div_fixup_f32 v5, v11, v5, 1.0
	v_div_fmas_f32 v11, v14, v22, v26
	v_div_fixup_f32 v4, v11, v4, 1.0
	ds_write_b128 v1, v[2:5]
	v_add_u32_e32 v1, s22, v1
	s_andn2_b64 exec, exec, s[20:21]
	s_cbranch_execnz .LBB94_2
.LBB94_3:
	s_or_b64 exec, exec, s[18:19]
	s_cmp_lt_i32 s17, 1
	s_waitcnt lgkmcnt(0)
	s_barrier
	s_cbranch_scc1 .LBB94_10
; %bb.4:
	s_add_u32 s2, s4, 64
	s_addc_u32 s3, s5, 0
	v_lshlrev_b32_e32 v3, 2, v0
	s_mov_b32 s16, 0
	v_lshl_add_u32 v4, v0, 4, 0
	v_mov_b32_e32 v5, 0xff800000
                                        ; implicit-def: $vgpr2
                                        ; implicit-def: $vgpr1
	s_branch .LBB94_6
.LBB94_5:                               ;   in Loop: Header=BB94_6 Depth=1
	s_or_b64 exec, exec, s[8:9]
	v_mov_b32_dpp v9, v7 quad_perm:[1,0,3,2] row_mask:0xf bank_mask:0xf
	v_cmp_lt_f32_e32 vcc, v7, v9
	v_cndmask_b32_e32 v7, v7, v9, vcc
	v_mov_b32_dpp v8, v6 quad_perm:[1,0,3,2] row_mask:0xf bank_mask:0xf
	v_cndmask_b32_e32 v6, v6, v8, vcc
	v_mov_b32_dpp v9, v7 quad_perm:[2,3,0,1] row_mask:0xf bank_mask:0xf
	v_cmp_gt_f32_e32 vcc, v9, v7
	v_cndmask_b32_e32 v7, v7, v9, vcc
	v_mov_b32_dpp v8, v6 quad_perm:[2,3,0,1] row_mask:0xf bank_mask:0xf
	v_cndmask_b32_e32 v6, v6, v8, vcc
	v_mov_b32_dpp v9, v7 row_half_mirror row_mask:0xf bank_mask:0xf
	v_cmp_gt_f32_e32 vcc, v9, v7
	v_cndmask_b32_e32 v7, v7, v9, vcc
	v_mov_b32_dpp v8, v6 row_half_mirror row_mask:0xf bank_mask:0xf
	v_cndmask_b32_e32 v6, v6, v8, vcc
	v_mov_b32_dpp v9, v7 row_mirror row_mask:0xf bank_mask:0xf
	v_cmp_gt_f32_e32 vcc, v9, v7
	v_cndmask_b32_e32 v7, v7, v9, vcc
	v_mov_b32_dpp v8, v6 row_mirror row_mask:0xf bank_mask:0xf
	v_cndmask_b32_e32 v6, v6, v8, vcc
	v_mov_b32_dpp v9, v7 row_bcast:15 row_mask:0xf bank_mask:0xf
	v_cmp_gt_f32_e32 vcc, v9, v7
	v_mov_b32_dpp v8, v6 row_bcast:15 row_mask:0xf bank_mask:0xf
	v_cndmask_b32_e32 v7, v7, v9, vcc
	v_cndmask_b32_e32 v6, v6, v8, vcc
	s_nop 0
	v_mov_b32_dpp v9, v7 row_bcast:31 row_mask:0xf bank_mask:0xf
	v_mov_b32_dpp v8, v6 row_bcast:31 row_mask:0xf bank_mask:0xf
	v_cmp_gt_f32_e32 vcc, v9, v7
	v_cndmask_b32_e32 v6, v6, v8, vcc
	v_readlane_b32 s9, v6, 63
	s_lshl_b32 s10, s9, 2
	s_add_i32 s10, s10, 0
	v_cndmask_b32_e32 v7, v7, v9, vcc
	v_mov_b32_e32 v6, s10
	v_readlane_b32 s8, v7, 63
	ds_write_b32 v6, v5
	v_mov_b32_e32 v6, s9
	v_cmp_eq_u32_e32 vcc, s16, v0
	v_cndmask_b32_e32 v1, v1, v6, vcc
	v_mov_b32_e32 v6, s8
	s_add_i32 s16, s16, 1
	s_cmp_eq_u32 s16, s17
	v_cndmask_b32_e32 v2, v2, v6, vcc
	s_cbranch_scc1 .LBB94_11
.LBB94_6:                               ; =>This Loop Header: Depth=1
                                        ;     Child Loop BB94_8 Depth 2
	v_mov_b32_e32 v6, s16
	v_mov_b32_e32 v7, 0xff800000
	s_and_saveexec_b64 s[8:9], s[0:1]
	s_cbranch_execz .LBB94_5
; %bb.7:                                ;   in Loop: Header=BB94_6 Depth=1
	s_load_dword s18, s[2:3], 0xc
	s_mov_b64 s[10:11], 0
	v_mov_b32_e32 v6, s16
	v_mov_b32_e32 v7, 0xff800000
	;; [unrolled: 1-line block ×3, first 2 shown]
	s_waitcnt lgkmcnt(0)
	s_and_b32 s18, s18, 0xffff
	s_lshl_b32 s19, s18, 2
	s_lshl_b32 s20, s18, 4
	v_mov_b32_e32 v9, v3
	v_mov_b32_e32 v10, v0
.LBB94_8:                               ;   Parent Loop BB94_6 Depth=1
                                        ; =>  This Inner Loop Header: Depth=2
	ds_read_b128 v[12:15], v8
	v_add_u32_e32 v10, s18, v10
	v_cmp_le_i32_e32 vcc, s7, v10
	s_or_b64 s[10:11], vcc, s[10:11]
	v_add_u32_e32 v11, 1, v9
	s_waitcnt lgkmcnt(0)
	v_cmp_gt_f32_e32 vcc, v12, v7
	v_cndmask_b32_e32 v7, v7, v12, vcc
	v_cndmask_b32_e32 v6, v6, v9, vcc
	v_cmp_gt_f32_e32 vcc, v13, v7
	v_cndmask_b32_e32 v7, v7, v13, vcc
	v_cndmask_b32_e32 v6, v6, v11, vcc
	v_cmp_gt_f32_e32 vcc, v14, v7
	v_add_u32_e32 v16, 2, v9
	v_cndmask_b32_e32 v7, v7, v14, vcc
	v_add_u32_e32 v17, 3, v9
	v_cndmask_b32_e32 v6, v6, v16, vcc
	v_cmp_gt_f32_e32 vcc, v15, v7
	v_add_u32_e32 v8, s20, v8
	v_add_u32_e32 v9, s19, v9
	v_cndmask_b32_e32 v7, v7, v15, vcc
	v_cndmask_b32_e32 v6, v6, v17, vcc
	s_andn2_b64 exec, exec, s[10:11]
	s_cbranch_execnz .LBB94_8
; %bb.9:                                ;   in Loop: Header=BB94_6 Depth=1
	s_or_b64 exec, exec, s[10:11]
	s_branch .LBB94_5
.LBB94_10:
                                        ; implicit-def: $vgpr2
                                        ; implicit-def: $vgpr1
.LBB94_11:
	v_cmp_gt_i32_e32 vcc, s17, v0
	s_and_saveexec_b64 s[0:1], vcc
	s_cbranch_execz .LBB94_14
; %bb.12:
	s_load_dword s2, s[4:5], 0x38
	s_load_dwordx2 s[0:1], s[4:5], 0x20
	s_ashr_i32 s3, s6, 31
	s_load_dword s4, s[4:5], 0x4c
	v_mov_b32_e32 v4, s13
	s_waitcnt lgkmcnt(0)
	v_mul_f32_e32 v2, s2, v2
	s_mul_i32 s1, s6, s1
	s_mul_hi_u32 s2, s6, s0
	s_add_i32 s1, s2, s1
	s_mul_i32 s3, s3, s0
	s_add_i32 s5, s1, s3
	s_mul_i32 s2, s6, s0
	s_and_b32 s3, s4, 0xffff
	s_mov_b64 s[0:1], 0
	v_mov_b32_e32 v3, s5
	v_mov_b32_e32 v5, s15
.LBB94_13:                              ; =>This Inner Loop Header: Depth=1
	v_ashrrev_i32_e32 v7, 31, v0
	v_add_co_u32_e32 v6, vcc, s2, v0
	v_addc_co_u32_e32 v7, vcc, v3, v7, vcc
	v_add_u32_e32 v0, s3, v0
	v_cmp_le_i32_e32 vcc, s17, v0
	v_lshlrev_b64 v[6:7], 2, v[6:7]
	s_or_b64 s[0:1], vcc, s[0:1]
	v_add_co_u32_e32 v8, vcc, s12, v6
	v_addc_co_u32_e32 v9, vcc, v4, v7, vcc
	v_add_co_u32_e32 v6, vcc, s14, v6
	v_addc_co_u32_e32 v7, vcc, v5, v7, vcc
	global_store_dword v[8:9], v2, off
	global_store_dword v[6:7], v1, off
	s_andn2_b64 exec, exec, s[0:1]
	s_cbranch_execnz .LBB94_13
.LBB94_14:
	s_endpgm
	.section	.rodata,"a",@progbits
	.p2align	6, 0x0
	.amdhsa_kernel _ZN5aiter19grouped_topk_kernelIfDv4_fLi1ELb0ELb0ELb0EEEvPT_PKS2_PfPimiiiif
		.amdhsa_group_segment_fixed_size 0
		.amdhsa_private_segment_fixed_size 0
		.amdhsa_kernarg_size 320
		.amdhsa_user_sgpr_count 6
		.amdhsa_user_sgpr_private_segment_buffer 1
		.amdhsa_user_sgpr_dispatch_ptr 0
		.amdhsa_user_sgpr_queue_ptr 0
		.amdhsa_user_sgpr_kernarg_segment_ptr 1
		.amdhsa_user_sgpr_dispatch_id 0
		.amdhsa_user_sgpr_flat_scratch_init 0
		.amdhsa_user_sgpr_kernarg_preload_length 0
		.amdhsa_user_sgpr_kernarg_preload_offset 0
		.amdhsa_user_sgpr_private_segment_size 0
		.amdhsa_uses_dynamic_stack 0
		.amdhsa_system_sgpr_private_segment_wavefront_offset 0
		.amdhsa_system_sgpr_workgroup_id_x 1
		.amdhsa_system_sgpr_workgroup_id_y 0
		.amdhsa_system_sgpr_workgroup_id_z 0
		.amdhsa_system_sgpr_workgroup_info 0
		.amdhsa_system_vgpr_workitem_id 0
		.amdhsa_next_free_vgpr 31
		.amdhsa_next_free_sgpr 26
		.amdhsa_accum_offset 32
		.amdhsa_reserve_vcc 1
		.amdhsa_reserve_flat_scratch 0
		.amdhsa_float_round_mode_32 0
		.amdhsa_float_round_mode_16_64 0
		.amdhsa_float_denorm_mode_32 3
		.amdhsa_float_denorm_mode_16_64 3
		.amdhsa_dx10_clamp 1
		.amdhsa_ieee_mode 1
		.amdhsa_fp16_overflow 0
		.amdhsa_tg_split 0
		.amdhsa_exception_fp_ieee_invalid_op 0
		.amdhsa_exception_fp_denorm_src 0
		.amdhsa_exception_fp_ieee_div_zero 0
		.amdhsa_exception_fp_ieee_overflow 0
		.amdhsa_exception_fp_ieee_underflow 0
		.amdhsa_exception_fp_ieee_inexact 0
		.amdhsa_exception_int_div_zero 0
	.end_amdhsa_kernel
	.section	.text._ZN5aiter19grouped_topk_kernelIfDv4_fLi1ELb0ELb0ELb0EEEvPT_PKS2_PfPimiiiif,"axG",@progbits,_ZN5aiter19grouped_topk_kernelIfDv4_fLi1ELb0ELb0ELb0EEEvPT_PKS2_PfPimiiiif,comdat
.Lfunc_end94:
	.size	_ZN5aiter19grouped_topk_kernelIfDv4_fLi1ELb0ELb0ELb0EEEvPT_PKS2_PfPimiiiif, .Lfunc_end94-_ZN5aiter19grouped_topk_kernelIfDv4_fLi1ELb0ELb0ELb0EEEvPT_PKS2_PfPimiiiif
                                        ; -- End function
	.section	.AMDGPU.csdata,"",@progbits
; Kernel info:
; codeLenInByte = 1516
; NumSgprs: 30
; NumVgprs: 31
; NumAgprs: 0
; TotalNumVgprs: 31
; ScratchSize: 0
; MemoryBound: 0
; FloatMode: 240
; IeeeMode: 1
; LDSByteSize: 0 bytes/workgroup (compile time only)
; SGPRBlocks: 3
; VGPRBlocks: 3
; NumSGPRsForWavesPerEU: 30
; NumVGPRsForWavesPerEU: 31
; AccumOffset: 32
; Occupancy: 8
; WaveLimiterHint : 0
; COMPUTE_PGM_RSRC2:SCRATCH_EN: 0
; COMPUTE_PGM_RSRC2:USER_SGPR: 6
; COMPUTE_PGM_RSRC2:TRAP_HANDLER: 0
; COMPUTE_PGM_RSRC2:TGID_X_EN: 1
; COMPUTE_PGM_RSRC2:TGID_Y_EN: 0
; COMPUTE_PGM_RSRC2:TGID_Z_EN: 0
; COMPUTE_PGM_RSRC2:TIDIG_COMP_CNT: 0
; COMPUTE_PGM_RSRC3_GFX90A:ACCUM_OFFSET: 7
; COMPUTE_PGM_RSRC3_GFX90A:TG_SPLIT: 0
	.section	.text._ZN5aiter19grouped_topk_kernelIN3c104HalfEDv4_fLi1ELb0ELb0ELb0EEEvPT_PKS4_PfPimiiiif,"axG",@progbits,_ZN5aiter19grouped_topk_kernelIN3c104HalfEDv4_fLi1ELb0ELb0ELb0EEEvPT_PKS4_PfPimiiiif,comdat
	.protected	_ZN5aiter19grouped_topk_kernelIN3c104HalfEDv4_fLi1ELb0ELb0ELb0EEEvPT_PKS4_PfPimiiiif ; -- Begin function _ZN5aiter19grouped_topk_kernelIN3c104HalfEDv4_fLi1ELb0ELb0ELb0EEEvPT_PKS4_PfPimiiiif
	.globl	_ZN5aiter19grouped_topk_kernelIN3c104HalfEDv4_fLi1ELb0ELb0ELb0EEEvPT_PKS4_PfPimiiiif
	.p2align	8
	.type	_ZN5aiter19grouped_topk_kernelIN3c104HalfEDv4_fLi1ELb0ELb0ELb0EEEvPT_PKS4_PfPimiiiif,@function
_ZN5aiter19grouped_topk_kernelIN3c104HalfEDv4_fLi1ELb0ELb0ELb0EEEvPT_PKS4_PfPimiiiif: ; @_ZN5aiter19grouped_topk_kernelIN3c104HalfEDv4_fLi1ELb0ELb0ELb0EEEvPT_PKS4_PfPimiiiif
; %bb.0:
	s_load_dwordx2 s[16:17], s[4:5], 0x28
	s_load_dwordx4 s[12:15], s[4:5], 0x10
	v_lshl_add_u32 v1, v0, 4, 0
	s_waitcnt lgkmcnt(0)
	s_ashr_i32 s0, s16, 31
	s_lshr_b32 s0, s0, 30
	s_add_i32 s0, s16, s0
	s_ashr_i32 s7, s0, 2
	v_cmp_gt_i32_e64 s[0:1], s7, v0
	s_and_saveexec_b64 s[18:19], s[0:1]
	s_cbranch_execz .LBB95_3
; %bb.1:
	s_load_dword s10, s[4:5], 0x4c
	s_load_dwordx2 s[2:3], s[4:5], 0x0
	s_mul_i32 s8, s6, s16
	s_ashr_i32 s9, s8, 31
	s_lshl_b64 s[8:9], s[8:9], 1
	s_waitcnt lgkmcnt(0)
	s_and_b32 s16, s10, 0xffff
	s_add_u32 s2, s2, s8
	v_lshlrev_b32_e32 v2, 3, v0
	s_addc_u32 s3, s3, s9
	s_mov_b32 s10, 0
	v_mov_b32_e32 v3, s3
	v_add_co_u32_e32 v2, vcc, s2, v2
	v_addc_co_u32_e32 v3, vcc, 0, v3, vcc
	s_lshl_b32 s22, s16, 3
	v_lshl_add_u32 v6, v0, 4, 0
	s_lshl_b32 s23, s16, 4
	s_mov_b64 s[20:21], 0
	s_mov_b32 s24, 0x3fb8aa3b
	s_mov_b32 s25, 0x32a5705f
	;; [unrolled: 1-line block ×4, first 2 shown]
	v_mov_b32_e32 v7, 0x7f800000
	v_mov_b32_e32 v8, s10
	v_mov_b32_e32 v9, v0
.LBB95_2:                               ; =>This Inner Loop Header: Depth=1
	global_load_dwordx2 v[4:5], v[2:3], off
	v_add_co_u32_e32 v2, vcc, s22, v2
	v_add_u32_e32 v9, s16, v9
	v_addc_co_u32_e32 v3, vcc, v3, v8, vcc
	v_cmp_le_i32_e32 vcc, s7, v9
	s_or_b64 s[20:21], vcc, s[20:21]
	s_waitcnt vmcnt(0)
	v_cvt_f32_f16_e64 v10, -v5
	v_cvt_f32_f16_sdwa v11, -v5 dst_sel:DWORD dst_unused:UNUSED_PAD src0_sel:WORD_1
	v_cvt_f32_f16_e64 v12, -v4
	v_cvt_f32_f16_sdwa v13, -v4 dst_sel:DWORD dst_unused:UNUSED_PAD src0_sel:WORD_1
	v_mul_f32_e32 v14, 0x3fb8aa3b, v10
	v_mul_f32_e32 v15, 0x3fb8aa3b, v11
	;; [unrolled: 1-line block ×4, first 2 shown]
	v_rndne_f32_e32 v18, v14
	v_fma_mix_f32 v19, -v5, s24, -v14 op_sel_hi:[1,0,0]
	v_rndne_f32_e32 v20, v15
	v_fma_mix_f32 v21, -v5, s24, -v15 op_sel:[1,0,0] op_sel_hi:[1,0,0]
	v_rndne_f32_e32 v22, v16
	v_fma_mix_f32 v23, -v4, s24, -v16 op_sel_hi:[1,0,0]
	v_rndne_f32_e32 v24, v17
	v_fma_mix_f32 v25, -v4, s24, -v17 op_sel:[1,0,0] op_sel_hi:[1,0,0]
	v_sub_f32_e32 v14, v14, v18
	v_fma_mix_f32 v19, -v5, s25, v19 op_sel_hi:[1,0,0]
	v_sub_f32_e32 v15, v15, v20
	v_fma_mix_f32 v5, -v5, s25, v21 op_sel:[1,0,0] op_sel_hi:[1,0,0]
	v_sub_f32_e32 v16, v16, v22
	v_fma_mix_f32 v21, -v4, s25, v23 op_sel_hi:[1,0,0]
	v_sub_f32_e32 v17, v17, v24
	v_fma_mix_f32 v4, -v4, s25, v25 op_sel:[1,0,0] op_sel_hi:[1,0,0]
	v_add_f32_e32 v14, v14, v19
	v_add_f32_e32 v5, v15, v5
	v_cvt_i32_f32_e32 v18, v18
	v_cvt_i32_f32_e32 v20, v20
	v_add_f32_e32 v15, v16, v21
	v_add_f32_e32 v4, v17, v4
	v_exp_f32_e32 v14, v14
	v_exp_f32_e32 v5, v5
	v_cvt_i32_f32_e32 v22, v22
	v_cvt_i32_f32_e32 v23, v24
	v_exp_f32_e32 v15, v15
	v_exp_f32_e32 v4, v4
	v_ldexp_f32 v14, v14, v18
	v_ldexp_f32 v5, v5, v20
	v_cmp_ngt_f32_e32 vcc, s26, v11
	v_cmp_ngt_f32_e64 s[10:11], s26, v10
	v_ldexp_f32 v15, v15, v22
	v_cmp_ngt_f32_e64 s[2:3], s26, v12
	v_ldexp_f32 v4, v4, v23
	v_cmp_ngt_f32_e64 s[8:9], s26, v13
	v_cndmask_b32_e64 v14, 0, v14, s[10:11]
	v_cndmask_b32_e32 v5, 0, v5, vcc
	v_cmp_nlt_f32_e32 vcc, s27, v11
	v_cmp_nlt_f32_e64 s[10:11], s27, v10
	v_cndmask_b32_e64 v11, 0, v15, s[2:3]
	v_cmp_nlt_f32_e64 s[2:3], s27, v12
	v_cndmask_b32_e64 v12, 0, v4, s[8:9]
	v_cndmask_b32_e64 v4, v7, v14, s[10:11]
	v_cndmask_b32_e32 v5, v7, v5, vcc
	v_cmp_nlt_f32_e64 s[8:9], s27, v13
	v_pk_add_f32 v[4:5], v[4:5], 1.0 op_sel_hi:[1,0]
	v_cndmask_b32_e64 v10, v7, v11, s[2:3]
	v_cndmask_b32_e64 v11, v7, v12, s[8:9]
	v_div_scale_f32 v12, s[2:3], v5, v5, 1.0
	v_pk_add_f32 v[10:11], v[10:11], 1.0 op_sel_hi:[1,0]
	v_div_scale_f32 v14, s[2:3], v4, v4, 1.0
	v_rcp_f32_e32 v20, v12
	v_div_scale_f32 v16, s[8:9], v11, v11, 1.0
	v_rcp_f32_e32 v21, v14
	;; [unrolled: 2-line block ×3, first 2 shown]
	v_rcp_f32_e32 v23, v18
	v_fma_f32 v24, -v12, v20, 1.0
	v_div_scale_f32 v13, vcc, 1.0, v5, 1.0
	v_fma_f32 v25, -v14, v21, 1.0
	v_fmac_f32_e32 v20, v24, v20
	v_div_scale_f32 v15, s[2:3], 1.0, v4, 1.0
	v_fma_f32 v26, -v16, v22, 1.0
	v_fmac_f32_e32 v21, v25, v21
	v_mul_f32_e32 v24, v13, v20
	v_div_scale_f32 v17, s[8:9], 1.0, v11, 1.0
	v_fma_f32 v27, -v18, v23, 1.0
	v_fmac_f32_e32 v22, v26, v22
	v_mul_f32_e32 v25, v15, v21
	v_fma_f32 v28, -v12, v24, v13
	v_div_scale_f32 v19, s[10:11], 1.0, v10, 1.0
	v_fmac_f32_e32 v23, v27, v23
	v_mul_f32_e32 v26, v17, v22
	v_fma_f32 v29, -v14, v25, v15
	v_fmac_f32_e32 v24, v28, v20
	v_mul_f32_e32 v27, v19, v23
	v_fma_f32 v30, -v16, v26, v17
	v_fmac_f32_e32 v25, v29, v21
	v_fma_f32 v12, -v12, v24, v13
	v_fma_f32 v31, -v18, v27, v19
	v_fmac_f32_e32 v26, v30, v22
	v_fma_f32 v14, -v14, v25, v15
	v_div_fmas_f32 v12, v12, v20, v24
	s_mov_b64 vcc, s[2:3]
	v_fmac_f32_e32 v27, v31, v23
	v_fma_f32 v15, -v16, v26, v17
	v_div_fixup_f32 v13, v12, v5, 1.0
	v_div_fmas_f32 v5, v14, v21, v25
	s_mov_b64 vcc, s[8:9]
	v_fma_f32 v16, -v18, v27, v19
	v_div_fixup_f32 v12, v5, v4, 1.0
	v_div_fmas_f32 v4, v15, v22, v26
	s_mov_b64 vcc, s[10:11]
	v_div_fixup_f32 v11, v4, v11, 1.0
	v_div_fmas_f32 v4, v16, v23, v27
	v_div_fixup_f32 v10, v4, v10, 1.0
	ds_write_b128 v6, v[10:13]
	v_add_u32_e32 v6, s23, v6
	s_andn2_b64 exec, exec, s[20:21]
	s_cbranch_execnz .LBB95_2
.LBB95_3:
	s_or_b64 exec, exec, s[18:19]
	s_cmp_lt_i32 s17, 1
	s_waitcnt lgkmcnt(0)
	s_barrier
	s_cbranch_scc1 .LBB95_10
; %bb.4:
	s_add_u32 s2, s4, 64
	s_addc_u32 s3, s5, 0
	v_lshlrev_b32_e32 v4, 2, v0
	s_mov_b32 s16, 0
	v_mov_b32_e32 v5, 0xff800000
                                        ; implicit-def: $vgpr3
                                        ; implicit-def: $vgpr2
	s_branch .LBB95_6
.LBB95_5:                               ;   in Loop: Header=BB95_6 Depth=1
	s_or_b64 exec, exec, s[8:9]
	v_mov_b32_dpp v9, v7 quad_perm:[1,0,3,2] row_mask:0xf bank_mask:0xf
	v_cmp_lt_f32_e32 vcc, v7, v9
	v_cndmask_b32_e32 v7, v7, v9, vcc
	v_mov_b32_dpp v8, v6 quad_perm:[1,0,3,2] row_mask:0xf bank_mask:0xf
	v_cndmask_b32_e32 v6, v6, v8, vcc
	v_mov_b32_dpp v9, v7 quad_perm:[2,3,0,1] row_mask:0xf bank_mask:0xf
	v_cmp_gt_f32_e32 vcc, v9, v7
	v_cndmask_b32_e32 v7, v7, v9, vcc
	v_mov_b32_dpp v8, v6 quad_perm:[2,3,0,1] row_mask:0xf bank_mask:0xf
	v_cndmask_b32_e32 v6, v6, v8, vcc
	v_mov_b32_dpp v9, v7 row_half_mirror row_mask:0xf bank_mask:0xf
	v_cmp_gt_f32_e32 vcc, v9, v7
	v_cndmask_b32_e32 v7, v7, v9, vcc
	v_mov_b32_dpp v8, v6 row_half_mirror row_mask:0xf bank_mask:0xf
	v_cndmask_b32_e32 v6, v6, v8, vcc
	v_mov_b32_dpp v9, v7 row_mirror row_mask:0xf bank_mask:0xf
	v_cmp_gt_f32_e32 vcc, v9, v7
	v_cndmask_b32_e32 v7, v7, v9, vcc
	v_mov_b32_dpp v8, v6 row_mirror row_mask:0xf bank_mask:0xf
	v_cndmask_b32_e32 v6, v6, v8, vcc
	v_mov_b32_dpp v9, v7 row_bcast:15 row_mask:0xf bank_mask:0xf
	v_cmp_gt_f32_e32 vcc, v9, v7
	v_mov_b32_dpp v8, v6 row_bcast:15 row_mask:0xf bank_mask:0xf
	v_cndmask_b32_e32 v7, v7, v9, vcc
	v_cndmask_b32_e32 v6, v6, v8, vcc
	s_nop 0
	v_mov_b32_dpp v9, v7 row_bcast:31 row_mask:0xf bank_mask:0xf
	v_mov_b32_dpp v8, v6 row_bcast:31 row_mask:0xf bank_mask:0xf
	v_cmp_gt_f32_e32 vcc, v9, v7
	v_cndmask_b32_e32 v6, v6, v8, vcc
	v_readlane_b32 s9, v6, 63
	s_lshl_b32 s10, s9, 2
	s_add_i32 s10, s10, 0
	v_cndmask_b32_e32 v7, v7, v9, vcc
	v_mov_b32_e32 v6, s10
	v_readlane_b32 s8, v7, 63
	ds_write_b32 v6, v5
	v_mov_b32_e32 v6, s9
	v_cmp_eq_u32_e32 vcc, s16, v0
	v_cndmask_b32_e32 v2, v2, v6, vcc
	v_mov_b32_e32 v6, s8
	s_add_i32 s16, s16, 1
	s_cmp_eq_u32 s16, s17
	v_cndmask_b32_e32 v3, v3, v6, vcc
	s_cbranch_scc1 .LBB95_11
.LBB95_6:                               ; =>This Loop Header: Depth=1
                                        ;     Child Loop BB95_8 Depth 2
	v_mov_b32_e32 v6, s16
	v_mov_b32_e32 v7, 0xff800000
	s_and_saveexec_b64 s[8:9], s[0:1]
	s_cbranch_execz .LBB95_5
; %bb.7:                                ;   in Loop: Header=BB95_6 Depth=1
	s_load_dword s18, s[2:3], 0xc
	s_mov_b64 s[10:11], 0
	v_mov_b32_e32 v6, s16
	v_mov_b32_e32 v7, 0xff800000
	;; [unrolled: 1-line block ×3, first 2 shown]
	s_waitcnt lgkmcnt(0)
	s_and_b32 s18, s18, 0xffff
	s_lshl_b32 s19, s18, 2
	s_lshl_b32 s20, s18, 4
	v_mov_b32_e32 v9, v4
	v_mov_b32_e32 v10, v0
.LBB95_8:                               ;   Parent Loop BB95_6 Depth=1
                                        ; =>  This Inner Loop Header: Depth=2
	ds_read_b128 v[12:15], v8
	v_add_u32_e32 v10, s18, v10
	v_cmp_le_i32_e32 vcc, s7, v10
	s_or_b64 s[10:11], vcc, s[10:11]
	v_add_u32_e32 v11, 1, v9
	s_waitcnt lgkmcnt(0)
	v_cmp_gt_f32_e32 vcc, v12, v7
	v_cndmask_b32_e32 v7, v7, v12, vcc
	v_cndmask_b32_e32 v6, v6, v9, vcc
	v_cmp_gt_f32_e32 vcc, v13, v7
	v_cndmask_b32_e32 v7, v7, v13, vcc
	v_cndmask_b32_e32 v6, v6, v11, vcc
	v_cmp_gt_f32_e32 vcc, v14, v7
	v_add_u32_e32 v16, 2, v9
	v_cndmask_b32_e32 v7, v7, v14, vcc
	v_add_u32_e32 v17, 3, v9
	v_cndmask_b32_e32 v6, v6, v16, vcc
	v_cmp_gt_f32_e32 vcc, v15, v7
	v_add_u32_e32 v8, s20, v8
	v_add_u32_e32 v9, s19, v9
	v_cndmask_b32_e32 v7, v7, v15, vcc
	v_cndmask_b32_e32 v6, v6, v17, vcc
	s_andn2_b64 exec, exec, s[10:11]
	s_cbranch_execnz .LBB95_8
; %bb.9:                                ;   in Loop: Header=BB95_6 Depth=1
	s_or_b64 exec, exec, s[10:11]
	s_branch .LBB95_5
.LBB95_10:
                                        ; implicit-def: $vgpr3
                                        ; implicit-def: $vgpr2
.LBB95_11:
	v_cmp_gt_i32_e32 vcc, s17, v0
	s_and_saveexec_b64 s[0:1], vcc
	s_cbranch_execz .LBB95_14
; %bb.12:
	s_load_dword s2, s[4:5], 0x38
	s_load_dwordx2 s[0:1], s[4:5], 0x20
	s_ashr_i32 s3, s6, 31
	s_load_dword s4, s[4:5], 0x4c
	v_mov_b32_e32 v4, s13
	s_waitcnt lgkmcnt(0)
	v_mul_f32_e32 v1, s2, v3
	s_mul_i32 s1, s6, s1
	s_mul_hi_u32 s2, s6, s0
	s_add_i32 s1, s2, s1
	s_mul_i32 s3, s3, s0
	s_add_i32 s5, s1, s3
	s_mul_i32 s2, s6, s0
	s_and_b32 s3, s4, 0xffff
	s_mov_b64 s[0:1], 0
	v_mov_b32_e32 v3, s5
	v_mov_b32_e32 v5, s15
.LBB95_13:                              ; =>This Inner Loop Header: Depth=1
	v_ashrrev_i32_e32 v7, 31, v0
	v_add_co_u32_e32 v6, vcc, s2, v0
	v_addc_co_u32_e32 v7, vcc, v3, v7, vcc
	v_add_u32_e32 v0, s3, v0
	v_cmp_le_i32_e32 vcc, s17, v0
	v_lshlrev_b64 v[6:7], 2, v[6:7]
	s_or_b64 s[0:1], vcc, s[0:1]
	v_add_co_u32_e32 v8, vcc, s12, v6
	v_addc_co_u32_e32 v9, vcc, v4, v7, vcc
	v_add_co_u32_e32 v6, vcc, s14, v6
	v_addc_co_u32_e32 v7, vcc, v5, v7, vcc
	global_store_dword v[8:9], v1, off
	global_store_dword v[6:7], v2, off
	s_andn2_b64 exec, exec, s[0:1]
	s_cbranch_execnz .LBB95_13
.LBB95_14:
	s_endpgm
	.section	.rodata,"a",@progbits
	.p2align	6, 0x0
	.amdhsa_kernel _ZN5aiter19grouped_topk_kernelIN3c104HalfEDv4_fLi1ELb0ELb0ELb0EEEvPT_PKS4_PfPimiiiif
		.amdhsa_group_segment_fixed_size 0
		.amdhsa_private_segment_fixed_size 0
		.amdhsa_kernarg_size 320
		.amdhsa_user_sgpr_count 6
		.amdhsa_user_sgpr_private_segment_buffer 1
		.amdhsa_user_sgpr_dispatch_ptr 0
		.amdhsa_user_sgpr_queue_ptr 0
		.amdhsa_user_sgpr_kernarg_segment_ptr 1
		.amdhsa_user_sgpr_dispatch_id 0
		.amdhsa_user_sgpr_flat_scratch_init 0
		.amdhsa_user_sgpr_kernarg_preload_length 0
		.amdhsa_user_sgpr_kernarg_preload_offset 0
		.amdhsa_user_sgpr_private_segment_size 0
		.amdhsa_uses_dynamic_stack 0
		.amdhsa_system_sgpr_private_segment_wavefront_offset 0
		.amdhsa_system_sgpr_workgroup_id_x 1
		.amdhsa_system_sgpr_workgroup_id_y 0
		.amdhsa_system_sgpr_workgroup_id_z 0
		.amdhsa_system_sgpr_workgroup_info 0
		.amdhsa_system_vgpr_workitem_id 0
		.amdhsa_next_free_vgpr 32
		.amdhsa_next_free_sgpr 28
		.amdhsa_accum_offset 32
		.amdhsa_reserve_vcc 1
		.amdhsa_reserve_flat_scratch 0
		.amdhsa_float_round_mode_32 0
		.amdhsa_float_round_mode_16_64 0
		.amdhsa_float_denorm_mode_32 3
		.amdhsa_float_denorm_mode_16_64 3
		.amdhsa_dx10_clamp 1
		.amdhsa_ieee_mode 1
		.amdhsa_fp16_overflow 0
		.amdhsa_tg_split 0
		.amdhsa_exception_fp_ieee_invalid_op 0
		.amdhsa_exception_fp_denorm_src 0
		.amdhsa_exception_fp_ieee_div_zero 0
		.amdhsa_exception_fp_ieee_overflow 0
		.amdhsa_exception_fp_ieee_underflow 0
		.amdhsa_exception_fp_ieee_inexact 0
		.amdhsa_exception_int_div_zero 0
	.end_amdhsa_kernel
	.section	.text._ZN5aiter19grouped_topk_kernelIN3c104HalfEDv4_fLi1ELb0ELb0ELb0EEEvPT_PKS4_PfPimiiiif,"axG",@progbits,_ZN5aiter19grouped_topk_kernelIN3c104HalfEDv4_fLi1ELb0ELb0ELb0EEEvPT_PKS4_PfPimiiiif,comdat
.Lfunc_end95:
	.size	_ZN5aiter19grouped_topk_kernelIN3c104HalfEDv4_fLi1ELb0ELb0ELb0EEEvPT_PKS4_PfPimiiiif, .Lfunc_end95-_ZN5aiter19grouped_topk_kernelIN3c104HalfEDv4_fLi1ELb0ELb0ELb0EEEvPT_PKS4_PfPimiiiif
                                        ; -- End function
	.section	.AMDGPU.csdata,"",@progbits
; Kernel info:
; codeLenInByte = 1564
; NumSgprs: 32
; NumVgprs: 32
; NumAgprs: 0
; TotalNumVgprs: 32
; ScratchSize: 0
; MemoryBound: 0
; FloatMode: 240
; IeeeMode: 1
; LDSByteSize: 0 bytes/workgroup (compile time only)
; SGPRBlocks: 3
; VGPRBlocks: 3
; NumSGPRsForWavesPerEU: 32
; NumVGPRsForWavesPerEU: 32
; AccumOffset: 32
; Occupancy: 8
; WaveLimiterHint : 0
; COMPUTE_PGM_RSRC2:SCRATCH_EN: 0
; COMPUTE_PGM_RSRC2:USER_SGPR: 6
; COMPUTE_PGM_RSRC2:TRAP_HANDLER: 0
; COMPUTE_PGM_RSRC2:TGID_X_EN: 1
; COMPUTE_PGM_RSRC2:TGID_Y_EN: 0
; COMPUTE_PGM_RSRC2:TGID_Z_EN: 0
; COMPUTE_PGM_RSRC2:TIDIG_COMP_CNT: 0
; COMPUTE_PGM_RSRC3_GFX90A:ACCUM_OFFSET: 7
; COMPUTE_PGM_RSRC3_GFX90A:TG_SPLIT: 0
	.section	.text._ZN5aiter19grouped_topk_kernelIN3c108BFloat16EDv4_fLi1ELb0ELb0ELb0EEEvPT_PKS4_PfPimiiiif,"axG",@progbits,_ZN5aiter19grouped_topk_kernelIN3c108BFloat16EDv4_fLi1ELb0ELb0ELb0EEEvPT_PKS4_PfPimiiiif,comdat
	.protected	_ZN5aiter19grouped_topk_kernelIN3c108BFloat16EDv4_fLi1ELb0ELb0ELb0EEEvPT_PKS4_PfPimiiiif ; -- Begin function _ZN5aiter19grouped_topk_kernelIN3c108BFloat16EDv4_fLi1ELb0ELb0ELb0EEEvPT_PKS4_PfPimiiiif
	.globl	_ZN5aiter19grouped_topk_kernelIN3c108BFloat16EDv4_fLi1ELb0ELb0ELb0EEEvPT_PKS4_PfPimiiiif
	.p2align	8
	.type	_ZN5aiter19grouped_topk_kernelIN3c108BFloat16EDv4_fLi1ELb0ELb0ELb0EEEvPT_PKS4_PfPimiiiif,@function
_ZN5aiter19grouped_topk_kernelIN3c108BFloat16EDv4_fLi1ELb0ELb0ELb0EEEvPT_PKS4_PfPimiiiif: ; @_ZN5aiter19grouped_topk_kernelIN3c108BFloat16EDv4_fLi1ELb0ELb0ELb0EEEvPT_PKS4_PfPimiiiif
; %bb.0:
	s_load_dwordx2 s[16:17], s[4:5], 0x28
	s_load_dwordx4 s[12:15], s[4:5], 0x10
	v_lshl_add_u32 v1, v0, 4, 0
	s_waitcnt lgkmcnt(0)
	s_ashr_i32 s0, s16, 31
	s_lshr_b32 s0, s0, 30
	s_add_i32 s0, s16, s0
	s_ashr_i32 s7, s0, 2
	v_cmp_gt_i32_e64 s[0:1], s7, v0
	s_and_saveexec_b64 s[18:19], s[0:1]
	s_cbranch_execz .LBB96_3
; %bb.1:
	s_load_dword s10, s[4:5], 0x4c
	s_load_dwordx2 s[2:3], s[4:5], 0x0
	s_mul_i32 s8, s6, s16
	s_ashr_i32 s9, s8, 31
	s_lshl_b64 s[8:9], s[8:9], 1
	s_waitcnt lgkmcnt(0)
	s_and_b32 s16, s10, 0xffff
	s_add_u32 s2, s2, s8
	v_lshlrev_b32_e32 v2, 3, v0
	s_addc_u32 s3, s3, s9
	s_mov_b32 s10, 0
	v_mov_b32_e32 v3, s3
	v_add_co_u32_e32 v2, vcc, s2, v2
	v_addc_co_u32_e32 v3, vcc, 0, v3, vcc
	s_lshl_b32 s22, s16, 3
	v_lshl_add_u32 v6, v0, 4, 0
	s_lshl_b32 s23, s16, 4
	s_mov_b64 s[20:21], 0
	s_mov_b32 s24, 0xbfb8aa3b
	s_mov_b32 s25, 0x42ce8ed0
	;; [unrolled: 1-line block ×3, first 2 shown]
	v_mov_b32_e32 v7, 0x7f800000
	v_mov_b32_e32 v8, s10
	;; [unrolled: 1-line block ×3, first 2 shown]
.LBB96_2:                               ; =>This Inner Loop Header: Depth=1
	global_load_dwordx2 v[4:5], v[2:3], off
	v_add_co_u32_e32 v2, vcc, s22, v2
	v_add_u32_e32 v9, s16, v9
	v_addc_co_u32_e32 v3, vcc, v3, v8, vcc
	v_cmp_le_i32_e32 vcc, s7, v9
	s_or_b64 s[20:21], vcc, s[20:21]
	s_waitcnt vmcnt(0)
	v_cvt_f32_u32_sdwa v10, v5 dst_sel:DWORD dst_unused:UNUSED_PAD src0_sel:WORD_1
	v_cvt_f32_u32_sdwa v5, v5 dst_sel:DWORD dst_unused:UNUSED_PAD src0_sel:WORD_0
	v_cvt_f32_u32_sdwa v11, v4 dst_sel:DWORD dst_unused:UNUSED_PAD src0_sel:WORD_1
	v_cvt_f32_u32_sdwa v4, v4 dst_sel:DWORD dst_unused:UNUSED_PAD src0_sel:WORD_0
	v_mul_f32_e32 v12, 0xbfb8aa3b, v10
	v_mul_f32_e32 v13, 0xbfb8aa3b, v5
	v_fma_f32 v16, v10, s24, -v12
	v_mul_f32_e32 v15, 0xbfb8aa3b, v4
	v_rndne_f32_e32 v17, v12
	v_fma_f32 v18, v5, s24, -v13
	v_rndne_f32_e32 v19, v13
	v_mul_f32_e32 v14, 0xbfb8aa3b, v11
	v_fma_f32 v22, v4, s24, -v15
	v_rndne_f32_e32 v23, v15
	v_fmac_f32_e32 v16, 0xb2a5705f, v10
	v_sub_f32_e32 v12, v12, v17
	v_fmac_f32_e32 v18, 0xb2a5705f, v5
	v_sub_f32_e32 v13, v13, v19
	v_fma_f32 v20, v11, s24, -v14
	v_rndne_f32_e32 v21, v14
	v_fmac_f32_e32 v22, 0xb2a5705f, v4
	v_sub_f32_e32 v15, v15, v23
	v_add_f32_e32 v12, v12, v16
	v_add_f32_e32 v13, v13, v18
	v_cvt_i32_f32_e32 v17, v17
	v_cvt_i32_f32_e32 v19, v19
	v_fmac_f32_e32 v20, 0xb2a5705f, v11
	v_sub_f32_e32 v14, v14, v21
	v_add_f32_e32 v15, v15, v22
	v_exp_f32_e32 v12, v12
	v_exp_f32_e32 v13, v13
	v_cvt_i32_f32_e32 v23, v23
	v_add_f32_e32 v14, v14, v20
	v_exp_f32_e32 v15, v15
	v_cvt_i32_f32_e32 v21, v21
	v_exp_f32_e32 v14, v14
	v_ldexp_f32 v12, v12, v17
	v_ldexp_f32 v13, v13, v19
	v_cmp_nlt_f32_e32 vcc, s25, v5
	v_cmp_nlt_f32_e64 s[10:11], s25, v10
	v_ldexp_f32 v15, v15, v23
	v_cmp_nlt_f32_e64 s[8:9], s25, v4
	v_cndmask_b32_e64 v12, 0, v12, s[10:11]
	v_cndmask_b32_e32 v13, 0, v13, vcc
	v_cmp_ngt_f32_e32 vcc, s26, v5
	v_cmp_ngt_f32_e64 s[10:11], s26, v10
	v_ldexp_f32 v14, v14, v21
	v_cmp_nlt_f32_e64 s[2:3], s25, v11
	v_cndmask_b32_e64 v15, 0, v15, s[8:9]
	v_cmp_ngt_f32_e64 s[8:9], s26, v4
	v_cndmask_b32_e64 v5, v7, v12, s[10:11]
	v_cndmask_b32_e32 v4, v7, v13, vcc
	v_cndmask_b32_e64 v14, 0, v14, s[2:3]
	v_cmp_ngt_f32_e64 s[2:3], s26, v11
	v_pk_add_f32 v[4:5], v[4:5], 1.0 op_sel_hi:[1,0]
	v_cndmask_b32_e64 v11, v7, v14, s[2:3]
	v_cndmask_b32_e64 v10, v7, v15, s[8:9]
	v_div_scale_f32 v12, s[2:3], v5, v5, 1.0
	v_pk_add_f32 v[10:11], v[10:11], 1.0 op_sel_hi:[1,0]
	v_div_scale_f32 v14, s[2:3], v4, v4, 1.0
	v_rcp_f32_e32 v20, v12
	v_div_scale_f32 v16, s[8:9], v11, v11, 1.0
	v_rcp_f32_e32 v21, v14
	;; [unrolled: 2-line block ×3, first 2 shown]
	v_rcp_f32_e32 v23, v18
	v_fma_f32 v24, -v12, v20, 1.0
	v_div_scale_f32 v13, vcc, 1.0, v5, 1.0
	v_fma_f32 v25, -v14, v21, 1.0
	v_fmac_f32_e32 v20, v24, v20
	v_div_scale_f32 v15, s[2:3], 1.0, v4, 1.0
	v_fma_f32 v26, -v16, v22, 1.0
	v_fmac_f32_e32 v21, v25, v21
	v_mul_f32_e32 v24, v13, v20
	v_div_scale_f32 v17, s[8:9], 1.0, v11, 1.0
	v_fma_f32 v27, -v18, v23, 1.0
	v_fmac_f32_e32 v22, v26, v22
	v_mul_f32_e32 v25, v15, v21
	v_fma_f32 v28, -v12, v24, v13
	v_div_scale_f32 v19, s[10:11], 1.0, v10, 1.0
	v_fmac_f32_e32 v23, v27, v23
	v_mul_f32_e32 v26, v17, v22
	v_fma_f32 v29, -v14, v25, v15
	v_fmac_f32_e32 v24, v28, v20
	v_mul_f32_e32 v27, v19, v23
	v_fma_f32 v30, -v16, v26, v17
	v_fmac_f32_e32 v25, v29, v21
	v_fma_f32 v12, -v12, v24, v13
	v_fma_f32 v31, -v18, v27, v19
	v_fmac_f32_e32 v26, v30, v22
	v_fma_f32 v14, -v14, v25, v15
	v_div_fmas_f32 v12, v12, v20, v24
	s_mov_b64 vcc, s[2:3]
	v_fmac_f32_e32 v27, v31, v23
	v_fma_f32 v15, -v16, v26, v17
	v_div_fixup_f32 v13, v12, v5, 1.0
	v_div_fmas_f32 v5, v14, v21, v25
	s_mov_b64 vcc, s[8:9]
	v_fma_f32 v16, -v18, v27, v19
	v_div_fixup_f32 v12, v5, v4, 1.0
	v_div_fmas_f32 v4, v15, v22, v26
	s_mov_b64 vcc, s[10:11]
	v_div_fixup_f32 v11, v4, v11, 1.0
	v_div_fmas_f32 v4, v16, v23, v27
	v_div_fixup_f32 v10, v4, v10, 1.0
	ds_write_b128 v6, v[10:13]
	v_add_u32_e32 v6, s23, v6
	s_andn2_b64 exec, exec, s[20:21]
	s_cbranch_execnz .LBB96_2
.LBB96_3:
	s_or_b64 exec, exec, s[18:19]
	s_cmp_lt_i32 s17, 1
	s_waitcnt lgkmcnt(0)
	s_barrier
	s_cbranch_scc1 .LBB96_10
; %bb.4:
	s_add_u32 s2, s4, 64
	s_addc_u32 s3, s5, 0
	v_lshlrev_b32_e32 v4, 2, v0
	s_mov_b32 s16, 0
	v_mov_b32_e32 v5, 0xff800000
                                        ; implicit-def: $vgpr3
                                        ; implicit-def: $vgpr2
	s_branch .LBB96_6
.LBB96_5:                               ;   in Loop: Header=BB96_6 Depth=1
	s_or_b64 exec, exec, s[8:9]
	v_mov_b32_dpp v9, v7 quad_perm:[1,0,3,2] row_mask:0xf bank_mask:0xf
	v_cmp_lt_f32_e32 vcc, v7, v9
	v_cndmask_b32_e32 v7, v7, v9, vcc
	v_mov_b32_dpp v8, v6 quad_perm:[1,0,3,2] row_mask:0xf bank_mask:0xf
	v_cndmask_b32_e32 v6, v6, v8, vcc
	v_mov_b32_dpp v9, v7 quad_perm:[2,3,0,1] row_mask:0xf bank_mask:0xf
	v_cmp_gt_f32_e32 vcc, v9, v7
	v_cndmask_b32_e32 v7, v7, v9, vcc
	v_mov_b32_dpp v8, v6 quad_perm:[2,3,0,1] row_mask:0xf bank_mask:0xf
	v_cndmask_b32_e32 v6, v6, v8, vcc
	v_mov_b32_dpp v9, v7 row_half_mirror row_mask:0xf bank_mask:0xf
	v_cmp_gt_f32_e32 vcc, v9, v7
	v_cndmask_b32_e32 v7, v7, v9, vcc
	v_mov_b32_dpp v8, v6 row_half_mirror row_mask:0xf bank_mask:0xf
	v_cndmask_b32_e32 v6, v6, v8, vcc
	v_mov_b32_dpp v9, v7 row_mirror row_mask:0xf bank_mask:0xf
	v_cmp_gt_f32_e32 vcc, v9, v7
	v_cndmask_b32_e32 v7, v7, v9, vcc
	v_mov_b32_dpp v8, v6 row_mirror row_mask:0xf bank_mask:0xf
	v_cndmask_b32_e32 v6, v6, v8, vcc
	v_mov_b32_dpp v9, v7 row_bcast:15 row_mask:0xf bank_mask:0xf
	v_cmp_gt_f32_e32 vcc, v9, v7
	v_mov_b32_dpp v8, v6 row_bcast:15 row_mask:0xf bank_mask:0xf
	v_cndmask_b32_e32 v7, v7, v9, vcc
	v_cndmask_b32_e32 v6, v6, v8, vcc
	s_nop 0
	v_mov_b32_dpp v9, v7 row_bcast:31 row_mask:0xf bank_mask:0xf
	v_mov_b32_dpp v8, v6 row_bcast:31 row_mask:0xf bank_mask:0xf
	v_cmp_gt_f32_e32 vcc, v9, v7
	v_cndmask_b32_e32 v6, v6, v8, vcc
	v_readlane_b32 s9, v6, 63
	s_lshl_b32 s10, s9, 2
	s_add_i32 s10, s10, 0
	v_cndmask_b32_e32 v7, v7, v9, vcc
	v_mov_b32_e32 v6, s10
	v_readlane_b32 s8, v7, 63
	ds_write_b32 v6, v5
	v_mov_b32_e32 v6, s9
	v_cmp_eq_u32_e32 vcc, s16, v0
	v_cndmask_b32_e32 v2, v2, v6, vcc
	v_mov_b32_e32 v6, s8
	s_add_i32 s16, s16, 1
	s_cmp_eq_u32 s16, s17
	v_cndmask_b32_e32 v3, v3, v6, vcc
	s_cbranch_scc1 .LBB96_11
.LBB96_6:                               ; =>This Loop Header: Depth=1
                                        ;     Child Loop BB96_8 Depth 2
	v_mov_b32_e32 v6, s16
	v_mov_b32_e32 v7, 0xff800000
	s_and_saveexec_b64 s[8:9], s[0:1]
	s_cbranch_execz .LBB96_5
; %bb.7:                                ;   in Loop: Header=BB96_6 Depth=1
	s_load_dword s18, s[2:3], 0xc
	s_mov_b64 s[10:11], 0
	v_mov_b32_e32 v6, s16
	v_mov_b32_e32 v7, 0xff800000
	;; [unrolled: 1-line block ×3, first 2 shown]
	s_waitcnt lgkmcnt(0)
	s_and_b32 s18, s18, 0xffff
	s_lshl_b32 s19, s18, 2
	s_lshl_b32 s20, s18, 4
	v_mov_b32_e32 v9, v4
	v_mov_b32_e32 v10, v0
.LBB96_8:                               ;   Parent Loop BB96_6 Depth=1
                                        ; =>  This Inner Loop Header: Depth=2
	ds_read_b128 v[12:15], v8
	v_add_u32_e32 v10, s18, v10
	v_cmp_le_i32_e32 vcc, s7, v10
	s_or_b64 s[10:11], vcc, s[10:11]
	v_add_u32_e32 v11, 1, v9
	s_waitcnt lgkmcnt(0)
	v_cmp_gt_f32_e32 vcc, v12, v7
	v_cndmask_b32_e32 v7, v7, v12, vcc
	v_cndmask_b32_e32 v6, v6, v9, vcc
	v_cmp_gt_f32_e32 vcc, v13, v7
	v_cndmask_b32_e32 v7, v7, v13, vcc
	v_cndmask_b32_e32 v6, v6, v11, vcc
	v_cmp_gt_f32_e32 vcc, v14, v7
	v_add_u32_e32 v16, 2, v9
	v_cndmask_b32_e32 v7, v7, v14, vcc
	v_add_u32_e32 v17, 3, v9
	v_cndmask_b32_e32 v6, v6, v16, vcc
	v_cmp_gt_f32_e32 vcc, v15, v7
	v_add_u32_e32 v8, s20, v8
	v_add_u32_e32 v9, s19, v9
	v_cndmask_b32_e32 v7, v7, v15, vcc
	v_cndmask_b32_e32 v6, v6, v17, vcc
	s_andn2_b64 exec, exec, s[10:11]
	s_cbranch_execnz .LBB96_8
; %bb.9:                                ;   in Loop: Header=BB96_6 Depth=1
	s_or_b64 exec, exec, s[10:11]
	s_branch .LBB96_5
.LBB96_10:
                                        ; implicit-def: $vgpr3
                                        ; implicit-def: $vgpr2
.LBB96_11:
	v_cmp_gt_i32_e32 vcc, s17, v0
	s_and_saveexec_b64 s[0:1], vcc
	s_cbranch_execz .LBB96_14
; %bb.12:
	s_load_dword s2, s[4:5], 0x38
	s_load_dwordx2 s[0:1], s[4:5], 0x20
	s_ashr_i32 s3, s6, 31
	s_load_dword s4, s[4:5], 0x4c
	v_mov_b32_e32 v4, s13
	s_waitcnt lgkmcnt(0)
	v_mul_f32_e32 v1, s2, v3
	s_mul_i32 s1, s6, s1
	s_mul_hi_u32 s2, s6, s0
	s_add_i32 s1, s2, s1
	s_mul_i32 s3, s3, s0
	s_add_i32 s5, s1, s3
	s_mul_i32 s2, s6, s0
	s_and_b32 s3, s4, 0xffff
	s_mov_b64 s[0:1], 0
	v_mov_b32_e32 v3, s5
	v_mov_b32_e32 v5, s15
.LBB96_13:                              ; =>This Inner Loop Header: Depth=1
	v_ashrrev_i32_e32 v7, 31, v0
	v_add_co_u32_e32 v6, vcc, s2, v0
	v_addc_co_u32_e32 v7, vcc, v3, v7, vcc
	v_add_u32_e32 v0, s3, v0
	v_cmp_le_i32_e32 vcc, s17, v0
	v_lshlrev_b64 v[6:7], 2, v[6:7]
	s_or_b64 s[0:1], vcc, s[0:1]
	v_add_co_u32_e32 v8, vcc, s12, v6
	v_addc_co_u32_e32 v9, vcc, v4, v7, vcc
	v_add_co_u32_e32 v6, vcc, s14, v6
	v_addc_co_u32_e32 v7, vcc, v5, v7, vcc
	global_store_dword v[8:9], v1, off
	global_store_dword v[6:7], v2, off
	s_andn2_b64 exec, exec, s[0:1]
	s_cbranch_execnz .LBB96_13
.LBB96_14:
	s_endpgm
	.section	.rodata,"a",@progbits
	.p2align	6, 0x0
	.amdhsa_kernel _ZN5aiter19grouped_topk_kernelIN3c108BFloat16EDv4_fLi1ELb0ELb0ELb0EEEvPT_PKS4_PfPimiiiif
		.amdhsa_group_segment_fixed_size 0
		.amdhsa_private_segment_fixed_size 0
		.amdhsa_kernarg_size 320
		.amdhsa_user_sgpr_count 6
		.amdhsa_user_sgpr_private_segment_buffer 1
		.amdhsa_user_sgpr_dispatch_ptr 0
		.amdhsa_user_sgpr_queue_ptr 0
		.amdhsa_user_sgpr_kernarg_segment_ptr 1
		.amdhsa_user_sgpr_dispatch_id 0
		.amdhsa_user_sgpr_flat_scratch_init 0
		.amdhsa_user_sgpr_kernarg_preload_length 0
		.amdhsa_user_sgpr_kernarg_preload_offset 0
		.amdhsa_user_sgpr_private_segment_size 0
		.amdhsa_uses_dynamic_stack 0
		.amdhsa_system_sgpr_private_segment_wavefront_offset 0
		.amdhsa_system_sgpr_workgroup_id_x 1
		.amdhsa_system_sgpr_workgroup_id_y 0
		.amdhsa_system_sgpr_workgroup_id_z 0
		.amdhsa_system_sgpr_workgroup_info 0
		.amdhsa_system_vgpr_workitem_id 0
		.amdhsa_next_free_vgpr 32
		.amdhsa_next_free_sgpr 27
		.amdhsa_accum_offset 32
		.amdhsa_reserve_vcc 1
		.amdhsa_reserve_flat_scratch 0
		.amdhsa_float_round_mode_32 0
		.amdhsa_float_round_mode_16_64 0
		.amdhsa_float_denorm_mode_32 3
		.amdhsa_float_denorm_mode_16_64 3
		.amdhsa_dx10_clamp 1
		.amdhsa_ieee_mode 1
		.amdhsa_fp16_overflow 0
		.amdhsa_tg_split 0
		.amdhsa_exception_fp_ieee_invalid_op 0
		.amdhsa_exception_fp_denorm_src 0
		.amdhsa_exception_fp_ieee_div_zero 0
		.amdhsa_exception_fp_ieee_overflow 0
		.amdhsa_exception_fp_ieee_underflow 0
		.amdhsa_exception_fp_ieee_inexact 0
		.amdhsa_exception_int_div_zero 0
	.end_amdhsa_kernel
	.section	.text._ZN5aiter19grouped_topk_kernelIN3c108BFloat16EDv4_fLi1ELb0ELb0ELb0EEEvPT_PKS4_PfPimiiiif,"axG",@progbits,_ZN5aiter19grouped_topk_kernelIN3c108BFloat16EDv4_fLi1ELb0ELb0ELb0EEEvPT_PKS4_PfPimiiiif,comdat
.Lfunc_end96:
	.size	_ZN5aiter19grouped_topk_kernelIN3c108BFloat16EDv4_fLi1ELb0ELb0ELb0EEEvPT_PKS4_PfPimiiiif, .Lfunc_end96-_ZN5aiter19grouped_topk_kernelIN3c108BFloat16EDv4_fLi1ELb0ELb0ELb0EEEvPT_PKS4_PfPimiiiif
                                        ; -- End function
	.section	.AMDGPU.csdata,"",@progbits
; Kernel info:
; codeLenInByte = 1556
; NumSgprs: 31
; NumVgprs: 32
; NumAgprs: 0
; TotalNumVgprs: 32
; ScratchSize: 0
; MemoryBound: 0
; FloatMode: 240
; IeeeMode: 1
; LDSByteSize: 0 bytes/workgroup (compile time only)
; SGPRBlocks: 3
; VGPRBlocks: 3
; NumSGPRsForWavesPerEU: 31
; NumVGPRsForWavesPerEU: 32
; AccumOffset: 32
; Occupancy: 8
; WaveLimiterHint : 0
; COMPUTE_PGM_RSRC2:SCRATCH_EN: 0
; COMPUTE_PGM_RSRC2:USER_SGPR: 6
; COMPUTE_PGM_RSRC2:TRAP_HANDLER: 0
; COMPUTE_PGM_RSRC2:TGID_X_EN: 1
; COMPUTE_PGM_RSRC2:TGID_Y_EN: 0
; COMPUTE_PGM_RSRC2:TGID_Z_EN: 0
; COMPUTE_PGM_RSRC2:TIDIG_COMP_CNT: 0
; COMPUTE_PGM_RSRC3_GFX90A:ACCUM_OFFSET: 7
; COMPUTE_PGM_RSRC3_GFX90A:TG_SPLIT: 0
	.section	.text._ZN5aiter28grouped_topk_opt_sort_kernelIfDv2_fLi8ELb1ELb1ELb0EEEvPT_PKS2_PfPimiiiif,"axG",@progbits,_ZN5aiter28grouped_topk_opt_sort_kernelIfDv2_fLi8ELb1ELb1ELb0EEEvPT_PKS2_PfPimiiiif,comdat
	.protected	_ZN5aiter28grouped_topk_opt_sort_kernelIfDv2_fLi8ELb1ELb1ELb0EEEvPT_PKS2_PfPimiiiif ; -- Begin function _ZN5aiter28grouped_topk_opt_sort_kernelIfDv2_fLi8ELb1ELb1ELb0EEEvPT_PKS2_PfPimiiiif
	.globl	_ZN5aiter28grouped_topk_opt_sort_kernelIfDv2_fLi8ELb1ELb1ELb0EEEvPT_PKS2_PfPimiiiif
	.p2align	8
	.type	_ZN5aiter28grouped_topk_opt_sort_kernelIfDv2_fLi8ELb1ELb1ELb0EEEvPT_PKS2_PfPimiiiif,@function
_ZN5aiter28grouped_topk_opt_sort_kernelIfDv2_fLi8ELb1ELb1ELb0EEEvPT_PKS2_PfPimiiiif: ; @_ZN5aiter28grouped_topk_opt_sort_kernelIfDv2_fLi8ELb1ELb1ELb0EEEvPT_PKS2_PfPimiiiif
; %bb.0:
	s_load_dwordx4 s[16:19], s[4:5], 0x28
	s_load_dwordx4 s[12:15], s[4:5], 0x0
	v_lshlrev_b32_e32 v13, 3, v0
	v_bfe_u32 v12, v0, 1, 1
	v_and_b32_e32 v11, 1, v0
	s_waitcnt lgkmcnt(0)
	s_lshl_b32 s1, s16, 2
	s_mul_i32 s0, s6, s16
	s_add_i32 s7, s1, 0
	s_ashr_i32 s1, s0, 31
	s_lshl_b64 s[0:1], s[0:1], 2
	s_add_u32 s0, s12, s0
	s_addc_u32 s1, s13, s1
	global_load_dwordx2 v[6:7], v13, s[0:1]
	global_load_dwordx2 v[8:9], v13, s[14:15]
	s_mov_b32 s0, 0x652b82fe
	s_mov_b32 s1, 0xbff71547
	v_mov_b32_e32 v2, 0xff800000
	v_mov_b32_e32 v3, 0x7f800000
	v_bfe_u32 v4, v0, 2, 1
	v_cmp_eq_u32_e32 vcc, v11, v12
	v_cndmask_b32_e32 v15, v2, v3, vcc
	v_cmp_eq_u32_e32 vcc, v12, v4
	s_mov_b32 s2, 0xc2fc0000
	v_cndmask_b32_e32 v16, v2, v3, vcc
	v_cmp_eq_u32_e32 vcc, v11, v4
	v_mov_b32_e32 v10, 0x42800000
	v_cndmask_b32_e32 v17, v2, v3, vcc
	v_mov_b32_e32 v14, 0x1f800000
	v_and_b32_e32 v20, 4, v0
	s_mov_b32 s3, 0xff800000
	v_mbcnt_lo_u32_b32 v1, -1, 0
	v_mbcnt_hi_u32_b32 v1, -1, v1
	v_and_b32_e32 v5, 64, v1
	s_waitcnt vmcnt(1)
	v_cvt_f64_f32_e32 v[18:19], v6
	v_cvt_f64_f32_e32 v[6:7], v7
	v_mul_f64 v[18:19], v[18:19], s[0:1]
	v_mul_f64 v[6:7], v[6:7], s[0:1]
	v_cvt_f32_f64_e32 v18, v[18:19]
	v_cvt_f32_f64_e32 v6, v[6:7]
	v_cmp_gt_f32_e32 vcc, s2, v18
	v_cmp_gt_f32_e64 s[0:1], s2, v6
	v_cndmask_b32_e32 v7, 0, v10, vcc
	v_cndmask_b32_e64 v10, 0, v10, s[0:1]
	v_add_f32_e32 v7, v18, v7
	v_add_f32_e32 v6, v6, v10
	v_exp_f32_e32 v7, v7
	v_exp_f32_e32 v6, v6
	v_cndmask_b32_e32 v10, 1.0, v14, vcc
	v_cndmask_b32_e64 v14, 1.0, v14, s[0:1]
	v_fma_f32 v7, v7, v10, 1.0
	v_fma_f32 v10, v6, v14, 1.0
	v_rcp_f32_e32 v6, v7
	v_rcp_f32_e32 v7, v10
	v_cmp_eq_u32_e32 vcc, 0, v20
	v_cndmask_b32_e32 v14, v2, v3, vcc
	v_and_or_b32 v10, v13, 56, v5
	s_waitcnt vmcnt(0)
	v_pk_add_f32 v[6:7], v[8:9], v[6:7]
	v_cmp_o_f32_e32 vcc, v7, v7
	v_cndmask_b32_e32 v7, v2, v7, vcc
	v_cmp_o_f32_e32 vcc, v6, v6
	v_cndmask_b32_e32 v6, v2, v6, vcc
	v_med3_f32 v8, v7, v6, s3
	v_max_f32_e32 v9, v7, v6
	v_lshlrev_b32_e32 v10, 2, v10
	v_mov_b32_dpp v19, v8 quad_perm:[1,0,3,2] row_mask:0xf bank_mask:0xf bound_ctrl:1
	v_max_f32_e32 v19, v19, v19
	v_mov_b32_dpp v18, v9 quad_perm:[1,0,3,2] row_mask:0xf bank_mask:0xf bound_ctrl:1
	v_max_f32_e32 v8, v19, v8
	v_med3_f32 v8, v18, v9, v8
	v_max_f32_e32 v20, v18, v18
	v_max_f32_e32 v19, v20, v9
	v_mov_b32_dpp v18, v8 quad_perm:[2,3,0,1] row_mask:0xf bank_mask:0xf bound_ctrl:1
	v_max_f32_e32 v18, v18, v18
	v_mov_b32_dpp v9, v19 quad_perm:[2,3,0,1] row_mask:0xf bank_mask:0xf bound_ctrl:1
	v_max_f32_e32 v8, v18, v8
	v_max_f32_e32 v20, v9, v9
	v_med3_f32 v8, v9, v19, v8
	v_max_f32_e32 v20, v20, v19
	v_cmp_eq_u32_e32 vcc, 0, v12
	v_mov_b32_dpp v19, v8 row_half_mirror row_mask:0xf bank_mask:0xf bound_ctrl:1
	v_mov_b32_dpp v18, v20 row_half_mirror row_mask:0xf bank_mask:0xf bound_ctrl:1
	v_max_f32_e32 v19, v19, v19
	v_max_f32_e32 v9, v18, v18
	;; [unrolled: 1-line block ×4, first 2 shown]
	v_med3_f32 v8, v18, v20, v8
	v_add_f32_e32 v8, v9, v8
	ds_bpermute_b32 v18, v10, v8
	v_cndmask_b32_e32 v8, v2, v3, vcc
	v_cmp_eq_u32_e32 vcc, 0, v11
	v_cndmask_b32_e32 v9, v2, v3, vcc
	v_lshlrev_b32_e32 v10, 2, v5
	s_waitcnt lgkmcnt(0)
	v_mov_b32_dpp v19, v18 quad_perm:[1,0,3,2] row_mask:0xf bank_mask:0xf bound_ctrl:1
	v_med3_f32 v19, v18, v19, v15
	v_add_u32_e32 v13, 0, v13
	ds_write_b64 v13, v[6:7]
	v_mov_b32_dpp v20, v19 quad_perm:[2,3,0,1] row_mask:0xf bank_mask:0xf bound_ctrl:1
	v_med3_f32 v19, v19, v20, v16
	s_nop 1
	v_mov_b32_dpp v20, v19 quad_perm:[1,0,3,2] row_mask:0xf bank_mask:0xf bound_ctrl:1
	v_med3_f32 v19, v19, v20, v17
	s_nop 1
	v_mov_b32_dpp v20, v19 row_shl:4 row_mask:0xf bank_mask:0x5 bound_ctrl:1
	s_nop 1
	v_mov_b32_dpp v20, v19 row_shr:4 row_mask:0xf bank_mask:0xa bound_ctrl:1
	v_med3_f32 v14, v19, v20, v14
	s_nop 1
	v_mov_b32_dpp v19, v14 quad_perm:[2,3,0,1] row_mask:0xf bank_mask:0xf bound_ctrl:1
	v_med3_f32 v14, v14, v19, v8
	s_nop 1
	v_mov_b32_dpp v19, v14 quad_perm:[1,0,3,2] row_mask:0xf bank_mask:0xf bound_ctrl:1
	v_med3_f32 v14, v14, v19, v9
	ds_bpermute_b32 v14, v10, v14 offset:12
	v_bfe_i32 v19, v1, 3, 1
	s_waitcnt lgkmcnt(0)
	v_cmp_gt_f32_e32 vcc, v18, v14
	v_cndmask_b32_e64 v6, 0, 1, vcc
	v_cmp_eq_f32_e64 s[0:1], v18, v14
	v_cndmask_b32_e64 v7, 0, 1, s[0:1]
	v_mov_b32_dpp v6, v6 row_shr:1 row_mask:0xf bank_mask:0xf bound_ctrl:1
	v_addc_co_u32_e64 v13, s[8:9], 0, v6, vcc
	v_mov_b32_dpp v7, v7 row_shr:1 row_mask:0xf bank_mask:0xf bound_ctrl:1
	s_nop 0
	v_mov_b32_dpp v13, v13 row_shr:2 row_mask:0xf bank_mask:0xf bound_ctrl:1
	v_addc_co_u32_e32 v6, vcc, v13, v6, vcc
	v_cmp_ge_f32_e64 s[2:3], v18, v14
	v_addc_co_u32_e64 v14, s[8:9], 0, v7, s[0:1]
	v_add_u32_dpp v6, v6, v6 row_shr:4 row_mask:0xf bank_mask:0xf bound_ctrl:1
	s_nop 0
	v_mov_b32_dpp v14, v14 row_shr:2 row_mask:0xf bank_mask:0xf bound_ctrl:1
	v_addc_co_u32_e64 v7, vcc, v14, v7, s[0:1]
	v_add_u32_dpp v6, v6, v6 row_shr:8 row_mask:0xf bank_mask:0xf bound_ctrl:1
	s_nop 0
	v_add_u32_dpp v7, v7, v7 row_shr:4 row_mask:0xf bank_mask:0xf bound_ctrl:1
	v_and_b32_dpp v13, v6, v19 row_newbcast:7 row_mask:0xf bank_mask:0xf bound_ctrl:1
	v_sub_u32_e32 v6, v6, v13
	v_add_u32_dpp v7, v7, v7 row_shr:8 row_mask:0xf bank_mask:0xf bound_ctrl:1
	v_readlane_b32 s8, v6, 7
	s_nop 0
	v_and_b32_dpp v14, v7, v19 row_newbcast:7 row_mask:0xf bank_mask:0xf bound_ctrl:1
	v_add_u32_e32 v7, s8, v7
	v_sub_u32_e32 v7, v7, v14
	v_cndmask_b32_e64 v6, v6, v7, s[0:1]
	v_cmp_ge_i32_e32 vcc, s18, v6
	s_and_b64 s[0:1], s[2:3], vcc
	v_cmp_gt_u32_e32 vcc, 8, v0
	s_and_b64 s[2:3], vcc, s[0:1]
	s_and_saveexec_b64 s[0:1], s[2:3]
	s_cbranch_execz .LBB97_2
; %bb.1:
	v_lshl_add_u32 v6, v6, 2, s7
	ds_write_b32 v6, v0 offset:28
.LBB97_2:
	s_or_b64 exec, exec, s[0:1]
	v_lshrrev_b32_e32 v6, 3, v0
	v_and_b32_e32 v6, 0x7c, v6
	v_add_u32_e32 v6, s7, v6
	s_waitcnt lgkmcnt(0)
	s_barrier
	ds_read_b32 v6, v6 offset:32
	v_add_u32_e32 v7, 64, v0
	v_and_b32_e32 v18, 31, v0
	v_lshrrev_b32_e32 v7, 3, v7
	v_and_b32_e32 v7, 0xfc, v7
	s_waitcnt lgkmcnt(0)
	v_lshl_or_b32 v13, v6, 5, v18
	v_add_u32_e32 v7, s7, v7
	v_lshl_add_u32 v6, v13, 2, 0
	ds_read_b32 v7, v7 offset:32
	ds_read_b32 v14, v6
	v_bfe_u32 v21, v0, 3, 1
	v_cmp_eq_u32_e32 vcc, v4, v21
	v_cndmask_b32_e32 v22, v2, v3, vcc
	v_cmp_eq_u32_e32 vcc, v12, v21
	s_waitcnt lgkmcnt(0)
	v_mov_b32_dpp v19, v14 quad_perm:[1,0,3,2] row_mask:0xf bank_mask:0xf bound_ctrl:1
	v_med3_f32 v19, v14, v19, v15
	v_cndmask_b32_e32 v23, v2, v3, vcc
	v_cmp_eq_u32_e32 vcc, v11, v21
	v_mov_b32_dpp v20, v19 quad_perm:[2,3,0,1] row_mask:0xf bank_mask:0xf bound_ctrl:1
	v_med3_f32 v19, v19, v20, v16
	v_cndmask_b32_e32 v24, v2, v3, vcc
	v_bfe_u32 v25, v0, 4, 1
	v_mov_b32_dpp v20, v19 quad_perm:[1,0,3,2] row_mask:0xf bank_mask:0xf bound_ctrl:1
	v_med3_f32 v19, v19, v20, v17
	v_cmp_eq_u32_e32 vcc, v21, v25
	v_cndmask_b32_e32 v26, v2, v3, vcc
	v_mov_b32_dpp v20, v19 row_shl:4 row_mask:0xf bank_mask:0x5 bound_ctrl:1
	v_lshl_or_b32 v6, v7, 5, v18
	v_lshl_add_u32 v7, v6, 2, 0
	v_mov_b32_dpp v20, v19 row_shr:4 row_mask:0xf bank_mask:0xa bound_ctrl:1
	v_med3_f32 v19, v19, v20, v22
	v_cmp_eq_u32_e32 vcc, v4, v25
	ds_read_b32 v7, v7
	v_mov_b32_dpp v20, v19 quad_perm:[2,3,0,1] row_mask:0xf bank_mask:0xf bound_ctrl:1
	v_med3_f32 v19, v19, v20, v23
	v_cndmask_b32_e32 v27, v2, v3, vcc
	v_cmp_eq_u32_e32 vcc, v12, v25
	v_mov_b32_dpp v20, v19 quad_perm:[1,0,3,2] row_mask:0xf bank_mask:0xf bound_ctrl:1
	v_med3_f32 v19, v19, v20, v24
	v_cndmask_b32_e32 v12, v2, v3, vcc
	v_cmp_eq_u32_e32 vcc, v11, v25
	v_mov_b32_dpp v20, v19 row_shl:8 row_mask:0xf bank_mask:0x3 bound_ctrl:1
	v_cndmask_b32_e32 v11, v2, v3, vcc
	v_cmp_gt_u32_e32 vcc, 32, v0
	v_mov_b32_dpp v20, v19 row_shr:8 row_mask:0xf bank_mask:0xc bound_ctrl:1
	v_med3_f32 v19, v19, v20, v26
	v_cmp_lt_u32_e64 s[2:3], 15, v1
	s_lshl_b32 s8, s17, 2
	v_mov_b32_dpp v20, v19 row_shl:4 row_mask:0xf bank_mask:0x5 bound_ctrl:1
	s_add_i32 s12, s7, s8
	s_add_i32 s13, s7, 64
	v_mov_b32_dpp v20, v19 row_shr:4 row_mask:0xf bank_mask:0xa bound_ctrl:1
	v_med3_f32 v19, v19, v20, v27
	s_add_i32 s16, s12, 64
	s_nop 0
	v_mov_b32_dpp v20, v19 quad_perm:[2,3,0,1] row_mask:0xf bank_mask:0xf bound_ctrl:1
	v_med3_f32 v19, v19, v20, v12
	s_nop 1
	v_mov_b32_dpp v20, v19 quad_perm:[1,0,3,2] row_mask:0xf bank_mask:0xf bound_ctrl:1
	v_med3_f32 v19, v19, v20, v11
	s_waitcnt lgkmcnt(0)
	v_mov_b32_dpp v20, v7 quad_perm:[1,0,3,2] row_mask:0xf bank_mask:0xf bound_ctrl:1
	v_med3_f32 v15, v7, v20, v15
	s_nop 1
	v_mov_b32_dpp v20, v15 quad_perm:[2,3,0,1] row_mask:0xf bank_mask:0xf bound_ctrl:1
	v_med3_f32 v15, v15, v20, v16
	s_nop 1
	;; [unrolled: 3-line block ×3, first 2 shown]
	v_mov_b32_dpp v16, v15 row_shl:4 row_mask:0xf bank_mask:0x5 bound_ctrl:1
	s_nop 1
	v_mov_b32_dpp v16, v15 row_shr:4 row_mask:0xf bank_mask:0xa bound_ctrl:1
	v_med3_f32 v15, v15, v16, v22
	s_nop 1
	v_mov_b32_dpp v16, v15 quad_perm:[2,3,0,1] row_mask:0xf bank_mask:0xf bound_ctrl:1
	v_med3_f32 v15, v15, v16, v23
	s_nop 1
	v_mov_b32_dpp v16, v15 quad_perm:[1,0,3,2] row_mask:0xf bank_mask:0xf bound_ctrl:1
	v_med3_f32 v15, v15, v16, v24
	s_nop 1
	v_mov_b32_dpp v16, v15 row_shl:8 row_mask:0xf bank_mask:0x3 bound_ctrl:1
	s_nop 1
	v_mov_b32_dpp v16, v15 row_shr:8 row_mask:0xf bank_mask:0xc bound_ctrl:1
	v_med3_f32 v15, v15, v16, v26
	s_nop 1
	v_mov_b32_dpp v16, v15 row_shl:4 row_mask:0xf bank_mask:0x5 bound_ctrl:1
	s_nop 1
	v_mov_b32_dpp v16, v15 row_shr:4 row_mask:0xf bank_mask:0xa bound_ctrl:1
	v_med3_f32 v15, v15, v16, v27
	s_nop 1
	v_mov_b32_dpp v16, v15 quad_perm:[2,3,0,1] row_mask:0xf bank_mask:0xf bound_ctrl:1
	v_med3_f32 v15, v15, v16, v12
	s_nop 1
	v_mov_b32_dpp v16, v15 quad_perm:[1,0,3,2] row_mask:0xf bank_mask:0xf bound_ctrl:1
	v_med3_f32 v15, v15, v16, v11
	v_lshlrev_b32_e32 v16, 1, v0
	v_bfi_b32 v17, 48, v16, v18
	v_or_b32_e32 v17, v5, v17
	v_lshlrev_b32_e32 v17, 2, v17
	ds_bpermute_b32 v19, v17, v19
	ds_bpermute_b32 v15, v17, v15
	v_xor_b32_e32 v16, v18, v16
	v_and_b32_e32 v16, 48, v16
	s_waitcnt lgkmcnt(0)
	v_cndmask_b32_e32 v15, v15, v19, vcc
	s_nop 1
	v_mov_b32_dpp v17, v15 row_shl:8 row_mask:0xf bank_mask:0x3 bound_ctrl:1
	v_cmp_eq_u32_e32 vcc, 0, v21
	s_nop 0
	v_mov_b32_dpp v17, v15 row_shr:8 row_mask:0xf bank_mask:0xc bound_ctrl:1
	v_med3_f32 v15, v15, v17, v26
	s_nop 1
	v_mov_b32_dpp v17, v15 row_shl:4 row_mask:0xf bank_mask:0x5 bound_ctrl:1
	s_nop 1
	v_mov_b32_dpp v17, v15 row_shr:4 row_mask:0xf bank_mask:0xa bound_ctrl:1
	v_med3_f32 v15, v15, v17, v27
	s_nop 1
	v_mov_b32_dpp v17, v15 quad_perm:[2,3,0,1] row_mask:0xf bank_mask:0xf bound_ctrl:1
	v_med3_f32 v15, v15, v17, v12
	s_nop 1
	v_mov_b32_dpp v17, v15 quad_perm:[1,0,3,2] row_mask:0xf bank_mask:0xf bound_ctrl:1
	v_med3_f32 v15, v15, v17, v11
	v_and_b32_e32 v17, 63, v0
	v_xor_b32_e32 v16, v16, v17
	v_or_b32_e32 v5, v5, v16
	v_lshlrev_b32_e32 v5, 2, v5
	ds_bpermute_b32 v15, v5, v15
	s_waitcnt lgkmcnt(0)
	s_nop 0
	v_mov_b32_dpp v16, v15 row_shl:8 row_mask:0xf bank_mask:0x3 bound_ctrl:1
	s_nop 1
	v_mov_b32_dpp v16, v15 row_shr:8 row_mask:0xf bank_mask:0xc bound_ctrl:1
	v_med3_f32 v15, v15, v16, v26
	s_nop 1
	v_mov_b32_dpp v16, v15 row_shl:4 row_mask:0xf bank_mask:0x5 bound_ctrl:1
	s_nop 1
	v_mov_b32_dpp v16, v15 row_shr:4 row_mask:0xf bank_mask:0xa bound_ctrl:1
	v_med3_f32 v15, v15, v16, v27
	s_nop 1
	v_mov_b32_dpp v16, v15 quad_perm:[2,3,0,1] row_mask:0xf bank_mask:0xf bound_ctrl:1
	v_med3_f32 v12, v15, v16, v12
	s_nop 1
	v_mov_b32_dpp v15, v12 quad_perm:[1,0,3,2] row_mask:0xf bank_mask:0xf bound_ctrl:1
	v_med3_f32 v11, v12, v15, v11
	ds_bpermute_b32 v5, v5, v11
	v_cndmask_b32_e32 v12, v2, v3, vcc
	v_cmp_eq_u32_e32 vcc, 0, v4
	v_cndmask_b32_e32 v2, v2, v3, vcc
	s_waitcnt lgkmcnt(0)
	v_mov_b32_dpp v11, v5 row_shl:8 row_mask:0xf bank_mask:0x3 bound_ctrl:1
	s_nop 1
	v_mov_b32_dpp v11, v5 row_shr:8 row_mask:0xf bank_mask:0xc bound_ctrl:1
	v_med3_f32 v5, v5, v11, v12
	s_nop 1
	v_mov_b32_dpp v11, v5 row_shl:4 row_mask:0xf bank_mask:0x5 bound_ctrl:1
	s_nop 1
	v_mov_b32_dpp v11, v5 row_shr:4 row_mask:0xf bank_mask:0xa bound_ctrl:1
	v_med3_f32 v2, v5, v11, v2
	s_nop 1
	v_mov_b32_dpp v3, v2 quad_perm:[2,3,0,1] row_mask:0xf bank_mask:0xf bound_ctrl:1
	v_med3_f32 v2, v2, v3, v8
	s_nop 1
	v_mov_b32_dpp v3, v2 quad_perm:[1,0,3,2] row_mask:0xf bank_mask:0xf bound_ctrl:1
	v_med3_f32 v2, v2, v3, v9
	ds_bpermute_b32 v2, v10, v2 offset:28
	v_lshlrev_b32_e32 v3, 2, v1
	v_and_b32_e32 v3, 0xc0, v3
	v_add_u32_e32 v4, -4, v3
	v_add_u32_e32 v9, 0xffffffbc, v3
	s_waitcnt lgkmcnt(0)
	v_cmp_gt_f32_e32 vcc, v14, v2
	v_cndmask_b32_e64 v5, 0, 1, vcc
	v_cmp_eq_f32_e64 s[8:9], v14, v2
	s_nop 0
	v_mov_b32_dpp v5, v5 row_shr:1 row_mask:0xf bank_mask:0xf bound_ctrl:1
	v_addc_co_u32_e64 v8, s[0:1], 0, v5, vcc
	s_nop 1
	v_mov_b32_dpp v8, v8 row_shr:2 row_mask:0xf bank_mask:0xf bound_ctrl:1
	v_addc_co_u32_e32 v5, vcc, v8, v5, vcc
	v_cmp_gt_f32_e32 vcc, v7, v2
	s_nop 0
	v_add_u32_dpp v5, v5, v5 row_shr:4 row_mask:0xf bank_mask:0xf bound_ctrl:1
	s_nop 1
	v_add_u32_dpp v5, v5, v5 row_shr:8 row_mask:0xf bank_mask:0xf bound_ctrl:1
	ds_bpermute_b32 v8, v4, v5
	s_waitcnt lgkmcnt(0)
	v_cndmask_b32_e64 v3, 0, v8, s[2:3]
	v_cndmask_b32_e64 v8, 0, 1, vcc
	v_add_u32_e32 v3, v3, v5
	ds_bpermute_b32 v5, v9, v3
	v_mov_b32_dpp v8, v8 row_shr:1 row_mask:0xf bank_mask:0xf bound_ctrl:1
	v_addc_co_u32_e64 v10, s[0:1], 0, v8, vcc
	s_nop 1
	v_mov_b32_dpp v10, v10 row_shr:2 row_mask:0xf bank_mask:0xf bound_ctrl:1
	v_addc_co_u32_e32 v8, vcc, v10, v8, vcc
	v_cmp_lt_u32_e32 vcc, 31, v1
	s_nop 0
	v_add_u32_dpp v8, v8, v8 row_shr:4 row_mask:0xf bank_mask:0xf bound_ctrl:1
	s_waitcnt lgkmcnt(0)
	v_cndmask_b32_e32 v1, 0, v5, vcc
	v_add_u32_e32 v12, v3, v1
	v_add_u32_dpp v8, v8, v8 row_shr:8 row_mask:0xf bank_mask:0xf bound_ctrl:1
	ds_bpermute_b32 v10, v4, v8
	s_waitcnt lgkmcnt(0)
	v_cndmask_b32_e64 v5, 0, v10, s[2:3]
	v_cndmask_b32_e64 v10, 0, 1, s[8:9]
	v_add_u32_e32 v5, v5, v8
	ds_bpermute_b32 v8, v9, v5
	v_mov_b32_dpp v10, v10 row_shr:1 row_mask:0xf bank_mask:0xf bound_ctrl:1
	v_addc_co_u32_e64 v11, s[0:1], 0, v10, s[8:9]
	s_waitcnt lgkmcnt(0)
	v_cndmask_b32_e32 v1, 0, v8, vcc
	v_mov_b32_dpp v11, v11 row_shr:2 row_mask:0xf bank_mask:0xf bound_ctrl:1
	v_addc_co_u32_e64 v10, s[0:1], v11, v10, s[8:9]
	v_readlane_b32 s0, v12, 63
	s_nop 0
	v_add_u32_dpp v10, v10, v10 row_shr:4 row_mask:0xf bank_mask:0xf bound_ctrl:1
	v_add3_u32 v1, v5, s0, v1
	v_cmp_eq_f32_e64 s[0:1], v7, v2
	v_add_u32_dpp v10, v10, v10 row_shr:8 row_mask:0xf bank_mask:0xf bound_ctrl:1
	ds_bpermute_b32 v11, v4, v10
	v_cndmask_b32_e64 v8, 0, 1, s[0:1]
	s_waitcnt lgkmcnt(0)
	v_cndmask_b32_e64 v3, 0, v11, s[2:3]
	v_mov_b32_dpp v8, v8 row_shr:1 row_mask:0xf bank_mask:0xf bound_ctrl:1
	v_add_u32_e32 v3, v3, v10
	v_addc_co_u32_e64 v10, s[10:11], 0, v8, s[0:1]
	ds_bpermute_b32 v5, v9, v3
	s_nop 0
	v_mov_b32_dpp v10, v10 row_shr:2 row_mask:0xf bank_mask:0xf bound_ctrl:1
	v_addc_co_u32_e64 v8, s[10:11], v10, v8, s[0:1]
	v_readlane_b32 s10, v1, 63
	s_nop 0
	v_add_u32_dpp v8, v8, v8 row_shr:4 row_mask:0xf bank_mask:0xf bound_ctrl:1
	s_waitcnt lgkmcnt(0)
	v_cndmask_b32_e32 v5, 0, v5, vcc
	v_add3_u32 v5, v3, s10, v5
	v_add_u32_dpp v8, v8, v8 row_shr:8 row_mask:0xf bank_mask:0xf bound_ctrl:1
	ds_bpermute_b32 v4, v4, v8
	v_readlane_b32 s10, v5, 63
	v_cndmask_b32_e64 v5, v12, v5, s[8:9]
	v_cmp_ge_i32_e64 s[8:9], s17, v5
	s_waitcnt lgkmcnt(0)
	v_cndmask_b32_e64 v3, 0, v4, s[2:3]
	v_add_u32_e32 v3, v3, v8
	ds_bpermute_b32 v4, v9, v3
	v_cmp_ge_f32_e64 s[2:3], v14, v2
	s_and_b64 s[8:9], s[2:3], s[8:9]
	s_and_saveexec_b64 s[2:3], s[8:9]
	s_cbranch_execz .LBB97_4
; %bb.3:
	v_lshl_add_u32 v5, v5, 2, -4
	v_add_u32_e32 v8, s16, v5
	v_add_u32_e32 v5, s13, v5
	ds_write_b32 v5, v13
	ds_write_b32 v8, v14
.LBB97_4:
	s_or_b64 exec, exec, s[2:3]
	s_waitcnt lgkmcnt(0)
	v_cndmask_b32_e32 v4, 0, v4, vcc
	v_add3_u32 v3, v3, s10, v4
	v_cndmask_b32_e64 v1, v1, v3, s[0:1]
	v_cmp_ge_f32_e32 vcc, v7, v2
	v_cmp_ge_i32_e64 s[0:1], s17, v1
	s_and_b64 s[2:3], vcc, s[0:1]
	s_and_saveexec_b64 s[0:1], s[2:3]
	s_cbranch_execz .LBB97_6
; %bb.5:
	v_lshl_add_u32 v1, v1, 2, -4
	v_add_u32_e32 v2, s16, v1
	v_add_u32_e32 v1, s13, v1
	ds_write_b32 v1, v6
	ds_write_b32 v2, v7
.LBB97_6:
	s_or_b64 exec, exec, s[0:1]
	v_cmp_gt_u32_e32 vcc, s17, v0
	s_waitcnt lgkmcnt(0)
	s_barrier
	s_and_saveexec_b64 s[0:1], vcc
	s_cbranch_execz .LBB97_8
; %bb.7:
	v_lshlrev_b32_e32 v4, 2, v0
	v_add_u32_e32 v0, s7, v4
	ds_read_b32 v0, v0 offset:64
	v_mov_b32_e32 v5, s15
	s_load_dwordx2 s[8:9], s[4:5], 0x20
	s_waitcnt lgkmcnt(0)
	v_ashrrev_i32_e32 v1, 31, v0
	v_lshlrev_b64 v[2:3], 2, v[0:1]
	v_add_co_u32_e32 v2, vcc, s14, v2
	v_addc_co_u32_e32 v3, vcc, v5, v3, vcc
	global_load_dword v1, v[2:3], off
	v_add_u32_e32 v2, s12, v4
	ds_read_b32 v2, v2 offset:64
	s_load_dwordx4 s[0:3], s[4:5], 0x10
	s_load_dword s7, s[4:5], 0x38
	s_ashr_i32 s4, s6, 31
	s_mul_i32 s5, s6, s9
	s_mul_hi_u32 s9, s6, s8
	s_mul_i32 s10, s4, s8
	s_add_i32 s5, s9, s5
	s_mul_i32 s4, s6, s8
	s_add_i32 s5, s5, s10
	s_lshl_b64 s[4:5], s[4:5], 2
	s_waitcnt lgkmcnt(0)
	s_add_u32 s0, s0, s4
	s_addc_u32 s1, s1, s5
	s_add_u32 s2, s2, s4
	s_addc_u32 s3, s3, s5
	s_waitcnt vmcnt(0)
	v_sub_f32_e32 v1, v2, v1
	s_nop 1
	v_mov_b32_dpp v2, v1 quad_perm:[1,0,3,2] row_mask:0xf bank_mask:0xf
	v_add_f32_e32 v2, v1, v2
	v_mul_f32_e32 v1, s7, v1
	s_nop 0
	v_mov_b32_dpp v3, v2 quad_perm:[2,3,0,1] row_mask:0xf bank_mask:0xf
	v_add_f32_e32 v2, v2, v3
	s_nop 1
	v_mov_b32_dpp v3, v2 row_half_mirror row_mask:0xf bank_mask:0xf
	v_add_f32_e32 v2, v2, v3
	v_rcp_f32_e32 v2, v2
	v_mul_f32_e32 v1, v1, v2
	global_store_dword v4, v1, s[0:1]
	global_store_dword v4, v0, s[2:3]
.LBB97_8:
	s_endpgm
	.section	.rodata,"a",@progbits
	.p2align	6, 0x0
	.amdhsa_kernel _ZN5aiter28grouped_topk_opt_sort_kernelIfDv2_fLi8ELb1ELb1ELb0EEEvPT_PKS2_PfPimiiiif
		.amdhsa_group_segment_fixed_size 0
		.amdhsa_private_segment_fixed_size 0
		.amdhsa_kernarg_size 60
		.amdhsa_user_sgpr_count 6
		.amdhsa_user_sgpr_private_segment_buffer 1
		.amdhsa_user_sgpr_dispatch_ptr 0
		.amdhsa_user_sgpr_queue_ptr 0
		.amdhsa_user_sgpr_kernarg_segment_ptr 1
		.amdhsa_user_sgpr_dispatch_id 0
		.amdhsa_user_sgpr_flat_scratch_init 0
		.amdhsa_user_sgpr_kernarg_preload_length 0
		.amdhsa_user_sgpr_kernarg_preload_offset 0
		.amdhsa_user_sgpr_private_segment_size 0
		.amdhsa_uses_dynamic_stack 0
		.amdhsa_system_sgpr_private_segment_wavefront_offset 0
		.amdhsa_system_sgpr_workgroup_id_x 1
		.amdhsa_system_sgpr_workgroup_id_y 0
		.amdhsa_system_sgpr_workgroup_id_z 0
		.amdhsa_system_sgpr_workgroup_info 0
		.amdhsa_system_vgpr_workitem_id 0
		.amdhsa_next_free_vgpr 28
		.amdhsa_next_free_sgpr 20
		.amdhsa_accum_offset 28
		.amdhsa_reserve_vcc 1
		.amdhsa_reserve_flat_scratch 0
		.amdhsa_float_round_mode_32 0
		.amdhsa_float_round_mode_16_64 0
		.amdhsa_float_denorm_mode_32 3
		.amdhsa_float_denorm_mode_16_64 3
		.amdhsa_dx10_clamp 1
		.amdhsa_ieee_mode 1
		.amdhsa_fp16_overflow 0
		.amdhsa_tg_split 0
		.amdhsa_exception_fp_ieee_invalid_op 0
		.amdhsa_exception_fp_denorm_src 0
		.amdhsa_exception_fp_ieee_div_zero 0
		.amdhsa_exception_fp_ieee_overflow 0
		.amdhsa_exception_fp_ieee_underflow 0
		.amdhsa_exception_fp_ieee_inexact 0
		.amdhsa_exception_int_div_zero 0
	.end_amdhsa_kernel
	.section	.text._ZN5aiter28grouped_topk_opt_sort_kernelIfDv2_fLi8ELb1ELb1ELb0EEEvPT_PKS2_PfPimiiiif,"axG",@progbits,_ZN5aiter28grouped_topk_opt_sort_kernelIfDv2_fLi8ELb1ELb1ELb0EEEvPT_PKS2_PfPimiiiif,comdat
.Lfunc_end97:
	.size	_ZN5aiter28grouped_topk_opt_sort_kernelIfDv2_fLi8ELb1ELb1ELb0EEEvPT_PKS2_PfPimiiiif, .Lfunc_end97-_ZN5aiter28grouped_topk_opt_sort_kernelIfDv2_fLi8ELb1ELb1ELb0EEEvPT_PKS2_PfPimiiiif
                                        ; -- End function
	.section	.AMDGPU.csdata,"",@progbits
; Kernel info:
; codeLenInByte = 2896
; NumSgprs: 24
; NumVgprs: 28
; NumAgprs: 0
; TotalNumVgprs: 28
; ScratchSize: 0
; MemoryBound: 0
; FloatMode: 240
; IeeeMode: 1
; LDSByteSize: 0 bytes/workgroup (compile time only)
; SGPRBlocks: 2
; VGPRBlocks: 3
; NumSGPRsForWavesPerEU: 24
; NumVGPRsForWavesPerEU: 28
; AccumOffset: 28
; Occupancy: 8
; WaveLimiterHint : 0
; COMPUTE_PGM_RSRC2:SCRATCH_EN: 0
; COMPUTE_PGM_RSRC2:USER_SGPR: 6
; COMPUTE_PGM_RSRC2:TRAP_HANDLER: 0
; COMPUTE_PGM_RSRC2:TGID_X_EN: 1
; COMPUTE_PGM_RSRC2:TGID_Y_EN: 0
; COMPUTE_PGM_RSRC2:TGID_Z_EN: 0
; COMPUTE_PGM_RSRC2:TIDIG_COMP_CNT: 0
; COMPUTE_PGM_RSRC3_GFX90A:ACCUM_OFFSET: 6
; COMPUTE_PGM_RSRC3_GFX90A:TG_SPLIT: 0
	.section	.text._ZN5aiter28grouped_topk_opt_sort_kernelIN3c104HalfEDv2_fLi8ELb1ELb1ELb0EEEvPT_PKS4_PfPimiiiif,"axG",@progbits,_ZN5aiter28grouped_topk_opt_sort_kernelIN3c104HalfEDv2_fLi8ELb1ELb1ELb0EEEvPT_PKS4_PfPimiiiif,comdat
	.protected	_ZN5aiter28grouped_topk_opt_sort_kernelIN3c104HalfEDv2_fLi8ELb1ELb1ELb0EEEvPT_PKS4_PfPimiiiif ; -- Begin function _ZN5aiter28grouped_topk_opt_sort_kernelIN3c104HalfEDv2_fLi8ELb1ELb1ELb0EEEvPT_PKS4_PfPimiiiif
	.globl	_ZN5aiter28grouped_topk_opt_sort_kernelIN3c104HalfEDv2_fLi8ELb1ELb1ELb0EEEvPT_PKS4_PfPimiiiif
	.p2align	8
	.type	_ZN5aiter28grouped_topk_opt_sort_kernelIN3c104HalfEDv2_fLi8ELb1ELb1ELb0EEEvPT_PKS4_PfPimiiiif,@function
_ZN5aiter28grouped_topk_opt_sort_kernelIN3c104HalfEDv2_fLi8ELb1ELb1ELb0EEEvPT_PKS4_PfPimiiiif: ; @_ZN5aiter28grouped_topk_opt_sort_kernelIN3c104HalfEDv2_fLi8ELb1ELb1ELb0EEEvPT_PKS4_PfPimiiiif
; %bb.0:
	s_load_dwordx4 s[16:19], s[4:5], 0x28
	s_load_dwordx4 s[12:15], s[4:5], 0x0
	v_lshlrev_b32_e32 v1, 2, v0
	v_bfe_u32 v12, v0, 1, 1
	v_and_b32_e32 v9, 1, v0
	s_waitcnt lgkmcnt(0)
	s_lshl_b32 s1, s16, 2
	s_mul_i32 s0, s6, s16
	s_add_i32 s7, s1, 0
	s_ashr_i32 s1, s0, 31
	s_lshl_b64 s[0:1], s[0:1], 1
	s_add_u32 s0, s12, s0
	s_addc_u32 s1, s13, s1
	global_load_dword v7, v1, s[0:1]
	global_load_dword v8, v1, s[14:15]
	s_mov_b32 s0, 0x652b82fe
	s_mov_b32 s1, 0xbff71547
	v_mov_b32_e32 v2, 0xff800000
	v_mov_b32_e32 v4, 0x7f800000
	v_bfe_u32 v5, v0, 2, 1
	v_cmp_eq_u32_e32 vcc, v9, v12
	v_cndmask_b32_e32 v16, v2, v4, vcc
	v_cmp_eq_u32_e32 vcc, v12, v5
	s_mov_b32 s2, 0xc2fc0000
	v_cndmask_b32_e32 v17, v2, v4, vcc
	v_cmp_eq_u32_e32 vcc, v9, v5
	v_mov_b32_e32 v13, 0x42800000
	v_cndmask_b32_e32 v18, v2, v4, vcc
	v_mov_b32_e32 v19, 0x1f800000
	v_and_b32_e32 v23, 4, v0
	s_mov_b32 s3, 0xff800000
	v_mbcnt_lo_u32_b32 v3, -1, 0
	v_mbcnt_hi_u32_b32 v3, -1, v3
	v_lshlrev_b32_e32 v22, 3, v0
	v_and_b32_e32 v6, 64, v3
	s_waitcnt vmcnt(1)
	v_cvt_f32_f16_e32 v14, v7
	v_cvt_f32_f16_sdwa v7, v7 dst_sel:DWORD dst_unused:UNUSED_PAD src0_sel:WORD_1
	s_waitcnt vmcnt(0)
	v_cvt_f32_f16_e32 v10, v8
	v_cvt_f32_f16_sdwa v11, v8 dst_sel:DWORD dst_unused:UNUSED_PAD src0_sel:WORD_1
	v_cvt_f64_f32_e32 v[14:15], v14
	v_cvt_f64_f32_e32 v[20:21], v7
	v_mul_f64 v[14:15], v[14:15], s[0:1]
	v_mul_f64 v[20:21], v[20:21], s[0:1]
	v_cvt_f32_f64_e32 v7, v[14:15]
	v_cvt_f32_f64_e32 v8, v[20:21]
	v_cmp_gt_f32_e32 vcc, s2, v7
	v_cmp_gt_f32_e64 s[0:1], s2, v8
	v_cndmask_b32_e32 v14, 0, v13, vcc
	v_cndmask_b32_e64 v13, 0, v13, s[0:1]
	v_add_f32_e32 v7, v7, v14
	v_add_f32_e32 v8, v8, v13
	v_exp_f32_e32 v7, v7
	v_exp_f32_e32 v8, v8
	v_cndmask_b32_e32 v13, 1.0, v19, vcc
	v_cndmask_b32_e64 v14, 1.0, v19, s[0:1]
	v_fma_f32 v7, v7, v13, 1.0
	v_fma_f32 v8, v8, v14, 1.0
	v_rcp_f32_e32 v14, v7
	v_rcp_f32_e32 v15, v8
	v_cmp_eq_u32_e32 vcc, 0, v23
	v_cndmask_b32_e32 v7, v2, v4, vcc
	v_and_or_b32 v8, v22, 56, v6
	v_pk_add_f32 v[10:11], v[14:15], v[10:11]
	v_cmp_o_f32_e32 vcc, v11, v11
	v_cndmask_b32_e32 v15, v2, v11, vcc
	v_cmp_o_f32_e32 vcc, v10, v10
	v_cndmask_b32_e32 v14, v2, v10, vcc
	v_med3_f32 v10, v15, v14, s3
	v_max_f32_e32 v11, v15, v14
	v_lshlrev_b32_e32 v8, 2, v8
	v_mov_b32_dpp v19, v10 quad_perm:[1,0,3,2] row_mask:0xf bank_mask:0xf bound_ctrl:1
	v_max_f32_e32 v19, v19, v19
	v_mov_b32_dpp v13, v11 quad_perm:[1,0,3,2] row_mask:0xf bank_mask:0xf bound_ctrl:1
	v_max_f32_e32 v10, v19, v10
	v_med3_f32 v10, v13, v11, v10
	v_max_f32_e32 v20, v13, v13
	v_max_f32_e32 v19, v20, v11
	v_mov_b32_dpp v13, v10 quad_perm:[2,3,0,1] row_mask:0xf bank_mask:0xf bound_ctrl:1
	v_max_f32_e32 v13, v13, v13
	v_mov_b32_dpp v11, v19 quad_perm:[2,3,0,1] row_mask:0xf bank_mask:0xf bound_ctrl:1
	v_max_f32_e32 v10, v13, v10
	v_max_f32_e32 v20, v11, v11
	v_med3_f32 v10, v11, v19, v10
	v_max_f32_e32 v20, v20, v19
	v_cmp_eq_u32_e32 vcc, 0, v12
	v_mov_b32_dpp v19, v10 row_half_mirror row_mask:0xf bank_mask:0xf bound_ctrl:1
	v_mov_b32_dpp v13, v20 row_half_mirror row_mask:0xf bank_mask:0xf bound_ctrl:1
	v_max_f32_e32 v19, v19, v19
	v_max_f32_e32 v11, v13, v13
	;; [unrolled: 1-line block ×4, first 2 shown]
	v_med3_f32 v10, v13, v20, v10
	v_add_f32_e32 v10, v11, v10
	ds_bpermute_b32 v8, v8, v10
	v_cndmask_b32_e32 v10, v2, v4, vcc
	v_cmp_eq_u32_e32 vcc, 0, v9
	v_cndmask_b32_e32 v11, v2, v4, vcc
	v_lshlrev_b32_e32 v13, 2, v6
	s_waitcnt lgkmcnt(0)
	v_mov_b32_dpp v19, v8 quad_perm:[1,0,3,2] row_mask:0xf bank_mask:0xf bound_ctrl:1
	v_med3_f32 v19, v8, v19, v16
	s_nop 1
	v_mov_b32_dpp v20, v19 quad_perm:[2,3,0,1] row_mask:0xf bank_mask:0xf bound_ctrl:1
	v_med3_f32 v19, v19, v20, v17
	s_nop 1
	;; [unrolled: 3-line block ×3, first 2 shown]
	v_mov_b32_dpp v20, v19 row_shl:4 row_mask:0xf bank_mask:0x5 bound_ctrl:1
	s_nop 1
	v_mov_b32_dpp v20, v19 row_shr:4 row_mask:0xf bank_mask:0xa bound_ctrl:1
	v_med3_f32 v7, v19, v20, v7
	v_bfe_i32 v20, v3, 3, 1
	s_nop 0
	v_mov_b32_dpp v19, v7 quad_perm:[2,3,0,1] row_mask:0xf bank_mask:0xf bound_ctrl:1
	v_med3_f32 v7, v7, v19, v10
	s_nop 1
	v_mov_b32_dpp v19, v7 quad_perm:[1,0,3,2] row_mask:0xf bank_mask:0xf bound_ctrl:1
	v_med3_f32 v7, v7, v19, v11
	ds_bpermute_b32 v7, v13, v7 offset:12
	v_add_u32_e32 v19, 0, v22
	ds_write_b64 v19, v[14:15]
	s_waitcnt lgkmcnt(1)
	v_cmp_gt_f32_e32 vcc, v8, v7
	v_cndmask_b32_e64 v14, 0, 1, vcc
	v_cmp_eq_f32_e64 s[0:1], v8, v7
	v_cmp_ge_f32_e64 s[2:3], v8, v7
	v_mov_b32_dpp v7, v14 row_shr:1 row_mask:0xf bank_mask:0xf bound_ctrl:1
	v_addc_co_u32_e64 v14, s[8:9], 0, v7, vcc
	v_cndmask_b32_e64 v15, 0, 1, s[0:1]
	s_nop 0
	v_mov_b32_dpp v14, v14 row_shr:2 row_mask:0xf bank_mask:0xf bound_ctrl:1
	v_addc_co_u32_e32 v7, vcc, v14, v7, vcc
	v_mov_b32_dpp v8, v15 row_shr:1 row_mask:0xf bank_mask:0xf bound_ctrl:1
	v_addc_co_u32_e64 v15, s[8:9], 0, v8, s[0:1]
	v_add_u32_dpp v7, v7, v7 row_shr:4 row_mask:0xf bank_mask:0xf bound_ctrl:1
	s_nop 0
	v_mov_b32_dpp v15, v15 row_shr:2 row_mask:0xf bank_mask:0xf bound_ctrl:1
	v_addc_co_u32_e64 v8, vcc, v15, v8, s[0:1]
	v_add_u32_dpp v7, v7, v7 row_shr:8 row_mask:0xf bank_mask:0xf bound_ctrl:1
	s_nop 0
	v_add_u32_dpp v8, v8, v8 row_shr:4 row_mask:0xf bank_mask:0xf bound_ctrl:1
	v_and_b32_dpp v14, v7, v20 row_newbcast:7 row_mask:0xf bank_mask:0xf bound_ctrl:1
	v_sub_u32_e32 v7, v7, v14
	v_add_u32_dpp v8, v8, v8 row_shr:8 row_mask:0xf bank_mask:0xf bound_ctrl:1
	v_readlane_b32 s8, v7, 7
	s_nop 0
	v_and_b32_dpp v15, v8, v20 row_newbcast:7 row_mask:0xf bank_mask:0xf bound_ctrl:1
	v_add_u32_e32 v8, s8, v8
	v_sub_u32_e32 v8, v8, v15
	v_cndmask_b32_e64 v7, v7, v8, s[0:1]
	v_cmp_ge_i32_e32 vcc, s18, v7
	s_and_b64 s[0:1], s[2:3], vcc
	v_cmp_gt_u32_e32 vcc, 8, v0
	s_and_b64 s[2:3], vcc, s[0:1]
	s_and_saveexec_b64 s[0:1], s[2:3]
	s_cbranch_execz .LBB98_2
; %bb.1:
	v_lshl_add_u32 v7, v7, 2, s7
	ds_write_b32 v7, v0 offset:28
.LBB98_2:
	s_or_b64 exec, exec, s[0:1]
	v_lshrrev_b32_e32 v7, 3, v0
	v_and_b32_e32 v7, 0x7c, v7
	v_add_u32_e32 v7, s7, v7
	s_waitcnt lgkmcnt(0)
	s_barrier
	ds_read_b32 v7, v7 offset:32
	v_add_u32_e32 v8, 64, v0
	v_and_b32_e32 v19, 31, v0
	v_lshrrev_b32_e32 v8, 3, v8
	v_and_b32_e32 v8, 0xfc, v8
	s_waitcnt lgkmcnt(0)
	v_lshl_or_b32 v14, v7, 5, v19
	v_add_u32_e32 v8, s7, v8
	v_lshl_add_u32 v7, v14, 2, 0
	ds_read_b32 v8, v8 offset:32
	ds_read_b32 v15, v7
	v_bfe_u32 v22, v0, 3, 1
	v_cmp_eq_u32_e32 vcc, v5, v22
	v_cndmask_b32_e32 v23, v2, v4, vcc
	v_cmp_eq_u32_e32 vcc, v12, v22
	s_waitcnt lgkmcnt(0)
	v_mov_b32_dpp v20, v15 quad_perm:[1,0,3,2] row_mask:0xf bank_mask:0xf bound_ctrl:1
	v_med3_f32 v20, v15, v20, v16
	v_cndmask_b32_e32 v24, v2, v4, vcc
	v_cmp_eq_u32_e32 vcc, v9, v22
	v_mov_b32_dpp v21, v20 quad_perm:[2,3,0,1] row_mask:0xf bank_mask:0xf bound_ctrl:1
	v_med3_f32 v20, v20, v21, v17
	v_cndmask_b32_e32 v25, v2, v4, vcc
	v_bfe_u32 v26, v0, 4, 1
	v_mov_b32_dpp v21, v20 quad_perm:[1,0,3,2] row_mask:0xf bank_mask:0xf bound_ctrl:1
	v_med3_f32 v20, v20, v21, v18
	v_cmp_eq_u32_e32 vcc, v22, v26
	v_cndmask_b32_e32 v27, v2, v4, vcc
	v_mov_b32_dpp v21, v20 row_shl:4 row_mask:0xf bank_mask:0x5 bound_ctrl:1
	v_lshl_or_b32 v7, v8, 5, v19
	v_lshl_add_u32 v8, v7, 2, 0
	v_mov_b32_dpp v21, v20 row_shr:4 row_mask:0xf bank_mask:0xa bound_ctrl:1
	v_med3_f32 v20, v20, v21, v23
	v_cmp_eq_u32_e32 vcc, v5, v26
	ds_read_b32 v8, v8
	v_mov_b32_dpp v21, v20 quad_perm:[2,3,0,1] row_mask:0xf bank_mask:0xf bound_ctrl:1
	v_med3_f32 v20, v20, v21, v24
	v_cndmask_b32_e32 v28, v2, v4, vcc
	v_cmp_eq_u32_e32 vcc, v12, v26
	v_mov_b32_dpp v21, v20 quad_perm:[1,0,3,2] row_mask:0xf bank_mask:0xf bound_ctrl:1
	v_med3_f32 v20, v20, v21, v25
	v_cndmask_b32_e32 v12, v2, v4, vcc
	v_cmp_eq_u32_e32 vcc, v9, v26
	v_mov_b32_dpp v21, v20 row_shl:8 row_mask:0xf bank_mask:0x3 bound_ctrl:1
	v_cndmask_b32_e32 v9, v2, v4, vcc
	v_cmp_gt_u32_e32 vcc, 32, v0
	v_mov_b32_dpp v21, v20 row_shr:8 row_mask:0xf bank_mask:0xc bound_ctrl:1
	v_med3_f32 v20, v20, v21, v27
	v_cmp_lt_u32_e64 s[2:3], 15, v3
	s_lshl_b32 s8, s17, 2
	v_mov_b32_dpp v21, v20 row_shl:4 row_mask:0xf bank_mask:0x5 bound_ctrl:1
	s_add_i32 s12, s7, s8
	s_add_i32 s13, s7, 64
	v_mov_b32_dpp v21, v20 row_shr:4 row_mask:0xf bank_mask:0xa bound_ctrl:1
	v_med3_f32 v20, v20, v21, v28
	s_add_i32 s16, s12, 64
	s_nop 0
	v_mov_b32_dpp v21, v20 quad_perm:[2,3,0,1] row_mask:0xf bank_mask:0xf bound_ctrl:1
	v_med3_f32 v20, v20, v21, v12
	s_nop 1
	v_mov_b32_dpp v21, v20 quad_perm:[1,0,3,2] row_mask:0xf bank_mask:0xf bound_ctrl:1
	v_med3_f32 v20, v20, v21, v9
	s_waitcnt lgkmcnt(0)
	v_mov_b32_dpp v21, v8 quad_perm:[1,0,3,2] row_mask:0xf bank_mask:0xf bound_ctrl:1
	v_med3_f32 v16, v8, v21, v16
	s_nop 1
	v_mov_b32_dpp v21, v16 quad_perm:[2,3,0,1] row_mask:0xf bank_mask:0xf bound_ctrl:1
	v_med3_f32 v16, v16, v21, v17
	s_nop 1
	;; [unrolled: 3-line block ×3, first 2 shown]
	v_mov_b32_dpp v17, v16 row_shl:4 row_mask:0xf bank_mask:0x5 bound_ctrl:1
	s_nop 1
	v_mov_b32_dpp v17, v16 row_shr:4 row_mask:0xf bank_mask:0xa bound_ctrl:1
	v_med3_f32 v16, v16, v17, v23
	s_nop 1
	v_mov_b32_dpp v17, v16 quad_perm:[2,3,0,1] row_mask:0xf bank_mask:0xf bound_ctrl:1
	v_med3_f32 v16, v16, v17, v24
	s_nop 1
	v_mov_b32_dpp v17, v16 quad_perm:[1,0,3,2] row_mask:0xf bank_mask:0xf bound_ctrl:1
	v_med3_f32 v16, v16, v17, v25
	s_nop 1
	v_mov_b32_dpp v17, v16 row_shl:8 row_mask:0xf bank_mask:0x3 bound_ctrl:1
	s_nop 1
	v_mov_b32_dpp v17, v16 row_shr:8 row_mask:0xf bank_mask:0xc bound_ctrl:1
	v_med3_f32 v16, v16, v17, v27
	s_nop 1
	v_mov_b32_dpp v17, v16 row_shl:4 row_mask:0xf bank_mask:0x5 bound_ctrl:1
	s_nop 1
	v_mov_b32_dpp v17, v16 row_shr:4 row_mask:0xf bank_mask:0xa bound_ctrl:1
	v_med3_f32 v16, v16, v17, v28
	s_nop 1
	v_mov_b32_dpp v17, v16 quad_perm:[2,3,0,1] row_mask:0xf bank_mask:0xf bound_ctrl:1
	v_med3_f32 v16, v16, v17, v12
	s_nop 1
	v_mov_b32_dpp v17, v16 quad_perm:[1,0,3,2] row_mask:0xf bank_mask:0xf bound_ctrl:1
	v_med3_f32 v16, v16, v17, v9
	v_lshlrev_b32_e32 v17, 1, v0
	v_bfi_b32 v18, 48, v17, v19
	v_or_b32_e32 v18, v6, v18
	v_lshlrev_b32_e32 v18, 2, v18
	ds_bpermute_b32 v20, v18, v20
	ds_bpermute_b32 v16, v18, v16
	v_xor_b32_e32 v17, v19, v17
	v_and_b32_e32 v17, 48, v17
	s_waitcnt lgkmcnt(0)
	v_cndmask_b32_e32 v16, v16, v20, vcc
	s_nop 1
	v_mov_b32_dpp v18, v16 row_shl:8 row_mask:0xf bank_mask:0x3 bound_ctrl:1
	v_cmp_eq_u32_e32 vcc, 0, v22
	s_nop 0
	v_mov_b32_dpp v18, v16 row_shr:8 row_mask:0xf bank_mask:0xc bound_ctrl:1
	v_med3_f32 v16, v16, v18, v27
	s_nop 1
	v_mov_b32_dpp v18, v16 row_shl:4 row_mask:0xf bank_mask:0x5 bound_ctrl:1
	s_nop 1
	v_mov_b32_dpp v18, v16 row_shr:4 row_mask:0xf bank_mask:0xa bound_ctrl:1
	v_med3_f32 v16, v16, v18, v28
	s_nop 1
	v_mov_b32_dpp v18, v16 quad_perm:[2,3,0,1] row_mask:0xf bank_mask:0xf bound_ctrl:1
	v_med3_f32 v16, v16, v18, v12
	s_nop 1
	v_mov_b32_dpp v18, v16 quad_perm:[1,0,3,2] row_mask:0xf bank_mask:0xf bound_ctrl:1
	v_med3_f32 v16, v16, v18, v9
	v_and_b32_e32 v18, 63, v0
	v_xor_b32_e32 v17, v17, v18
	v_or_b32_e32 v6, v6, v17
	v_lshlrev_b32_e32 v6, 2, v6
	ds_bpermute_b32 v16, v6, v16
	s_waitcnt lgkmcnt(0)
	s_nop 0
	v_mov_b32_dpp v17, v16 row_shl:8 row_mask:0xf bank_mask:0x3 bound_ctrl:1
	s_nop 1
	v_mov_b32_dpp v17, v16 row_shr:8 row_mask:0xf bank_mask:0xc bound_ctrl:1
	v_med3_f32 v16, v16, v17, v27
	s_nop 1
	v_mov_b32_dpp v17, v16 row_shl:4 row_mask:0xf bank_mask:0x5 bound_ctrl:1
	s_nop 1
	v_mov_b32_dpp v17, v16 row_shr:4 row_mask:0xf bank_mask:0xa bound_ctrl:1
	v_med3_f32 v16, v16, v17, v28
	s_nop 1
	v_mov_b32_dpp v17, v16 quad_perm:[2,3,0,1] row_mask:0xf bank_mask:0xf bound_ctrl:1
	v_med3_f32 v12, v16, v17, v12
	s_nop 1
	v_mov_b32_dpp v16, v12 quad_perm:[1,0,3,2] row_mask:0xf bank_mask:0xf bound_ctrl:1
	v_med3_f32 v9, v12, v16, v9
	ds_bpermute_b32 v6, v6, v9
	v_cndmask_b32_e32 v12, v2, v4, vcc
	v_cmp_eq_u32_e32 vcc, 0, v5
	v_cndmask_b32_e32 v2, v2, v4, vcc
	s_waitcnt lgkmcnt(0)
	v_mov_b32_dpp v9, v6 row_shl:8 row_mask:0xf bank_mask:0x3 bound_ctrl:1
	s_nop 1
	v_mov_b32_dpp v9, v6 row_shr:8 row_mask:0xf bank_mask:0xc bound_ctrl:1
	v_med3_f32 v6, v6, v9, v12
	s_nop 1
	v_mov_b32_dpp v9, v6 row_shl:4 row_mask:0xf bank_mask:0x5 bound_ctrl:1
	s_nop 1
	v_mov_b32_dpp v9, v6 row_shr:4 row_mask:0xf bank_mask:0xa bound_ctrl:1
	v_med3_f32 v2, v6, v9, v2
	s_nop 1
	v_mov_b32_dpp v4, v2 quad_perm:[2,3,0,1] row_mask:0xf bank_mask:0xf bound_ctrl:1
	v_med3_f32 v2, v2, v4, v10
	s_nop 1
	v_mov_b32_dpp v4, v2 quad_perm:[1,0,3,2] row_mask:0xf bank_mask:0xf bound_ctrl:1
	v_med3_f32 v2, v2, v4, v11
	ds_bpermute_b32 v2, v13, v2 offset:28
	v_lshlrev_b32_e32 v4, 2, v3
	v_and_b32_e32 v4, 0xc0, v4
	v_add_u32_e32 v5, -4, v4
	v_add_u32_e32 v10, 0xffffffbc, v4
	s_waitcnt lgkmcnt(0)
	v_cmp_gt_f32_e32 vcc, v15, v2
	v_cndmask_b32_e64 v6, 0, 1, vcc
	v_cmp_eq_f32_e64 s[8:9], v15, v2
	s_nop 0
	v_mov_b32_dpp v6, v6 row_shr:1 row_mask:0xf bank_mask:0xf bound_ctrl:1
	v_addc_co_u32_e64 v9, s[0:1], 0, v6, vcc
	s_nop 1
	v_mov_b32_dpp v9, v9 row_shr:2 row_mask:0xf bank_mask:0xf bound_ctrl:1
	v_addc_co_u32_e32 v6, vcc, v9, v6, vcc
	v_cmp_gt_f32_e32 vcc, v8, v2
	s_nop 0
	v_add_u32_dpp v6, v6, v6 row_shr:4 row_mask:0xf bank_mask:0xf bound_ctrl:1
	s_nop 1
	v_add_u32_dpp v6, v6, v6 row_shr:8 row_mask:0xf bank_mask:0xf bound_ctrl:1
	ds_bpermute_b32 v9, v5, v6
	s_waitcnt lgkmcnt(0)
	v_cndmask_b32_e64 v4, 0, v9, s[2:3]
	v_cndmask_b32_e64 v9, 0, 1, vcc
	v_add_u32_e32 v4, v4, v6
	ds_bpermute_b32 v6, v10, v4
	v_mov_b32_dpp v9, v9 row_shr:1 row_mask:0xf bank_mask:0xf bound_ctrl:1
	v_addc_co_u32_e64 v11, s[0:1], 0, v9, vcc
	s_nop 1
	v_mov_b32_dpp v11, v11 row_shr:2 row_mask:0xf bank_mask:0xf bound_ctrl:1
	v_addc_co_u32_e32 v9, vcc, v11, v9, vcc
	v_cmp_lt_u32_e32 vcc, 31, v3
	s_nop 0
	v_add_u32_dpp v9, v9, v9 row_shr:4 row_mask:0xf bank_mask:0xf bound_ctrl:1
	s_waitcnt lgkmcnt(0)
	v_cndmask_b32_e32 v3, 0, v6, vcc
	v_add_u32_e32 v13, v4, v3
	v_add_u32_dpp v9, v9, v9 row_shr:8 row_mask:0xf bank_mask:0xf bound_ctrl:1
	ds_bpermute_b32 v11, v5, v9
	s_waitcnt lgkmcnt(0)
	v_cndmask_b32_e64 v6, 0, v11, s[2:3]
	v_cndmask_b32_e64 v11, 0, 1, s[8:9]
	v_add_u32_e32 v6, v6, v9
	ds_bpermute_b32 v9, v10, v6
	v_mov_b32_dpp v11, v11 row_shr:1 row_mask:0xf bank_mask:0xf bound_ctrl:1
	v_addc_co_u32_e64 v12, s[0:1], 0, v11, s[8:9]
	s_waitcnt lgkmcnt(0)
	v_cndmask_b32_e32 v3, 0, v9, vcc
	v_mov_b32_dpp v12, v12 row_shr:2 row_mask:0xf bank_mask:0xf bound_ctrl:1
	v_addc_co_u32_e64 v11, s[0:1], v12, v11, s[8:9]
	v_readlane_b32 s0, v13, 63
	s_nop 0
	v_add_u32_dpp v11, v11, v11 row_shr:4 row_mask:0xf bank_mask:0xf bound_ctrl:1
	v_add3_u32 v3, v6, s0, v3
	v_cmp_eq_f32_e64 s[0:1], v8, v2
	v_add_u32_dpp v11, v11, v11 row_shr:8 row_mask:0xf bank_mask:0xf bound_ctrl:1
	ds_bpermute_b32 v12, v5, v11
	v_cndmask_b32_e64 v9, 0, 1, s[0:1]
	s_waitcnt lgkmcnt(0)
	v_cndmask_b32_e64 v4, 0, v12, s[2:3]
	v_mov_b32_dpp v9, v9 row_shr:1 row_mask:0xf bank_mask:0xf bound_ctrl:1
	v_add_u32_e32 v4, v4, v11
	v_addc_co_u32_e64 v11, s[10:11], 0, v9, s[0:1]
	ds_bpermute_b32 v6, v10, v4
	s_nop 0
	v_mov_b32_dpp v11, v11 row_shr:2 row_mask:0xf bank_mask:0xf bound_ctrl:1
	v_addc_co_u32_e64 v9, s[10:11], v11, v9, s[0:1]
	v_readlane_b32 s10, v3, 63
	s_nop 0
	v_add_u32_dpp v9, v9, v9 row_shr:4 row_mask:0xf bank_mask:0xf bound_ctrl:1
	s_waitcnt lgkmcnt(0)
	v_cndmask_b32_e32 v6, 0, v6, vcc
	v_add3_u32 v6, v4, s10, v6
	v_add_u32_dpp v9, v9, v9 row_shr:8 row_mask:0xf bank_mask:0xf bound_ctrl:1
	ds_bpermute_b32 v5, v5, v9
	v_readlane_b32 s10, v6, 63
	v_cndmask_b32_e64 v6, v13, v6, s[8:9]
	v_cmp_ge_i32_e64 s[8:9], s17, v6
	s_waitcnt lgkmcnt(0)
	v_cndmask_b32_e64 v4, 0, v5, s[2:3]
	v_add_u32_e32 v4, v4, v9
	ds_bpermute_b32 v5, v10, v4
	v_cmp_ge_f32_e64 s[2:3], v15, v2
	s_and_b64 s[8:9], s[2:3], s[8:9]
	s_and_saveexec_b64 s[2:3], s[8:9]
	s_cbranch_execz .LBB98_4
; %bb.3:
	v_lshl_add_u32 v6, v6, 2, -4
	v_add_u32_e32 v9, s16, v6
	v_add_u32_e32 v6, s13, v6
	ds_write_b32 v6, v14
	ds_write_b32 v9, v15
.LBB98_4:
	s_or_b64 exec, exec, s[2:3]
	s_waitcnt lgkmcnt(0)
	v_cndmask_b32_e32 v5, 0, v5, vcc
	v_add3_u32 v4, v4, s10, v5
	v_cndmask_b32_e64 v3, v3, v4, s[0:1]
	v_cmp_ge_f32_e32 vcc, v8, v2
	v_cmp_ge_i32_e64 s[0:1], s17, v3
	s_and_b64 s[2:3], vcc, s[0:1]
	s_and_saveexec_b64 s[0:1], s[2:3]
	s_cbranch_execz .LBB98_6
; %bb.5:
	v_lshl_add_u32 v2, v3, 2, -4
	v_add_u32_e32 v3, s16, v2
	v_add_u32_e32 v2, s13, v2
	ds_write_b32 v2, v7
	ds_write_b32 v3, v8
.LBB98_6:
	s_or_b64 exec, exec, s[0:1]
	v_cmp_gt_u32_e32 vcc, s17, v0
	s_waitcnt lgkmcnt(0)
	s_barrier
	s_and_saveexec_b64 s[0:1], vcc
	s_cbranch_execz .LBB98_8
; %bb.7:
	v_add_u32_e32 v0, s7, v1
	ds_read_b32 v2, v0 offset:64
	v_mov_b32_e32 v0, s15
	s_load_dwordx2 s[8:9], s[4:5], 0x20
	s_waitcnt lgkmcnt(0)
	v_ashrrev_i32_e32 v3, 31, v2
	v_lshlrev_b64 v[4:5], 1, v[2:3]
	v_add_co_u32_e32 v4, vcc, s14, v4
	v_addc_co_u32_e32 v5, vcc, v0, v5, vcc
	global_load_ushort v0, v[4:5], off
	v_add_u32_e32 v3, s12, v1
	ds_read_b32 v3, v3 offset:64
	s_load_dwordx4 s[0:3], s[4:5], 0x10
	s_load_dword s7, s[4:5], 0x38
	s_ashr_i32 s4, s6, 31
	s_mul_i32 s5, s6, s9
	s_mul_hi_u32 s9, s6, s8
	s_mul_i32 s10, s4, s8
	s_add_i32 s5, s9, s5
	s_mul_i32 s4, s6, s8
	s_add_i32 s5, s5, s10
	s_lshl_b64 s[4:5], s[4:5], 2
	s_waitcnt lgkmcnt(0)
	s_add_u32 s0, s0, s4
	s_addc_u32 s1, s1, s5
	s_add_u32 s2, s2, s4
	s_addc_u32 s3, s3, s5
	s_waitcnt vmcnt(0)
	v_cvt_f32_f16_e32 v0, v0
	v_sub_f32_e32 v0, v3, v0
	s_nop 1
	v_mov_b32_dpp v3, v0 quad_perm:[1,0,3,2] row_mask:0xf bank_mask:0xf
	v_add_f32_e32 v3, v0, v3
	v_mul_f32_e32 v0, s7, v0
	s_nop 0
	v_mov_b32_dpp v4, v3 quad_perm:[2,3,0,1] row_mask:0xf bank_mask:0xf
	v_add_f32_e32 v3, v3, v4
	s_nop 1
	v_mov_b32_dpp v4, v3 row_half_mirror row_mask:0xf bank_mask:0xf
	v_add_f32_e32 v3, v3, v4
	v_rcp_f32_e32 v3, v3
	v_mul_f32_e32 v0, v0, v3
	global_store_dword v1, v0, s[0:1]
	global_store_dword v1, v2, s[2:3]
.LBB98_8:
	s_endpgm
	.section	.rodata,"a",@progbits
	.p2align	6, 0x0
	.amdhsa_kernel _ZN5aiter28grouped_topk_opt_sort_kernelIN3c104HalfEDv2_fLi8ELb1ELb1ELb0EEEvPT_PKS4_PfPimiiiif
		.amdhsa_group_segment_fixed_size 0
		.amdhsa_private_segment_fixed_size 0
		.amdhsa_kernarg_size 60
		.amdhsa_user_sgpr_count 6
		.amdhsa_user_sgpr_private_segment_buffer 1
		.amdhsa_user_sgpr_dispatch_ptr 0
		.amdhsa_user_sgpr_queue_ptr 0
		.amdhsa_user_sgpr_kernarg_segment_ptr 1
		.amdhsa_user_sgpr_dispatch_id 0
		.amdhsa_user_sgpr_flat_scratch_init 0
		.amdhsa_user_sgpr_kernarg_preload_length 0
		.amdhsa_user_sgpr_kernarg_preload_offset 0
		.amdhsa_user_sgpr_private_segment_size 0
		.amdhsa_uses_dynamic_stack 0
		.amdhsa_system_sgpr_private_segment_wavefront_offset 0
		.amdhsa_system_sgpr_workgroup_id_x 1
		.amdhsa_system_sgpr_workgroup_id_y 0
		.amdhsa_system_sgpr_workgroup_id_z 0
		.amdhsa_system_sgpr_workgroup_info 0
		.amdhsa_system_vgpr_workitem_id 0
		.amdhsa_next_free_vgpr 29
		.amdhsa_next_free_sgpr 20
		.amdhsa_accum_offset 32
		.amdhsa_reserve_vcc 1
		.amdhsa_reserve_flat_scratch 0
		.amdhsa_float_round_mode_32 0
		.amdhsa_float_round_mode_16_64 0
		.amdhsa_float_denorm_mode_32 3
		.amdhsa_float_denorm_mode_16_64 3
		.amdhsa_dx10_clamp 1
		.amdhsa_ieee_mode 1
		.amdhsa_fp16_overflow 0
		.amdhsa_tg_split 0
		.amdhsa_exception_fp_ieee_invalid_op 0
		.amdhsa_exception_fp_denorm_src 0
		.amdhsa_exception_fp_ieee_div_zero 0
		.amdhsa_exception_fp_ieee_overflow 0
		.amdhsa_exception_fp_ieee_underflow 0
		.amdhsa_exception_fp_ieee_inexact 0
		.amdhsa_exception_int_div_zero 0
	.end_amdhsa_kernel
	.section	.text._ZN5aiter28grouped_topk_opt_sort_kernelIN3c104HalfEDv2_fLi8ELb1ELb1ELb0EEEvPT_PKS4_PfPimiiiif,"axG",@progbits,_ZN5aiter28grouped_topk_opt_sort_kernelIN3c104HalfEDv2_fLi8ELb1ELb1ELb0EEEvPT_PKS4_PfPimiiiif,comdat
.Lfunc_end98:
	.size	_ZN5aiter28grouped_topk_opt_sort_kernelIN3c104HalfEDv2_fLi8ELb1ELb1ELb0EEEvPT_PKS4_PfPimiiiif, .Lfunc_end98-_ZN5aiter28grouped_topk_opt_sort_kernelIN3c104HalfEDv2_fLi8ELb1ELb1ELb0EEEvPT_PKS4_PfPimiiiif
                                        ; -- End function
	.section	.AMDGPU.csdata,"",@progbits
; Kernel info:
; codeLenInByte = 2928
; NumSgprs: 24
; NumVgprs: 29
; NumAgprs: 0
; TotalNumVgprs: 29
; ScratchSize: 0
; MemoryBound: 0
; FloatMode: 240
; IeeeMode: 1
; LDSByteSize: 0 bytes/workgroup (compile time only)
; SGPRBlocks: 2
; VGPRBlocks: 3
; NumSGPRsForWavesPerEU: 24
; NumVGPRsForWavesPerEU: 29
; AccumOffset: 32
; Occupancy: 8
; WaveLimiterHint : 0
; COMPUTE_PGM_RSRC2:SCRATCH_EN: 0
; COMPUTE_PGM_RSRC2:USER_SGPR: 6
; COMPUTE_PGM_RSRC2:TRAP_HANDLER: 0
; COMPUTE_PGM_RSRC2:TGID_X_EN: 1
; COMPUTE_PGM_RSRC2:TGID_Y_EN: 0
; COMPUTE_PGM_RSRC2:TGID_Z_EN: 0
; COMPUTE_PGM_RSRC2:TIDIG_COMP_CNT: 0
; COMPUTE_PGM_RSRC3_GFX90A:ACCUM_OFFSET: 7
; COMPUTE_PGM_RSRC3_GFX90A:TG_SPLIT: 0
	.section	.text._ZN5aiter28grouped_topk_opt_sort_kernelIN3c108BFloat16EDv2_fLi8ELb1ELb1ELb0EEEvPT_PKS4_PfPimiiiif,"axG",@progbits,_ZN5aiter28grouped_topk_opt_sort_kernelIN3c108BFloat16EDv2_fLi8ELb1ELb1ELb0EEEvPT_PKS4_PfPimiiiif,comdat
	.protected	_ZN5aiter28grouped_topk_opt_sort_kernelIN3c108BFloat16EDv2_fLi8ELb1ELb1ELb0EEEvPT_PKS4_PfPimiiiif ; -- Begin function _ZN5aiter28grouped_topk_opt_sort_kernelIN3c108BFloat16EDv2_fLi8ELb1ELb1ELb0EEEvPT_PKS4_PfPimiiiif
	.globl	_ZN5aiter28grouped_topk_opt_sort_kernelIN3c108BFloat16EDv2_fLi8ELb1ELb1ELb0EEEvPT_PKS4_PfPimiiiif
	.p2align	8
	.type	_ZN5aiter28grouped_topk_opt_sort_kernelIN3c108BFloat16EDv2_fLi8ELb1ELb1ELb0EEEvPT_PKS4_PfPimiiiif,@function
_ZN5aiter28grouped_topk_opt_sort_kernelIN3c108BFloat16EDv2_fLi8ELb1ELb1ELb0EEEvPT_PKS4_PfPimiiiif: ; @_ZN5aiter28grouped_topk_opt_sort_kernelIN3c108BFloat16EDv2_fLi8ELb1ELb1ELb0EEEvPT_PKS4_PfPimiiiif
; %bb.0:
	s_load_dwordx4 s[16:19], s[4:5], 0x28
	s_load_dwordx4 s[12:15], s[4:5], 0x0
	v_lshlrev_b32_e32 v1, 2, v0
	v_bfe_u32 v12, v0, 1, 1
	v_and_b32_e32 v9, 1, v0
	s_waitcnt lgkmcnt(0)
	s_lshl_b32 s1, s16, 2
	s_mul_i32 s0, s6, s16
	s_add_i32 s7, s1, 0
	s_ashr_i32 s1, s0, 31
	s_lshl_b64 s[0:1], s[0:1], 1
	s_add_u32 s0, s12, s0
	s_addc_u32 s1, s13, s1
	global_load_dword v7, v1, s[0:1]
	global_load_dword v8, v1, s[14:15]
	s_mov_b32 s0, 0x652b82fe
	s_mov_b32 s1, 0xbff71547
	v_mov_b32_e32 v2, 0xff800000
	v_mov_b32_e32 v4, 0x7f800000
	v_bfe_u32 v5, v0, 2, 1
	v_cmp_eq_u32_e32 vcc, v9, v12
	v_cndmask_b32_e32 v16, v2, v4, vcc
	v_cmp_eq_u32_e32 vcc, v12, v5
	s_mov_b32 s2, 0xc2fc0000
	v_cndmask_b32_e32 v17, v2, v4, vcc
	v_cmp_eq_u32_e32 vcc, v9, v5
	v_mov_b32_e32 v13, 0x42800000
	v_cndmask_b32_e32 v18, v2, v4, vcc
	v_mov_b32_e32 v19, 0x1f800000
	v_and_b32_e32 v23, 4, v0
	s_mov_b32 s3, 0xff800000
	v_mbcnt_lo_u32_b32 v3, -1, 0
	v_mbcnt_hi_u32_b32 v3, -1, v3
	v_lshlrev_b32_e32 v22, 3, v0
	v_and_b32_e32 v6, 64, v3
	s_waitcnt vmcnt(1)
	v_and_b32_e32 v14, 0xffff, v7
	v_lshrrev_b32_e32 v7, 16, v7
	v_cvt_f64_u32_e32 v[14:15], v14
	v_cvt_f64_u32_e32 v[20:21], v7
	v_mul_f64 v[14:15], v[14:15], s[0:1]
	v_mul_f64 v[20:21], v[20:21], s[0:1]
	s_waitcnt vmcnt(0)
	v_cvt_f32_u32_sdwa v11, v8 dst_sel:DWORD dst_unused:UNUSED_PAD src0_sel:WORD_1
	v_cvt_f32_u32_sdwa v10, v8 dst_sel:DWORD dst_unused:UNUSED_PAD src0_sel:WORD_0
	v_cvt_f32_f64_e32 v7, v[14:15]
	v_cvt_f32_f64_e32 v8, v[20:21]
	v_cmp_gt_f32_e32 vcc, s2, v7
	v_cmp_gt_f32_e64 s[0:1], s2, v8
	v_cndmask_b32_e32 v14, 0, v13, vcc
	v_cndmask_b32_e64 v13, 0, v13, s[0:1]
	v_add_f32_e32 v7, v7, v14
	v_add_f32_e32 v8, v8, v13
	v_exp_f32_e32 v7, v7
	v_exp_f32_e32 v8, v8
	v_cndmask_b32_e32 v13, 1.0, v19, vcc
	v_cndmask_b32_e64 v14, 1.0, v19, s[0:1]
	v_fma_f32 v7, v7, v13, 1.0
	v_fma_f32 v8, v8, v14, 1.0
	v_rcp_f32_e32 v14, v7
	v_rcp_f32_e32 v15, v8
	v_cmp_eq_u32_e32 vcc, 0, v23
	v_cndmask_b32_e32 v7, v2, v4, vcc
	v_and_or_b32 v8, v22, 56, v6
	v_pk_add_f32 v[10:11], v[14:15], v[10:11]
	v_cmp_o_f32_e32 vcc, v11, v11
	v_cndmask_b32_e32 v15, v2, v11, vcc
	v_cmp_o_f32_e32 vcc, v10, v10
	v_cndmask_b32_e32 v14, v2, v10, vcc
	v_med3_f32 v10, v15, v14, s3
	v_max_f32_e32 v11, v15, v14
	v_lshlrev_b32_e32 v8, 2, v8
	v_mov_b32_dpp v19, v10 quad_perm:[1,0,3,2] row_mask:0xf bank_mask:0xf bound_ctrl:1
	v_max_f32_e32 v19, v19, v19
	v_mov_b32_dpp v13, v11 quad_perm:[1,0,3,2] row_mask:0xf bank_mask:0xf bound_ctrl:1
	v_max_f32_e32 v10, v19, v10
	v_med3_f32 v10, v13, v11, v10
	v_max_f32_e32 v20, v13, v13
	v_max_f32_e32 v19, v20, v11
	v_mov_b32_dpp v13, v10 quad_perm:[2,3,0,1] row_mask:0xf bank_mask:0xf bound_ctrl:1
	v_max_f32_e32 v13, v13, v13
	v_mov_b32_dpp v11, v19 quad_perm:[2,3,0,1] row_mask:0xf bank_mask:0xf bound_ctrl:1
	v_max_f32_e32 v10, v13, v10
	v_max_f32_e32 v20, v11, v11
	v_med3_f32 v10, v11, v19, v10
	v_max_f32_e32 v20, v20, v19
	v_cmp_eq_u32_e32 vcc, 0, v12
	v_mov_b32_dpp v19, v10 row_half_mirror row_mask:0xf bank_mask:0xf bound_ctrl:1
	v_mov_b32_dpp v13, v20 row_half_mirror row_mask:0xf bank_mask:0xf bound_ctrl:1
	v_max_f32_e32 v19, v19, v19
	v_max_f32_e32 v11, v13, v13
	;; [unrolled: 1-line block ×4, first 2 shown]
	v_med3_f32 v10, v13, v20, v10
	v_add_f32_e32 v10, v11, v10
	ds_bpermute_b32 v8, v8, v10
	v_cndmask_b32_e32 v10, v2, v4, vcc
	v_cmp_eq_u32_e32 vcc, 0, v9
	v_cndmask_b32_e32 v11, v2, v4, vcc
	v_lshlrev_b32_e32 v13, 2, v6
	s_waitcnt lgkmcnt(0)
	v_mov_b32_dpp v19, v8 quad_perm:[1,0,3,2] row_mask:0xf bank_mask:0xf bound_ctrl:1
	v_med3_f32 v19, v8, v19, v16
	s_nop 1
	v_mov_b32_dpp v20, v19 quad_perm:[2,3,0,1] row_mask:0xf bank_mask:0xf bound_ctrl:1
	v_med3_f32 v19, v19, v20, v17
	s_nop 1
	;; [unrolled: 3-line block ×3, first 2 shown]
	v_mov_b32_dpp v20, v19 row_shl:4 row_mask:0xf bank_mask:0x5 bound_ctrl:1
	s_nop 1
	v_mov_b32_dpp v20, v19 row_shr:4 row_mask:0xf bank_mask:0xa bound_ctrl:1
	v_med3_f32 v7, v19, v20, v7
	v_bfe_i32 v20, v3, 3, 1
	s_nop 0
	v_mov_b32_dpp v19, v7 quad_perm:[2,3,0,1] row_mask:0xf bank_mask:0xf bound_ctrl:1
	v_med3_f32 v7, v7, v19, v10
	s_nop 1
	v_mov_b32_dpp v19, v7 quad_perm:[1,0,3,2] row_mask:0xf bank_mask:0xf bound_ctrl:1
	v_med3_f32 v7, v7, v19, v11
	ds_bpermute_b32 v7, v13, v7 offset:12
	v_add_u32_e32 v19, 0, v22
	ds_write_b64 v19, v[14:15]
	s_waitcnt lgkmcnt(1)
	v_cmp_gt_f32_e32 vcc, v8, v7
	v_cndmask_b32_e64 v14, 0, 1, vcc
	v_cmp_eq_f32_e64 s[0:1], v8, v7
	v_cmp_ge_f32_e64 s[2:3], v8, v7
	v_mov_b32_dpp v7, v14 row_shr:1 row_mask:0xf bank_mask:0xf bound_ctrl:1
	v_addc_co_u32_e64 v14, s[8:9], 0, v7, vcc
	v_cndmask_b32_e64 v15, 0, 1, s[0:1]
	s_nop 0
	v_mov_b32_dpp v14, v14 row_shr:2 row_mask:0xf bank_mask:0xf bound_ctrl:1
	v_addc_co_u32_e32 v7, vcc, v14, v7, vcc
	v_mov_b32_dpp v8, v15 row_shr:1 row_mask:0xf bank_mask:0xf bound_ctrl:1
	v_addc_co_u32_e64 v15, s[8:9], 0, v8, s[0:1]
	v_add_u32_dpp v7, v7, v7 row_shr:4 row_mask:0xf bank_mask:0xf bound_ctrl:1
	s_nop 0
	v_mov_b32_dpp v15, v15 row_shr:2 row_mask:0xf bank_mask:0xf bound_ctrl:1
	v_addc_co_u32_e64 v8, vcc, v15, v8, s[0:1]
	v_add_u32_dpp v7, v7, v7 row_shr:8 row_mask:0xf bank_mask:0xf bound_ctrl:1
	s_nop 0
	v_add_u32_dpp v8, v8, v8 row_shr:4 row_mask:0xf bank_mask:0xf bound_ctrl:1
	v_and_b32_dpp v14, v7, v20 row_newbcast:7 row_mask:0xf bank_mask:0xf bound_ctrl:1
	v_sub_u32_e32 v7, v7, v14
	v_add_u32_dpp v8, v8, v8 row_shr:8 row_mask:0xf bank_mask:0xf bound_ctrl:1
	v_readlane_b32 s8, v7, 7
	s_nop 0
	v_and_b32_dpp v15, v8, v20 row_newbcast:7 row_mask:0xf bank_mask:0xf bound_ctrl:1
	v_add_u32_e32 v8, s8, v8
	v_sub_u32_e32 v8, v8, v15
	v_cndmask_b32_e64 v7, v7, v8, s[0:1]
	v_cmp_ge_i32_e32 vcc, s18, v7
	s_and_b64 s[0:1], s[2:3], vcc
	v_cmp_gt_u32_e32 vcc, 8, v0
	s_and_b64 s[2:3], vcc, s[0:1]
	s_and_saveexec_b64 s[0:1], s[2:3]
	s_cbranch_execz .LBB99_2
; %bb.1:
	v_lshl_add_u32 v7, v7, 2, s7
	ds_write_b32 v7, v0 offset:28
.LBB99_2:
	s_or_b64 exec, exec, s[0:1]
	v_lshrrev_b32_e32 v7, 3, v0
	v_and_b32_e32 v7, 0x7c, v7
	v_add_u32_e32 v7, s7, v7
	s_waitcnt lgkmcnt(0)
	s_barrier
	ds_read_b32 v7, v7 offset:32
	v_add_u32_e32 v8, 64, v0
	v_and_b32_e32 v19, 31, v0
	v_lshrrev_b32_e32 v8, 3, v8
	v_and_b32_e32 v8, 0xfc, v8
	s_waitcnt lgkmcnt(0)
	v_lshl_or_b32 v14, v7, 5, v19
	v_add_u32_e32 v8, s7, v8
	v_lshl_add_u32 v7, v14, 2, 0
	ds_read_b32 v8, v8 offset:32
	ds_read_b32 v15, v7
	v_bfe_u32 v22, v0, 3, 1
	v_cmp_eq_u32_e32 vcc, v5, v22
	v_cndmask_b32_e32 v23, v2, v4, vcc
	v_cmp_eq_u32_e32 vcc, v12, v22
	s_waitcnt lgkmcnt(0)
	v_mov_b32_dpp v20, v15 quad_perm:[1,0,3,2] row_mask:0xf bank_mask:0xf bound_ctrl:1
	v_med3_f32 v20, v15, v20, v16
	v_cndmask_b32_e32 v24, v2, v4, vcc
	v_cmp_eq_u32_e32 vcc, v9, v22
	v_mov_b32_dpp v21, v20 quad_perm:[2,3,0,1] row_mask:0xf bank_mask:0xf bound_ctrl:1
	v_med3_f32 v20, v20, v21, v17
	v_cndmask_b32_e32 v25, v2, v4, vcc
	v_bfe_u32 v26, v0, 4, 1
	v_mov_b32_dpp v21, v20 quad_perm:[1,0,3,2] row_mask:0xf bank_mask:0xf bound_ctrl:1
	v_med3_f32 v20, v20, v21, v18
	v_cmp_eq_u32_e32 vcc, v22, v26
	v_cndmask_b32_e32 v27, v2, v4, vcc
	v_mov_b32_dpp v21, v20 row_shl:4 row_mask:0xf bank_mask:0x5 bound_ctrl:1
	v_lshl_or_b32 v7, v8, 5, v19
	v_lshl_add_u32 v8, v7, 2, 0
	v_mov_b32_dpp v21, v20 row_shr:4 row_mask:0xf bank_mask:0xa bound_ctrl:1
	v_med3_f32 v20, v20, v21, v23
	v_cmp_eq_u32_e32 vcc, v5, v26
	ds_read_b32 v8, v8
	v_mov_b32_dpp v21, v20 quad_perm:[2,3,0,1] row_mask:0xf bank_mask:0xf bound_ctrl:1
	v_med3_f32 v20, v20, v21, v24
	v_cndmask_b32_e32 v28, v2, v4, vcc
	v_cmp_eq_u32_e32 vcc, v12, v26
	v_mov_b32_dpp v21, v20 quad_perm:[1,0,3,2] row_mask:0xf bank_mask:0xf bound_ctrl:1
	v_med3_f32 v20, v20, v21, v25
	v_cndmask_b32_e32 v12, v2, v4, vcc
	v_cmp_eq_u32_e32 vcc, v9, v26
	v_mov_b32_dpp v21, v20 row_shl:8 row_mask:0xf bank_mask:0x3 bound_ctrl:1
	v_cndmask_b32_e32 v9, v2, v4, vcc
	v_cmp_gt_u32_e32 vcc, 32, v0
	v_mov_b32_dpp v21, v20 row_shr:8 row_mask:0xf bank_mask:0xc bound_ctrl:1
	v_med3_f32 v20, v20, v21, v27
	v_cmp_lt_u32_e64 s[2:3], 15, v3
	s_lshl_b32 s8, s17, 2
	v_mov_b32_dpp v21, v20 row_shl:4 row_mask:0xf bank_mask:0x5 bound_ctrl:1
	s_add_i32 s12, s7, s8
	s_add_i32 s13, s7, 64
	v_mov_b32_dpp v21, v20 row_shr:4 row_mask:0xf bank_mask:0xa bound_ctrl:1
	v_med3_f32 v20, v20, v21, v28
	s_add_i32 s16, s12, 64
	s_nop 0
	v_mov_b32_dpp v21, v20 quad_perm:[2,3,0,1] row_mask:0xf bank_mask:0xf bound_ctrl:1
	v_med3_f32 v20, v20, v21, v12
	s_nop 1
	v_mov_b32_dpp v21, v20 quad_perm:[1,0,3,2] row_mask:0xf bank_mask:0xf bound_ctrl:1
	v_med3_f32 v20, v20, v21, v9
	s_waitcnt lgkmcnt(0)
	v_mov_b32_dpp v21, v8 quad_perm:[1,0,3,2] row_mask:0xf bank_mask:0xf bound_ctrl:1
	v_med3_f32 v16, v8, v21, v16
	s_nop 1
	v_mov_b32_dpp v21, v16 quad_perm:[2,3,0,1] row_mask:0xf bank_mask:0xf bound_ctrl:1
	v_med3_f32 v16, v16, v21, v17
	s_nop 1
	;; [unrolled: 3-line block ×3, first 2 shown]
	v_mov_b32_dpp v17, v16 row_shl:4 row_mask:0xf bank_mask:0x5 bound_ctrl:1
	s_nop 1
	v_mov_b32_dpp v17, v16 row_shr:4 row_mask:0xf bank_mask:0xa bound_ctrl:1
	v_med3_f32 v16, v16, v17, v23
	s_nop 1
	v_mov_b32_dpp v17, v16 quad_perm:[2,3,0,1] row_mask:0xf bank_mask:0xf bound_ctrl:1
	v_med3_f32 v16, v16, v17, v24
	s_nop 1
	v_mov_b32_dpp v17, v16 quad_perm:[1,0,3,2] row_mask:0xf bank_mask:0xf bound_ctrl:1
	v_med3_f32 v16, v16, v17, v25
	s_nop 1
	v_mov_b32_dpp v17, v16 row_shl:8 row_mask:0xf bank_mask:0x3 bound_ctrl:1
	s_nop 1
	v_mov_b32_dpp v17, v16 row_shr:8 row_mask:0xf bank_mask:0xc bound_ctrl:1
	v_med3_f32 v16, v16, v17, v27
	s_nop 1
	v_mov_b32_dpp v17, v16 row_shl:4 row_mask:0xf bank_mask:0x5 bound_ctrl:1
	s_nop 1
	v_mov_b32_dpp v17, v16 row_shr:4 row_mask:0xf bank_mask:0xa bound_ctrl:1
	v_med3_f32 v16, v16, v17, v28
	s_nop 1
	v_mov_b32_dpp v17, v16 quad_perm:[2,3,0,1] row_mask:0xf bank_mask:0xf bound_ctrl:1
	v_med3_f32 v16, v16, v17, v12
	s_nop 1
	v_mov_b32_dpp v17, v16 quad_perm:[1,0,3,2] row_mask:0xf bank_mask:0xf bound_ctrl:1
	v_med3_f32 v16, v16, v17, v9
	v_lshlrev_b32_e32 v17, 1, v0
	v_bfi_b32 v18, 48, v17, v19
	v_or_b32_e32 v18, v6, v18
	v_lshlrev_b32_e32 v18, 2, v18
	ds_bpermute_b32 v20, v18, v20
	ds_bpermute_b32 v16, v18, v16
	v_xor_b32_e32 v17, v19, v17
	v_and_b32_e32 v17, 48, v17
	s_waitcnt lgkmcnt(0)
	v_cndmask_b32_e32 v16, v16, v20, vcc
	s_nop 1
	v_mov_b32_dpp v18, v16 row_shl:8 row_mask:0xf bank_mask:0x3 bound_ctrl:1
	v_cmp_eq_u32_e32 vcc, 0, v22
	s_nop 0
	v_mov_b32_dpp v18, v16 row_shr:8 row_mask:0xf bank_mask:0xc bound_ctrl:1
	v_med3_f32 v16, v16, v18, v27
	s_nop 1
	v_mov_b32_dpp v18, v16 row_shl:4 row_mask:0xf bank_mask:0x5 bound_ctrl:1
	s_nop 1
	v_mov_b32_dpp v18, v16 row_shr:4 row_mask:0xf bank_mask:0xa bound_ctrl:1
	v_med3_f32 v16, v16, v18, v28
	s_nop 1
	v_mov_b32_dpp v18, v16 quad_perm:[2,3,0,1] row_mask:0xf bank_mask:0xf bound_ctrl:1
	v_med3_f32 v16, v16, v18, v12
	s_nop 1
	v_mov_b32_dpp v18, v16 quad_perm:[1,0,3,2] row_mask:0xf bank_mask:0xf bound_ctrl:1
	v_med3_f32 v16, v16, v18, v9
	v_and_b32_e32 v18, 63, v0
	v_xor_b32_e32 v17, v17, v18
	v_or_b32_e32 v6, v6, v17
	v_lshlrev_b32_e32 v6, 2, v6
	ds_bpermute_b32 v16, v6, v16
	s_waitcnt lgkmcnt(0)
	s_nop 0
	v_mov_b32_dpp v17, v16 row_shl:8 row_mask:0xf bank_mask:0x3 bound_ctrl:1
	s_nop 1
	v_mov_b32_dpp v17, v16 row_shr:8 row_mask:0xf bank_mask:0xc bound_ctrl:1
	v_med3_f32 v16, v16, v17, v27
	s_nop 1
	v_mov_b32_dpp v17, v16 row_shl:4 row_mask:0xf bank_mask:0x5 bound_ctrl:1
	s_nop 1
	v_mov_b32_dpp v17, v16 row_shr:4 row_mask:0xf bank_mask:0xa bound_ctrl:1
	v_med3_f32 v16, v16, v17, v28
	s_nop 1
	v_mov_b32_dpp v17, v16 quad_perm:[2,3,0,1] row_mask:0xf bank_mask:0xf bound_ctrl:1
	v_med3_f32 v12, v16, v17, v12
	s_nop 1
	v_mov_b32_dpp v16, v12 quad_perm:[1,0,3,2] row_mask:0xf bank_mask:0xf bound_ctrl:1
	v_med3_f32 v9, v12, v16, v9
	ds_bpermute_b32 v6, v6, v9
	v_cndmask_b32_e32 v12, v2, v4, vcc
	v_cmp_eq_u32_e32 vcc, 0, v5
	v_cndmask_b32_e32 v2, v2, v4, vcc
	s_waitcnt lgkmcnt(0)
	v_mov_b32_dpp v9, v6 row_shl:8 row_mask:0xf bank_mask:0x3 bound_ctrl:1
	s_nop 1
	v_mov_b32_dpp v9, v6 row_shr:8 row_mask:0xf bank_mask:0xc bound_ctrl:1
	v_med3_f32 v6, v6, v9, v12
	s_nop 1
	v_mov_b32_dpp v9, v6 row_shl:4 row_mask:0xf bank_mask:0x5 bound_ctrl:1
	s_nop 1
	v_mov_b32_dpp v9, v6 row_shr:4 row_mask:0xf bank_mask:0xa bound_ctrl:1
	v_med3_f32 v2, v6, v9, v2
	s_nop 1
	v_mov_b32_dpp v4, v2 quad_perm:[2,3,0,1] row_mask:0xf bank_mask:0xf bound_ctrl:1
	v_med3_f32 v2, v2, v4, v10
	s_nop 1
	v_mov_b32_dpp v4, v2 quad_perm:[1,0,3,2] row_mask:0xf bank_mask:0xf bound_ctrl:1
	v_med3_f32 v2, v2, v4, v11
	ds_bpermute_b32 v2, v13, v2 offset:28
	v_lshlrev_b32_e32 v4, 2, v3
	v_and_b32_e32 v4, 0xc0, v4
	v_add_u32_e32 v5, -4, v4
	v_add_u32_e32 v10, 0xffffffbc, v4
	s_waitcnt lgkmcnt(0)
	v_cmp_gt_f32_e32 vcc, v15, v2
	v_cndmask_b32_e64 v6, 0, 1, vcc
	v_cmp_eq_f32_e64 s[8:9], v15, v2
	s_nop 0
	v_mov_b32_dpp v6, v6 row_shr:1 row_mask:0xf bank_mask:0xf bound_ctrl:1
	v_addc_co_u32_e64 v9, s[0:1], 0, v6, vcc
	s_nop 1
	v_mov_b32_dpp v9, v9 row_shr:2 row_mask:0xf bank_mask:0xf bound_ctrl:1
	v_addc_co_u32_e32 v6, vcc, v9, v6, vcc
	v_cmp_gt_f32_e32 vcc, v8, v2
	s_nop 0
	v_add_u32_dpp v6, v6, v6 row_shr:4 row_mask:0xf bank_mask:0xf bound_ctrl:1
	s_nop 1
	v_add_u32_dpp v6, v6, v6 row_shr:8 row_mask:0xf bank_mask:0xf bound_ctrl:1
	ds_bpermute_b32 v9, v5, v6
	s_waitcnt lgkmcnt(0)
	v_cndmask_b32_e64 v4, 0, v9, s[2:3]
	v_cndmask_b32_e64 v9, 0, 1, vcc
	v_add_u32_e32 v4, v4, v6
	ds_bpermute_b32 v6, v10, v4
	v_mov_b32_dpp v9, v9 row_shr:1 row_mask:0xf bank_mask:0xf bound_ctrl:1
	v_addc_co_u32_e64 v11, s[0:1], 0, v9, vcc
	s_nop 1
	v_mov_b32_dpp v11, v11 row_shr:2 row_mask:0xf bank_mask:0xf bound_ctrl:1
	v_addc_co_u32_e32 v9, vcc, v11, v9, vcc
	v_cmp_lt_u32_e32 vcc, 31, v3
	s_nop 0
	v_add_u32_dpp v9, v9, v9 row_shr:4 row_mask:0xf bank_mask:0xf bound_ctrl:1
	s_waitcnt lgkmcnt(0)
	v_cndmask_b32_e32 v3, 0, v6, vcc
	v_add_u32_e32 v13, v4, v3
	v_add_u32_dpp v9, v9, v9 row_shr:8 row_mask:0xf bank_mask:0xf bound_ctrl:1
	ds_bpermute_b32 v11, v5, v9
	s_waitcnt lgkmcnt(0)
	v_cndmask_b32_e64 v6, 0, v11, s[2:3]
	v_cndmask_b32_e64 v11, 0, 1, s[8:9]
	v_add_u32_e32 v6, v6, v9
	ds_bpermute_b32 v9, v10, v6
	v_mov_b32_dpp v11, v11 row_shr:1 row_mask:0xf bank_mask:0xf bound_ctrl:1
	v_addc_co_u32_e64 v12, s[0:1], 0, v11, s[8:9]
	s_waitcnt lgkmcnt(0)
	v_cndmask_b32_e32 v3, 0, v9, vcc
	v_mov_b32_dpp v12, v12 row_shr:2 row_mask:0xf bank_mask:0xf bound_ctrl:1
	v_addc_co_u32_e64 v11, s[0:1], v12, v11, s[8:9]
	v_readlane_b32 s0, v13, 63
	s_nop 0
	v_add_u32_dpp v11, v11, v11 row_shr:4 row_mask:0xf bank_mask:0xf bound_ctrl:1
	v_add3_u32 v3, v6, s0, v3
	v_cmp_eq_f32_e64 s[0:1], v8, v2
	v_add_u32_dpp v11, v11, v11 row_shr:8 row_mask:0xf bank_mask:0xf bound_ctrl:1
	ds_bpermute_b32 v12, v5, v11
	v_cndmask_b32_e64 v9, 0, 1, s[0:1]
	s_waitcnt lgkmcnt(0)
	v_cndmask_b32_e64 v4, 0, v12, s[2:3]
	v_mov_b32_dpp v9, v9 row_shr:1 row_mask:0xf bank_mask:0xf bound_ctrl:1
	v_add_u32_e32 v4, v4, v11
	v_addc_co_u32_e64 v11, s[10:11], 0, v9, s[0:1]
	ds_bpermute_b32 v6, v10, v4
	s_nop 0
	v_mov_b32_dpp v11, v11 row_shr:2 row_mask:0xf bank_mask:0xf bound_ctrl:1
	v_addc_co_u32_e64 v9, s[10:11], v11, v9, s[0:1]
	v_readlane_b32 s10, v3, 63
	s_nop 0
	v_add_u32_dpp v9, v9, v9 row_shr:4 row_mask:0xf bank_mask:0xf bound_ctrl:1
	s_waitcnt lgkmcnt(0)
	v_cndmask_b32_e32 v6, 0, v6, vcc
	v_add3_u32 v6, v4, s10, v6
	v_add_u32_dpp v9, v9, v9 row_shr:8 row_mask:0xf bank_mask:0xf bound_ctrl:1
	ds_bpermute_b32 v5, v5, v9
	v_readlane_b32 s10, v6, 63
	v_cndmask_b32_e64 v6, v13, v6, s[8:9]
	v_cmp_ge_i32_e64 s[8:9], s17, v6
	s_waitcnt lgkmcnt(0)
	v_cndmask_b32_e64 v4, 0, v5, s[2:3]
	v_add_u32_e32 v4, v4, v9
	ds_bpermute_b32 v5, v10, v4
	v_cmp_ge_f32_e64 s[2:3], v15, v2
	s_and_b64 s[8:9], s[2:3], s[8:9]
	s_and_saveexec_b64 s[2:3], s[8:9]
	s_cbranch_execz .LBB99_4
; %bb.3:
	v_lshl_add_u32 v6, v6, 2, -4
	v_add_u32_e32 v9, s16, v6
	v_add_u32_e32 v6, s13, v6
	ds_write_b32 v6, v14
	ds_write_b32 v9, v15
.LBB99_4:
	s_or_b64 exec, exec, s[2:3]
	s_waitcnt lgkmcnt(0)
	v_cndmask_b32_e32 v5, 0, v5, vcc
	v_add3_u32 v4, v4, s10, v5
	v_cndmask_b32_e64 v3, v3, v4, s[0:1]
	v_cmp_ge_f32_e32 vcc, v8, v2
	v_cmp_ge_i32_e64 s[0:1], s17, v3
	s_and_b64 s[2:3], vcc, s[0:1]
	s_and_saveexec_b64 s[0:1], s[2:3]
	s_cbranch_execz .LBB99_6
; %bb.5:
	v_lshl_add_u32 v2, v3, 2, -4
	v_add_u32_e32 v3, s16, v2
	v_add_u32_e32 v2, s13, v2
	ds_write_b32 v2, v7
	ds_write_b32 v3, v8
.LBB99_6:
	s_or_b64 exec, exec, s[0:1]
	v_cmp_gt_u32_e32 vcc, s17, v0
	s_waitcnt lgkmcnt(0)
	s_barrier
	s_and_saveexec_b64 s[0:1], vcc
	s_cbranch_execz .LBB99_8
; %bb.7:
	v_add_u32_e32 v0, s7, v1
	ds_read_b32 v2, v0 offset:64
	v_mov_b32_e32 v0, s15
	s_load_dwordx2 s[8:9], s[4:5], 0x20
	s_waitcnt lgkmcnt(0)
	v_ashrrev_i32_e32 v3, 31, v2
	v_lshlrev_b64 v[4:5], 1, v[2:3]
	v_add_co_u32_e32 v4, vcc, s14, v4
	v_addc_co_u32_e32 v5, vcc, v0, v5, vcc
	global_load_ushort v0, v[4:5], off
	v_add_u32_e32 v3, s12, v1
	ds_read_b32 v3, v3 offset:64
	s_load_dwordx4 s[0:3], s[4:5], 0x10
	s_load_dword s7, s[4:5], 0x38
	s_ashr_i32 s4, s6, 31
	s_mul_i32 s5, s6, s9
	s_mul_hi_u32 s9, s6, s8
	s_mul_i32 s10, s4, s8
	s_add_i32 s5, s9, s5
	s_mul_i32 s4, s6, s8
	s_add_i32 s5, s5, s10
	s_lshl_b64 s[4:5], s[4:5], 2
	s_waitcnt lgkmcnt(0)
	s_add_u32 s0, s0, s4
	s_addc_u32 s1, s1, s5
	s_add_u32 s2, s2, s4
	s_addc_u32 s3, s3, s5
	s_waitcnt vmcnt(0)
	v_lshrrev_b16_e32 v4, 8, v0
	v_and_b32_e32 v0, 0xff, v0
	v_lshlrev_b32_e32 v0, 16, v0
	v_lshl_or_b32 v0, v4, 24, v0
	v_sub_f32_e32 v0, v3, v0
	s_nop 1
	v_mov_b32_dpp v3, v0 quad_perm:[1,0,3,2] row_mask:0xf bank_mask:0xf
	v_add_f32_e32 v3, v0, v3
	v_mul_f32_e32 v0, s7, v0
	s_nop 0
	v_mov_b32_dpp v4, v3 quad_perm:[2,3,0,1] row_mask:0xf bank_mask:0xf
	v_add_f32_e32 v3, v3, v4
	s_nop 1
	v_mov_b32_dpp v4, v3 row_half_mirror row_mask:0xf bank_mask:0xf
	v_add_f32_e32 v3, v3, v4
	v_rcp_f32_e32 v3, v3
	v_mul_f32_e32 v0, v0, v3
	global_store_dword v1, v0, s[0:1]
	global_store_dword v1, v2, s[2:3]
.LBB99_8:
	s_endpgm
	.section	.rodata,"a",@progbits
	.p2align	6, 0x0
	.amdhsa_kernel _ZN5aiter28grouped_topk_opt_sort_kernelIN3c108BFloat16EDv2_fLi8ELb1ELb1ELb0EEEvPT_PKS4_PfPimiiiif
		.amdhsa_group_segment_fixed_size 0
		.amdhsa_private_segment_fixed_size 0
		.amdhsa_kernarg_size 60
		.amdhsa_user_sgpr_count 6
		.amdhsa_user_sgpr_private_segment_buffer 1
		.amdhsa_user_sgpr_dispatch_ptr 0
		.amdhsa_user_sgpr_queue_ptr 0
		.amdhsa_user_sgpr_kernarg_segment_ptr 1
		.amdhsa_user_sgpr_dispatch_id 0
		.amdhsa_user_sgpr_flat_scratch_init 0
		.amdhsa_user_sgpr_kernarg_preload_length 0
		.amdhsa_user_sgpr_kernarg_preload_offset 0
		.amdhsa_user_sgpr_private_segment_size 0
		.amdhsa_uses_dynamic_stack 0
		.amdhsa_system_sgpr_private_segment_wavefront_offset 0
		.amdhsa_system_sgpr_workgroup_id_x 1
		.amdhsa_system_sgpr_workgroup_id_y 0
		.amdhsa_system_sgpr_workgroup_id_z 0
		.amdhsa_system_sgpr_workgroup_info 0
		.amdhsa_system_vgpr_workitem_id 0
		.amdhsa_next_free_vgpr 29
		.amdhsa_next_free_sgpr 20
		.amdhsa_accum_offset 32
		.amdhsa_reserve_vcc 1
		.amdhsa_reserve_flat_scratch 0
		.amdhsa_float_round_mode_32 0
		.amdhsa_float_round_mode_16_64 0
		.amdhsa_float_denorm_mode_32 3
		.amdhsa_float_denorm_mode_16_64 3
		.amdhsa_dx10_clamp 1
		.amdhsa_ieee_mode 1
		.amdhsa_fp16_overflow 0
		.amdhsa_tg_split 0
		.amdhsa_exception_fp_ieee_invalid_op 0
		.amdhsa_exception_fp_denorm_src 0
		.amdhsa_exception_fp_ieee_div_zero 0
		.amdhsa_exception_fp_ieee_overflow 0
		.amdhsa_exception_fp_ieee_underflow 0
		.amdhsa_exception_fp_ieee_inexact 0
		.amdhsa_exception_int_div_zero 0
	.end_amdhsa_kernel
	.section	.text._ZN5aiter28grouped_topk_opt_sort_kernelIN3c108BFloat16EDv2_fLi8ELb1ELb1ELb0EEEvPT_PKS4_PfPimiiiif,"axG",@progbits,_ZN5aiter28grouped_topk_opt_sort_kernelIN3c108BFloat16EDv2_fLi8ELb1ELb1ELb0EEEvPT_PKS4_PfPimiiiif,comdat
.Lfunc_end99:
	.size	_ZN5aiter28grouped_topk_opt_sort_kernelIN3c108BFloat16EDv2_fLi8ELb1ELb1ELb0EEEvPT_PKS4_PfPimiiiif, .Lfunc_end99-_ZN5aiter28grouped_topk_opt_sort_kernelIN3c108BFloat16EDv2_fLi8ELb1ELb1ELb0EEEvPT_PKS4_PfPimiiiif
                                        ; -- End function
	.section	.AMDGPU.csdata,"",@progbits
; Kernel info:
; codeLenInByte = 2952
; NumSgprs: 24
; NumVgprs: 29
; NumAgprs: 0
; TotalNumVgprs: 29
; ScratchSize: 0
; MemoryBound: 0
; FloatMode: 240
; IeeeMode: 1
; LDSByteSize: 0 bytes/workgroup (compile time only)
; SGPRBlocks: 2
; VGPRBlocks: 3
; NumSGPRsForWavesPerEU: 24
; NumVGPRsForWavesPerEU: 29
; AccumOffset: 32
; Occupancy: 8
; WaveLimiterHint : 0
; COMPUTE_PGM_RSRC2:SCRATCH_EN: 0
; COMPUTE_PGM_RSRC2:USER_SGPR: 6
; COMPUTE_PGM_RSRC2:TRAP_HANDLER: 0
; COMPUTE_PGM_RSRC2:TGID_X_EN: 1
; COMPUTE_PGM_RSRC2:TGID_Y_EN: 0
; COMPUTE_PGM_RSRC2:TGID_Z_EN: 0
; COMPUTE_PGM_RSRC2:TIDIG_COMP_CNT: 0
; COMPUTE_PGM_RSRC3_GFX90A:ACCUM_OFFSET: 7
; COMPUTE_PGM_RSRC3_GFX90A:TG_SPLIT: 0
	.section	.text._ZN5aiter19grouped_topk_kernelIfDv2_fLi8ELb1ELb1ELb0EEEvPT_PKS2_PfPimiiiif,"axG",@progbits,_ZN5aiter19grouped_topk_kernelIfDv2_fLi8ELb1ELb1ELb0EEEvPT_PKS2_PfPimiiiif,comdat
	.protected	_ZN5aiter19grouped_topk_kernelIfDv2_fLi8ELb1ELb1ELb0EEEvPT_PKS2_PfPimiiiif ; -- Begin function _ZN5aiter19grouped_topk_kernelIfDv2_fLi8ELb1ELb1ELb0EEEvPT_PKS2_PfPimiiiif
	.globl	_ZN5aiter19grouped_topk_kernelIfDv2_fLi8ELb1ELb1ELb0EEEvPT_PKS2_PfPimiiiif
	.p2align	8
	.type	_ZN5aiter19grouped_topk_kernelIfDv2_fLi8ELb1ELb1ELb0EEEvPT_PKS2_PfPimiiiif,@function
_ZN5aiter19grouped_topk_kernelIfDv2_fLi8ELb1ELb1ELb0EEEvPT_PKS2_PfPimiiiif: ; @_ZN5aiter19grouped_topk_kernelIfDv2_fLi8ELb1ELb1ELb0EEEvPT_PKS2_PfPimiiiif
; %bb.0:
	s_load_dwordx4 s[12:15], s[4:5], 0x28
	s_load_dwordx4 s[16:19], s[4:5], 0x8
	s_load_dwordx2 s[10:11], s[4:5], 0x18
	s_waitcnt lgkmcnt(0)
	s_lshr_b32 s0, s12, 31
	s_add_i32 s0, s12, s0
	s_ashr_i32 s7, s0, 1
	v_cmp_gt_i32_e64 s[0:1], s7, v0
	s_and_saveexec_b64 s[8:9], s[0:1]
	s_cbranch_execz .LBB100_3
; %bb.1:
	s_load_dwordx2 s[2:3], s[4:5], 0x0
	s_load_dword s22, s[4:5], 0x4c
	s_mul_i32 s20, s6, s12
	s_ashr_i32 s21, s20, 31
	s_lshl_b64 s[20:21], s[20:21], 2
	s_waitcnt lgkmcnt(0)
	s_add_u32 s15, s2, s20
	s_addc_u32 s2, s3, s21
	s_and_b32 s22, s22, 0xffff
	s_mov_b32 s3, 0
	v_lshlrev_b32_e32 v2, 3, v0
	v_mov_b32_e32 v1, 0
	s_lshl_b32 s23, s22, 3
	v_add_u32_e32 v3, 0, v2
	s_mov_b64 s[20:21], 0
	v_mov_b32_e32 v4, s2
	v_mov_b32_e32 v5, s17
	s_mov_b32 s24, 0xbfb8aa3b
	s_mov_b32 s25, 0x42ce8ed0
	;; [unrolled: 1-line block ×3, first 2 shown]
	v_mov_b32_e32 v6, 0x7f800000
	v_mov_b32_e32 v7, s3
	;; [unrolled: 1-line block ×3, first 2 shown]
.LBB100_2:                              ; =>This Inner Loop Header: Depth=1
	v_add_co_u32_e32 v10, vcc, s15, v2
	v_addc_co_u32_e32 v11, vcc, v4, v1, vcc
	global_load_dwordx2 v[10:11], v[10:11], off
	v_add_co_u32_e32 v12, vcc, s16, v2
	v_addc_co_u32_e32 v13, vcc, v5, v1, vcc
	global_load_dwordx2 v[12:13], v[12:13], off
	v_add_co_u32_e32 v2, vcc, s23, v2
	v_add_u32_e32 v8, s22, v8
	v_addc_co_u32_e32 v1, vcc, v1, v7, vcc
	v_cmp_le_i32_e32 vcc, s7, v8
	s_or_b64 s[20:21], vcc, s[20:21]
	s_waitcnt vmcnt(1)
	v_mul_f32_e32 v9, 0xbfb8aa3b, v11
	v_mul_f32_e32 v14, 0xbfb8aa3b, v10
	v_fma_f32 v15, v11, s24, -v9
	v_rndne_f32_e32 v16, v9
	v_fma_f32 v17, v10, s24, -v14
	v_rndne_f32_e32 v18, v14
	v_fmac_f32_e32 v15, 0xb2a5705f, v11
	v_sub_f32_e32 v9, v9, v16
	v_fmac_f32_e32 v17, 0xb2a5705f, v10
	v_sub_f32_e32 v14, v14, v18
	v_add_f32_e32 v9, v9, v15
	v_add_f32_e32 v14, v14, v17
	v_cvt_i32_f32_e32 v16, v16
	v_cvt_i32_f32_e32 v18, v18
	v_exp_f32_e32 v9, v9
	v_exp_f32_e32 v14, v14
	v_cmp_nlt_f32_e32 vcc, s25, v10
	v_cmp_nlt_f32_e64 s[2:3], s25, v11
	v_ldexp_f32 v9, v9, v16
	v_ldexp_f32 v14, v14, v18
	v_cndmask_b32_e64 v9, 0, v9, s[2:3]
	v_cndmask_b32_e32 v14, 0, v14, vcc
	v_cmp_ngt_f32_e32 vcc, s26, v10
	v_cmp_ngt_f32_e64 s[2:3], s26, v11
	v_cndmask_b32_e64 v11, v6, v9, s[2:3]
	v_cndmask_b32_e32 v10, v6, v14, vcc
	v_pk_add_f32 v[10:11], v[10:11], 1.0 op_sel_hi:[1,0]
	v_div_scale_f32 v9, s[2:3], v11, v11, 1.0
	v_div_scale_f32 v15, s[2:3], v10, v10, 1.0
	v_rcp_f32_e32 v17, v9
	v_rcp_f32_e32 v18, v15
	v_div_scale_f32 v14, vcc, 1.0, v11, 1.0
	v_fma_f32 v19, -v9, v17, 1.0
	v_fma_f32 v20, -v15, v18, 1.0
	v_fmac_f32_e32 v17, v19, v17
	v_div_scale_f32 v16, s[2:3], 1.0, v10, 1.0
	v_fmac_f32_e32 v18, v20, v18
	v_mul_f32_e32 v19, v14, v17
	v_mul_f32_e32 v20, v16, v18
	v_fma_f32 v21, -v9, v19, v14
	v_fma_f32 v22, -v15, v20, v16
	v_fmac_f32_e32 v19, v21, v17
	v_fmac_f32_e32 v20, v22, v18
	v_fma_f32 v9, -v9, v19, v14
	v_fma_f32 v14, -v15, v20, v16
	v_div_fmas_f32 v9, v9, v17, v19
	s_mov_b64 vcc, s[2:3]
	v_div_fixup_f32 v11, v9, v11, 1.0
	v_div_fmas_f32 v9, v14, v18, v20
	v_div_fixup_f32 v10, v9, v10, 1.0
	s_waitcnt vmcnt(0)
	v_pk_add_f32 v[10:11], v[12:13], v[10:11]
	ds_write_b64 v3, v[10:11]
	v_add_u32_e32 v3, s23, v3
	s_andn2_b64 exec, exec, s[20:21]
	s_cbranch_execnz .LBB100_2
.LBB100_3:
	s_or_b64 exec, exec, s[8:9]
	s_ashr_i32 s2, s12, 31
	s_lshr_b32 s3, s2, 29
	s_add_i32 s3, s12, s3
	s_ashr_i32 s15, s3, 3
	s_lshl_b32 s3, s12, 2
	s_add_i32 s28, s3, 0
	v_cmp_gt_u32_e32 vcc, 64, v0
	s_waitcnt lgkmcnt(0)
	s_barrier
	s_and_saveexec_b64 s[20:21], vcc
	s_cbranch_execz .LBB100_12
; %bb.4:
	s_load_dword s8, s[4:5], 0x4c
	v_lshrrev_b32_e32 v2, 3, v0
	s_lshr_b32 s2, s2, 28
	v_and_b32_e32 v1, 7, v0
	s_add_i32 s2, s12, s2
	s_waitcnt lgkmcnt(0)
	s_bfe_u32 s29, s8, 0xd0003
	v_mul_lo_u32 v3, s15, v2
	s_ashr_i32 s12, s2, 4
	v_lshlrev_b32_e32 v3, 2, v3
	v_lshlrev_b32_e32 v4, 3, v1
	s_mul_i32 s8, s15, s29
	v_cmp_gt_i32_e32 vcc, s12, v1
	v_cmp_eq_u32_e64 s[2:3], 0, v1
	v_add3_u32 v3, v3, v4, 0
	s_lshl_b32 s30, s8, 2
	s_mov_b64 s[22:23], 0
	s_branch .LBB100_6
.LBB100_5:                              ;   in Loop: Header=BB100_6 Depth=1
	s_or_b64 exec, exec, s[24:25]
	v_add_u32_e32 v2, s29, v2
	v_cmp_lt_u32_e64 s[8:9], 7, v2
	s_or_b64 s[22:23], s[8:9], s[22:23]
	v_add_u32_e32 v3, s30, v3
	s_andn2_b64 exec, exec, s[22:23]
	s_cbranch_execz .LBB100_12
.LBB100_6:                              ; =>This Loop Header: Depth=1
                                        ;     Child Loop BB100_8 Depth 2
	v_mov_b32_e32 v4, 0xff800000
	v_mov_b32_e32 v7, 0xff800000
	s_and_saveexec_b64 s[24:25], vcc
	s_cbranch_execz .LBB100_10
; %bb.7:                                ;   in Loop: Header=BB100_6 Depth=1
	s_mov_b64 s[26:27], 0
	v_mov_b32_e32 v4, 0xff800000
	v_mov_b32_e32 v5, v3
	;; [unrolled: 1-line block ×4, first 2 shown]
.LBB100_8:                              ;   Parent Loop BB100_6 Depth=1
                                        ; =>  This Inner Loop Header: Depth=2
	ds_read_b64 v[8:9], v5
	v_add_u32_e32 v6, 8, v6
	v_max_f32_e32 v7, v7, v7
	v_cmp_le_i32_e64 s[8:9], s12, v6
	s_or_b64 s[26:27], s[8:9], s[26:27]
	s_waitcnt lgkmcnt(0)
	v_max_f32_e32 v11, v8, v8
	v_max_f32_e32 v7, v11, v7
	v_cmp_gt_f32_e64 s[8:9], v8, v4
	v_max_f32_e32 v10, v4, v4
	v_cndmask_b32_e64 v7, v7, v4, s[8:9]
	v_max_f32_e32 v12, v9, v9
	v_max_f32_e32 v10, v11, v10
	;; [unrolled: 1-line block ×4, first 2 shown]
	v_cmp_gt_f32_e64 s[8:9], v9, v10
	v_add_u32_e32 v5, 64, v5
	v_max_f32_e32 v4, v12, v10
	v_cndmask_b32_e64 v7, v7, v10, s[8:9]
	s_andn2_b64 exec, exec, s[26:27]
	s_cbranch_execnz .LBB100_8
; %bb.9:                                ;   in Loop: Header=BB100_6 Depth=1
	s_or_b64 exec, exec, s[26:27]
.LBB100_10:                             ;   in Loop: Header=BB100_6 Depth=1
	s_or_b64 exec, exec, s[24:25]
	v_mov_b32_dpp v5, v4 quad_perm:[1,0,3,2] row_mask:0xf bank_mask:0xf bound_ctrl:1
	v_mov_b32_dpp v6, v7 quad_perm:[1,0,3,2] row_mask:0xf bank_mask:0xf bound_ctrl:1
	v_max_f32_e32 v8, v5, v5
	v_max_f32_e32 v7, v7, v7
	;; [unrolled: 1-line block ×3, first 2 shown]
	v_cmp_lt_f32_e64 s[8:9], v4, v5
	v_cndmask_b32_e64 v5, v7, v4, s[8:9]
	v_max_f32_e32 v4, v4, v4
	v_max_f32_e32 v4, v8, v4
	;; [unrolled: 1-line block ×5, first 2 shown]
	s_nop 0
	v_mov_b32_dpp v6, v4 quad_perm:[2,3,0,1] row_mask:0xf bank_mask:0xf bound_ctrl:1
	v_max_f32_e32 v8, v6, v6
	v_mov_b32_dpp v7, v5 quad_perm:[2,3,0,1] row_mask:0xf bank_mask:0xf bound_ctrl:1
	v_max_f32_e32 v5, v8, v5
	v_cmp_lt_f32_e64 s[8:9], v4, v6
	v_cndmask_b32_e64 v5, v5, v4, s[8:9]
	v_max_f32_e32 v6, v7, v7
	v_max_f32_e32 v4, v8, v4
	;; [unrolled: 1-line block ×3, first 2 shown]
	s_nop 0
	v_mov_b32_dpp v6, v4 row_half_mirror row_mask:0xf bank_mask:0xf bound_ctrl:1
	v_mov_b32_dpp v5, v7 row_half_mirror row_mask:0xf bank_mask:0xf bound_ctrl:1
	s_and_saveexec_b64 s[24:25], s[2:3]
	s_cbranch_execz .LBB100_5
; %bb.11:                               ;   in Loop: Header=BB100_6 Depth=1
	v_max_f32_e32 v7, v7, v7
	v_max_f32_e32 v9, v6, v6
	;; [unrolled: 1-line block ×3, first 2 shown]
	v_cmp_lt_f32_e64 s[8:9], v4, v6
	v_cndmask_b32_e64 v6, v7, v4, s[8:9]
	v_max_f32_e32 v6, v6, v6
	v_max_f32_e32 v5, v5, v5
	;; [unrolled: 1-line block ×5, first 2 shown]
	v_lshl_add_u32 v8, v2, 2, s28
	v_add_f32_e32 v4, v4, v5
	ds_write_b32 v8, v4
	s_branch .LBB100_5
.LBB100_12:
	s_or_b64 exec, exec, s[20:21]
	s_cmp_lt_i32 s14, 1
	s_waitcnt lgkmcnt(0)
	s_barrier
	s_cbranch_scc1 .LBB100_15
; %bb.13:
	v_mov_b32_e32 v1, s28
	s_mov_b32 s2, 0xff800000
	v_mov_b32_e32 v2, 0xff800000
.LBB100_14:                             ; =>This Inner Loop Header: Depth=1
	ds_read2_b32 v[4:5], v1 offset1:1
	ds_read2_b32 v[6:7], v1 offset0:2 offset1:3
	ds_read2_b32 v[8:9], v1 offset0:4 offset1:5
	;; [unrolled: 1-line block ×3, first 2 shown]
	s_waitcnt lgkmcnt(3)
	v_cmp_nlg_f32_e32 vcc, s2, v4
	v_cndmask_b32_e64 v3, 0, 1, vcc
	v_cmp_lg_f32_e32 vcc, s2, v4
	v_readfirstlane_b32 s3, v3
	v_cndmask_b32_e32 v3, v2, v4, vcc
	v_cmp_gt_f32_e32 vcc, v5, v3
	s_lshl_b32 s3, s3, 3
	v_cndmask_b32_e32 v3, v3, v5, vcc
	s_and_b64 s[8:9], vcc, exec
	s_waitcnt lgkmcnt(2)
	v_cmp_gt_f32_e32 vcc, v6, v3
	v_cndmask_b32_e32 v3, v3, v6, vcc
	s_cselect_b32 s3, 1, s3
	s_and_b64 s[8:9], vcc, exec
	v_cmp_gt_f32_e32 vcc, v7, v3
	v_cndmask_b32_e32 v3, v3, v7, vcc
	s_cselect_b32 s3, 2, s3
	s_and_b64 s[8:9], vcc, exec
	s_waitcnt lgkmcnt(1)
	v_cmp_gt_f32_e32 vcc, v8, v3
	v_cndmask_b32_e32 v3, v3, v8, vcc
	s_cselect_b32 s3, 3, s3
	s_and_b64 s[8:9], vcc, exec
	v_cmp_gt_f32_e32 vcc, v9, v3
	v_cndmask_b32_e32 v3, v3, v9, vcc
	s_cselect_b32 s3, 4, s3
	s_and_b64 s[8:9], vcc, exec
	s_waitcnt lgkmcnt(0)
	v_cmp_gt_f32_e32 vcc, v10, v3
	v_cndmask_b32_e32 v3, v3, v10, vcc
	s_cselect_b32 s3, 5, s3
	s_and_b64 s[8:9], vcc, exec
	v_cmp_ngt_f32_e32 vcc, v11, v3
	s_cselect_b32 s3, 6, s3
	s_and_b64 s[8:9], vcc, exec
	s_cselect_b32 s3, s3, 7
	s_lshl_b32 s3, s3, 2
	s_add_i32 s3, s28, s3
	s_add_i32 s14, s14, -1
	v_mov_b32_e32 v3, s3
	s_cmp_lg_u32 s14, 0
	ds_write_b32 v3, v2
	s_cbranch_scc1 .LBB100_14
.LBB100_15:
	v_lshlrev_b32_e32 v4, 1, v0
	v_lshl_add_u32 v5, v0, 3, 0
	s_and_saveexec_b64 s[2:3], s[0:1]
	s_cbranch_execz .LBB100_20
; %bb.16:
	s_abs_i32 s12, s15
	v_cvt_f32_u32_e32 v2, s12
	s_load_dword s14, s[4:5], 0x4c
	s_ashr_i32 s20, s15, 31
	s_sub_i32 s15, 0, s12
	v_rcp_iflag_f32_e32 v2, v2
	v_lshlrev_b32_e32 v1, 1, v0
	s_waitcnt lgkmcnt(0)
	s_and_b32 s21, s14, 0xffff
	v_lshl_add_u32 v6, v0, 3, 0
	v_mul_f32_e32 v2, 0x4f7ffffe, v2
	v_cvt_u32_f32_e32 v2, v2
	s_mov_b64 s[8:9], 0
	s_lshl_b32 s22, s21, 1
	s_lshl_b32 s23, s21, 3
	v_mul_lo_u32 v3, s15, v2
	v_mul_hi_u32 v3, v2, v3
	v_add_u32_e32 v7, v2, v3
	s_mov_b32 s24, 0xff800000
	v_mov_b32_e32 v2, 0xff800000
	v_mov_b32_e32 v8, v0
	s_branch .LBB100_18
.LBB100_17:                             ;   in Loop: Header=BB100_18 Depth=1
	s_or_b64 exec, exec, s[14:15]
	v_add_u32_e32 v8, s21, v8
	v_cmp_le_i32_e32 vcc, s7, v8
	v_add_u32_e32 v1, s22, v1
	s_or_b64 s[8:9], vcc, s[8:9]
	v_add_u32_e32 v6, s23, v6
	s_andn2_b64 exec, exec, s[8:9]
	s_cbranch_execz .LBB100_20
.LBB100_18:                             ; =>This Inner Loop Header: Depth=1
	v_mul_hi_u32 v3, v1, v7
	v_mul_lo_u32 v9, v3, s12
	v_sub_u32_e32 v9, v1, v9
	v_add_u32_e32 v10, 1, v3
	v_cmp_le_u32_e32 vcc, s12, v9
	v_cndmask_b32_e32 v3, v3, v10, vcc
	v_subrev_u32_e32 v10, s12, v9
	v_cndmask_b32_e32 v9, v9, v10, vcc
	v_add_u32_e32 v10, 1, v3
	v_cmp_le_u32_e32 vcc, s12, v9
	v_cndmask_b32_e32 v3, v3, v10, vcc
	v_xor_b32_e32 v3, s20, v3
	v_subrev_u32_e32 v3, s20, v3
	v_lshl_add_u32 v3, v3, 2, s28
	ds_read_b32 v3, v3
	s_waitcnt lgkmcnt(0)
	v_cmp_neq_f32_e32 vcc, s24, v3
	s_and_saveexec_b64 s[14:15], vcc
	s_cbranch_execz .LBB100_17
; %bb.19:                               ;   in Loop: Header=BB100_18 Depth=1
	v_mov_b32_e32 v3, v2
	ds_write_b64 v6, v[2:3]
	s_branch .LBB100_17
.LBB100_20:
	s_or_b64 exec, exec, s[2:3]
	s_cmp_lt_i32 s13, 1
	s_waitcnt lgkmcnt(0)
	s_barrier
	s_cbranch_scc1 .LBB100_27
; %bb.21:
	s_add_u32 s2, s4, 64
	s_addc_u32 s3, s5, 0
	s_mov_b32 s12, 0
	v_mov_b32_e32 v2, 0
	v_mov_b32_e32 v6, 0xff800000
                                        ; implicit-def: $vgpr3
                                        ; implicit-def: $vgpr1
	s_branch .LBB100_23
.LBB100_22:                             ;   in Loop: Header=BB100_23 Depth=1
	s_or_b64 exec, exec, s[8:9]
	v_mov_b32_dpp v10, v8 quad_perm:[1,0,3,2] row_mask:0xf bank_mask:0xf
	v_cmp_lt_f32_e32 vcc, v8, v10
	v_cndmask_b32_e32 v8, v8, v10, vcc
	v_mov_b32_dpp v9, v7 quad_perm:[1,0,3,2] row_mask:0xf bank_mask:0xf
	v_cndmask_b32_e32 v7, v7, v9, vcc
	v_mov_b32_dpp v10, v8 quad_perm:[2,3,0,1] row_mask:0xf bank_mask:0xf
	v_cmp_gt_f32_e32 vcc, v10, v8
	v_cndmask_b32_e32 v8, v8, v10, vcc
	v_mov_b32_dpp v9, v7 quad_perm:[2,3,0,1] row_mask:0xf bank_mask:0xf
	v_cndmask_b32_e32 v7, v7, v9, vcc
	v_mov_b32_dpp v10, v8 row_half_mirror row_mask:0xf bank_mask:0xf
	v_cmp_gt_f32_e32 vcc, v10, v8
	v_cndmask_b32_e32 v8, v8, v10, vcc
	v_mov_b32_dpp v9, v7 row_half_mirror row_mask:0xf bank_mask:0xf
	v_cndmask_b32_e32 v7, v7, v9, vcc
	v_mov_b32_dpp v10, v8 row_mirror row_mask:0xf bank_mask:0xf
	v_cmp_gt_f32_e32 vcc, v10, v8
	v_cndmask_b32_e32 v8, v8, v10, vcc
	v_mov_b32_dpp v9, v7 row_mirror row_mask:0xf bank_mask:0xf
	v_cndmask_b32_e32 v7, v7, v9, vcc
	v_mov_b32_dpp v10, v8 row_bcast:15 row_mask:0xf bank_mask:0xf
	v_cmp_gt_f32_e32 vcc, v10, v8
	v_mov_b32_dpp v9, v7 row_bcast:15 row_mask:0xf bank_mask:0xf
	v_cndmask_b32_e32 v8, v8, v10, vcc
	v_cndmask_b32_e32 v7, v7, v9, vcc
	s_nop 0
	v_mov_b32_dpp v10, v8 row_bcast:31 row_mask:0xf bank_mask:0xf
	v_mov_b32_dpp v9, v7 row_bcast:31 row_mask:0xf bank_mask:0xf
	v_cmp_gt_f32_e32 vcc, v10, v8
	v_cndmask_b32_e32 v7, v7, v9, vcc
	v_readlane_b32 s8, v7, 63
	s_ashr_i32 s9, s8, 31
	s_lshl_b64 s[14:15], s[8:9], 2
	s_add_u32 s14, s16, s14
	s_addc_u32 s15, s17, s15
	s_load_dword s9, s[14:15], 0x0
	v_cndmask_b32_e32 v7, v8, v10, vcc
	v_readlane_b32 s14, v7, 63
	v_cmp_eq_u32_e32 vcc, s12, v0
	s_add_i32 s12, s12, 1
	s_waitcnt lgkmcnt(0)
	v_mov_b32_e32 v7, s9
	s_lshl_b32 s9, s8, 2
	s_add_i32 s9, s9, 0
	v_mov_b32_e32 v8, s9
	v_sub_f32_e32 v7, s14, v7
	ds_write_b32 v8, v6
	v_mov_b32_e32 v8, s8
	v_cndmask_b32_e32 v1, v1, v8, vcc
	v_cndmask_b32_e32 v3, v3, v7, vcc
	s_cmp_eq_u32 s12, s13
	v_add_f32_e32 v2, v2, v7
	s_cbranch_scc1 .LBB100_28
.LBB100_23:                             ; =>This Loop Header: Depth=1
                                        ;     Child Loop BB100_25 Depth 2
	v_mov_b32_e32 v7, s12
	v_mov_b32_e32 v8, 0xff800000
	s_and_saveexec_b64 s[8:9], s[0:1]
	s_cbranch_execz .LBB100_22
; %bb.24:                               ;   in Loop: Header=BB100_23 Depth=1
	s_load_dword s20, s[2:3], 0xc
	s_mov_b64 s[14:15], 0
	v_mov_b32_e32 v7, s12
	v_mov_b32_e32 v8, 0xff800000
	;; [unrolled: 1-line block ×3, first 2 shown]
	s_waitcnt lgkmcnt(0)
	s_and_b32 s20, s20, 0xffff
	s_lshl_b32 s21, s20, 1
	s_lshl_b32 s22, s20, 3
	v_mov_b32_e32 v10, v4
	v_mov_b32_e32 v11, v0
.LBB100_25:                             ;   Parent Loop BB100_23 Depth=1
                                        ; =>  This Inner Loop Header: Depth=2
	ds_read_b64 v[12:13], v9
	v_add_u32_e32 v11, s20, v11
	v_cmp_le_i32_e32 vcc, s7, v11
	s_or_b64 s[14:15], vcc, s[14:15]
	v_add_u32_e32 v14, 1, v10
	s_waitcnt lgkmcnt(0)
	v_cmp_gt_f32_e32 vcc, v12, v8
	v_cndmask_b32_e32 v8, v8, v12, vcc
	v_cndmask_b32_e32 v7, v7, v10, vcc
	v_cmp_gt_f32_e32 vcc, v13, v8
	v_add_u32_e32 v9, s22, v9
	v_cndmask_b32_e32 v8, v8, v13, vcc
	v_add_u32_e32 v10, s21, v10
	v_cndmask_b32_e32 v7, v7, v14, vcc
	s_andn2_b64 exec, exec, s[14:15]
	s_cbranch_execnz .LBB100_25
; %bb.26:                               ;   in Loop: Header=BB100_23 Depth=1
	s_or_b64 exec, exec, s[14:15]
	s_branch .LBB100_22
.LBB100_27:
	v_mov_b32_e32 v2, 0
                                        ; implicit-def: $vgpr3
                                        ; implicit-def: $vgpr1
.LBB100_28:
	v_cmp_gt_i32_e32 vcc, s13, v0
	s_and_saveexec_b64 s[0:1], vcc
	s_cbranch_execz .LBB100_31
; %bb.29:
	s_load_dword s7, s[4:5], 0x38
	s_load_dwordx2 s[0:1], s[4:5], 0x20
	s_load_dword s8, s[4:5], 0x4c
	s_waitcnt lgkmcnt(0)
	v_div_scale_f32 v4, s[2:3], v2, v2, s7
	v_rcp_f32_e32 v5, v4
	v_div_scale_f32 v6, vcc, s7, v2, s7
	s_ashr_i32 s2, s6, 31
	v_fma_f32 v7, -v4, v5, 1.0
	v_fmac_f32_e32 v5, v7, v5
	v_mul_f32_e32 v7, v6, v5
	v_fma_f32 v8, -v4, v7, v6
	v_fmac_f32_e32 v7, v8, v5
	v_fma_f32 v4, -v4, v7, v6
	s_mul_i32 s1, s6, s1
	s_mul_hi_u32 s3, s6, s0
	v_div_fmas_f32 v4, v4, v5, v7
	s_add_i32 s1, s3, s1
	s_mul_i32 s2, s2, s0
	v_div_fixup_f32 v2, v4, v2, s7
	s_add_i32 s4, s1, s2
	v_mul_f32_e32 v2, v2, v3
	s_mul_i32 s2, s6, s0
	s_and_b32 s3, s8, 0xffff
	s_mov_b64 s[0:1], 0
	v_mov_b32_e32 v3, s4
	v_mov_b32_e32 v4, s19
	;; [unrolled: 1-line block ×3, first 2 shown]
.LBB100_30:                             ; =>This Inner Loop Header: Depth=1
	v_ashrrev_i32_e32 v7, 31, v0
	v_add_co_u32_e32 v6, vcc, s2, v0
	v_addc_co_u32_e32 v7, vcc, v3, v7, vcc
	v_add_u32_e32 v0, s3, v0
	v_cmp_le_i32_e32 vcc, s13, v0
	v_lshlrev_b64 v[6:7], 2, v[6:7]
	s_or_b64 s[0:1], vcc, s[0:1]
	v_add_co_u32_e32 v8, vcc, s18, v6
	v_addc_co_u32_e32 v9, vcc, v4, v7, vcc
	v_add_co_u32_e32 v6, vcc, s10, v6
	v_addc_co_u32_e32 v7, vcc, v5, v7, vcc
	global_store_dword v[8:9], v2, off
	global_store_dword v[6:7], v1, off
	s_andn2_b64 exec, exec, s[0:1]
	s_cbranch_execnz .LBB100_30
.LBB100_31:
	s_endpgm
	.section	.rodata,"a",@progbits
	.p2align	6, 0x0
	.amdhsa_kernel _ZN5aiter19grouped_topk_kernelIfDv2_fLi8ELb1ELb1ELb0EEEvPT_PKS2_PfPimiiiif
		.amdhsa_group_segment_fixed_size 0
		.amdhsa_private_segment_fixed_size 0
		.amdhsa_kernarg_size 320
		.amdhsa_user_sgpr_count 6
		.amdhsa_user_sgpr_private_segment_buffer 1
		.amdhsa_user_sgpr_dispatch_ptr 0
		.amdhsa_user_sgpr_queue_ptr 0
		.amdhsa_user_sgpr_kernarg_segment_ptr 1
		.amdhsa_user_sgpr_dispatch_id 0
		.amdhsa_user_sgpr_flat_scratch_init 0
		.amdhsa_user_sgpr_kernarg_preload_length 0
		.amdhsa_user_sgpr_kernarg_preload_offset 0
		.amdhsa_user_sgpr_private_segment_size 0
		.amdhsa_uses_dynamic_stack 0
		.amdhsa_system_sgpr_private_segment_wavefront_offset 0
		.amdhsa_system_sgpr_workgroup_id_x 1
		.amdhsa_system_sgpr_workgroup_id_y 0
		.amdhsa_system_sgpr_workgroup_id_z 0
		.amdhsa_system_sgpr_workgroup_info 0
		.amdhsa_system_vgpr_workitem_id 0
		.amdhsa_next_free_vgpr 23
		.amdhsa_next_free_sgpr 31
		.amdhsa_accum_offset 24
		.amdhsa_reserve_vcc 1
		.amdhsa_reserve_flat_scratch 0
		.amdhsa_float_round_mode_32 0
		.amdhsa_float_round_mode_16_64 0
		.amdhsa_float_denorm_mode_32 3
		.amdhsa_float_denorm_mode_16_64 3
		.amdhsa_dx10_clamp 1
		.amdhsa_ieee_mode 1
		.amdhsa_fp16_overflow 0
		.amdhsa_tg_split 0
		.amdhsa_exception_fp_ieee_invalid_op 0
		.amdhsa_exception_fp_denorm_src 0
		.amdhsa_exception_fp_ieee_div_zero 0
		.amdhsa_exception_fp_ieee_overflow 0
		.amdhsa_exception_fp_ieee_underflow 0
		.amdhsa_exception_fp_ieee_inexact 0
		.amdhsa_exception_int_div_zero 0
	.end_amdhsa_kernel
	.section	.text._ZN5aiter19grouped_topk_kernelIfDv2_fLi8ELb1ELb1ELb0EEEvPT_PKS2_PfPimiiiif,"axG",@progbits,_ZN5aiter19grouped_topk_kernelIfDv2_fLi8ELb1ELb1ELb0EEEvPT_PKS2_PfPimiiiif,comdat
.Lfunc_end100:
	.size	_ZN5aiter19grouped_topk_kernelIfDv2_fLi8ELb1ELb1ELb0EEEvPT_PKS2_PfPimiiiif, .Lfunc_end100-_ZN5aiter19grouped_topk_kernelIfDv2_fLi8ELb1ELb1ELb0EEEvPT_PKS2_PfPimiiiif
                                        ; -- End function
	.section	.AMDGPU.csdata,"",@progbits
; Kernel info:
; codeLenInByte = 2396
; NumSgprs: 35
; NumVgprs: 23
; NumAgprs: 0
; TotalNumVgprs: 23
; ScratchSize: 0
; MemoryBound: 0
; FloatMode: 240
; IeeeMode: 1
; LDSByteSize: 0 bytes/workgroup (compile time only)
; SGPRBlocks: 4
; VGPRBlocks: 2
; NumSGPRsForWavesPerEU: 35
; NumVGPRsForWavesPerEU: 23
; AccumOffset: 24
; Occupancy: 8
; WaveLimiterHint : 0
; COMPUTE_PGM_RSRC2:SCRATCH_EN: 0
; COMPUTE_PGM_RSRC2:USER_SGPR: 6
; COMPUTE_PGM_RSRC2:TRAP_HANDLER: 0
; COMPUTE_PGM_RSRC2:TGID_X_EN: 1
; COMPUTE_PGM_RSRC2:TGID_Y_EN: 0
; COMPUTE_PGM_RSRC2:TGID_Z_EN: 0
; COMPUTE_PGM_RSRC2:TIDIG_COMP_CNT: 0
; COMPUTE_PGM_RSRC3_GFX90A:ACCUM_OFFSET: 5
; COMPUTE_PGM_RSRC3_GFX90A:TG_SPLIT: 0
	.section	.text._ZN5aiter19grouped_topk_kernelIN3c104HalfEDv2_fLi8ELb1ELb1ELb0EEEvPT_PKS4_PfPimiiiif,"axG",@progbits,_ZN5aiter19grouped_topk_kernelIN3c104HalfEDv2_fLi8ELb1ELb1ELb0EEEvPT_PKS4_PfPimiiiif,comdat
	.protected	_ZN5aiter19grouped_topk_kernelIN3c104HalfEDv2_fLi8ELb1ELb1ELb0EEEvPT_PKS4_PfPimiiiif ; -- Begin function _ZN5aiter19grouped_topk_kernelIN3c104HalfEDv2_fLi8ELb1ELb1ELb0EEEvPT_PKS4_PfPimiiiif
	.globl	_ZN5aiter19grouped_topk_kernelIN3c104HalfEDv2_fLi8ELb1ELb1ELb0EEEvPT_PKS4_PfPimiiiif
	.p2align	8
	.type	_ZN5aiter19grouped_topk_kernelIN3c104HalfEDv2_fLi8ELb1ELb1ELb0EEEvPT_PKS4_PfPimiiiif,@function
_ZN5aiter19grouped_topk_kernelIN3c104HalfEDv2_fLi8ELb1ELb1ELb0EEEvPT_PKS4_PfPimiiiif: ; @_ZN5aiter19grouped_topk_kernelIN3c104HalfEDv2_fLi8ELb1ELb1ELb0EEEvPT_PKS4_PfPimiiiif
; %bb.0:
	s_load_dwordx4 s[12:15], s[4:5], 0x28
	s_load_dwordx4 s[16:19], s[4:5], 0x8
	s_load_dwordx2 s[10:11], s[4:5], 0x18
	v_lshl_add_u32 v4, v0, 3, 0
	s_waitcnt lgkmcnt(0)
	s_lshr_b32 s0, s12, 31
	s_add_i32 s0, s12, s0
	s_ashr_i32 s7, s0, 1
	v_cmp_gt_i32_e64 s[0:1], s7, v0
	s_and_saveexec_b64 s[8:9], s[0:1]
	s_cbranch_execz .LBB101_3
; %bb.1:
	s_load_dwordx2 s[2:3], s[4:5], 0x0
	s_load_dword s22, s[4:5], 0x4c
	s_mul_i32 s20, s6, s12
	s_ashr_i32 s21, s20, 31
	s_lshl_b64 s[20:21], s[20:21], 1
	s_waitcnt lgkmcnt(0)
	s_add_u32 s15, s2, s20
	s_addc_u32 s2, s3, s21
	s_and_b32 s22, s22, 0xffff
	s_mov_b32 s3, 0
	v_lshlrev_b32_e32 v2, 2, v0
	v_mov_b32_e32 v1, 0
	s_lshl_b32 s23, s22, 2
	v_lshl_add_u32 v3, v0, 3, 0
	s_lshl_b32 s24, s22, 3
	s_mov_b64 s[20:21], 0
	v_mov_b32_e32 v5, s2
	v_mov_b32_e32 v6, s17
	s_mov_b32 s25, 0x3fb8aa3b
	s_mov_b32 s26, 0x32a5705f
	;; [unrolled: 1-line block ×4, first 2 shown]
	v_mov_b32_e32 v7, 0x7f800000
	v_mov_b32_e32 v8, s3
	;; [unrolled: 1-line block ×3, first 2 shown]
.LBB101_2:                              ; =>This Inner Loop Header: Depth=1
	v_add_co_u32_e32 v10, vcc, s15, v2
	v_addc_co_u32_e32 v11, vcc, v5, v1, vcc
	v_add_co_u32_e32 v12, vcc, s16, v2
	v_addc_co_u32_e32 v13, vcc, v6, v1, vcc
	global_load_dword v14, v[10:11], off
	global_load_dword v15, v[12:13], off
	v_add_co_u32_e32 v2, vcc, s23, v2
	v_add_u32_e32 v9, s22, v9
	v_addc_co_u32_e32 v1, vcc, v1, v8, vcc
	v_cmp_le_i32_e32 vcc, s7, v9
	s_or_b64 s[20:21], vcc, s[20:21]
	s_waitcnt vmcnt(1)
	v_cvt_f32_f16_e64 v12, -v14
	v_cvt_f32_f16_sdwa v13, -v14 dst_sel:DWORD dst_unused:UNUSED_PAD src0_sel:WORD_1
	s_waitcnt vmcnt(0)
	v_cvt_f32_f16_e32 v10, v15
	v_cvt_f32_f16_sdwa v11, v15 dst_sel:DWORD dst_unused:UNUSED_PAD src0_sel:WORD_1
	v_mul_f32_e32 v15, 0x3fb8aa3b, v12
	v_mul_f32_e32 v16, 0x3fb8aa3b, v13
	v_fma_mix_f32 v17, -v14, s25, -v15 op_sel_hi:[1,0,0]
	v_rndne_f32_e32 v18, v15
	v_fma_mix_f32 v19, -v14, s25, -v16 op_sel:[1,0,0] op_sel_hi:[1,0,0]
	v_rndne_f32_e32 v20, v16
	v_fma_mix_f32 v17, -v14, s26, v17 op_sel_hi:[1,0,0]
	v_sub_f32_e32 v15, v15, v18
	v_fma_mix_f32 v14, -v14, s26, v19 op_sel:[1,0,0] op_sel_hi:[1,0,0]
	v_sub_f32_e32 v16, v16, v20
	v_add_f32_e32 v15, v15, v17
	v_add_f32_e32 v14, v16, v14
	v_cvt_i32_f32_e32 v18, v18
	v_cvt_i32_f32_e32 v19, v20
	v_exp_f32_e32 v15, v15
	v_exp_f32_e32 v14, v14
	v_cmp_ngt_f32_e32 vcc, s27, v13
	v_cmp_ngt_f32_e64 s[2:3], s27, v12
	v_ldexp_f32 v15, v15, v18
	v_ldexp_f32 v14, v14, v19
	v_cndmask_b32_e64 v15, 0, v15, s[2:3]
	v_cndmask_b32_e32 v14, 0, v14, vcc
	v_cmp_nlt_f32_e32 vcc, s28, v13
	v_cmp_nlt_f32_e64 s[2:3], s28, v12
	v_cndmask_b32_e64 v12, v7, v15, s[2:3]
	v_cndmask_b32_e32 v13, v7, v14, vcc
	v_pk_add_f32 v[12:13], v[12:13], 1.0 op_sel_hi:[1,0]
	v_div_scale_f32 v14, s[2:3], v13, v13, 1.0
	v_div_scale_f32 v16, s[2:3], v12, v12, 1.0
	v_rcp_f32_e32 v18, v14
	v_rcp_f32_e32 v19, v16
	v_div_scale_f32 v15, vcc, 1.0, v13, 1.0
	v_fma_f32 v20, -v14, v18, 1.0
	v_fma_f32 v21, -v16, v19, 1.0
	v_fmac_f32_e32 v18, v20, v18
	v_div_scale_f32 v17, s[2:3], 1.0, v12, 1.0
	v_fmac_f32_e32 v19, v21, v19
	v_mul_f32_e32 v20, v15, v18
	v_mul_f32_e32 v21, v17, v19
	v_fma_f32 v22, -v14, v20, v15
	v_fma_f32 v23, -v16, v21, v17
	v_fmac_f32_e32 v20, v22, v18
	v_fmac_f32_e32 v21, v23, v19
	v_fma_f32 v14, -v14, v20, v15
	v_fma_f32 v15, -v16, v21, v17
	v_div_fmas_f32 v14, v14, v18, v20
	s_mov_b64 vcc, s[2:3]
	v_div_fixup_f32 v13, v14, v13, 1.0
	v_div_fmas_f32 v14, v15, v19, v21
	v_div_fixup_f32 v12, v14, v12, 1.0
	v_pk_add_f32 v[10:11], v[12:13], v[10:11]
	ds_write_b64 v3, v[10:11]
	v_add_u32_e32 v3, s24, v3
	s_andn2_b64 exec, exec, s[20:21]
	s_cbranch_execnz .LBB101_2
.LBB101_3:
	s_or_b64 exec, exec, s[8:9]
	s_ashr_i32 s2, s12, 31
	s_lshr_b32 s3, s2, 29
	s_add_i32 s3, s12, s3
	s_ashr_i32 s15, s3, 3
	s_lshl_b32 s3, s12, 2
	s_add_i32 s28, s3, 0
	v_cmp_gt_u32_e32 vcc, 64, v0
	s_waitcnt lgkmcnt(0)
	s_barrier
	s_and_saveexec_b64 s[20:21], vcc
	s_cbranch_execz .LBB101_12
; %bb.4:
	s_load_dword s8, s[4:5], 0x4c
	v_lshrrev_b32_e32 v2, 3, v0
	s_lshr_b32 s2, s2, 28
	v_and_b32_e32 v1, 7, v0
	s_add_i32 s2, s12, s2
	s_waitcnt lgkmcnt(0)
	s_bfe_u32 s29, s8, 0xd0003
	v_mul_lo_u32 v3, s15, v2
	s_ashr_i32 s12, s2, 4
	v_lshlrev_b32_e32 v3, 2, v3
	v_lshlrev_b32_e32 v5, 3, v1
	s_mul_i32 s8, s15, s29
	v_cmp_gt_i32_e32 vcc, s12, v1
	v_cmp_eq_u32_e64 s[2:3], 0, v1
	v_add3_u32 v3, v3, v5, 0
	s_lshl_b32 s30, s8, 2
	s_mov_b64 s[22:23], 0
	s_branch .LBB101_6
.LBB101_5:                              ;   in Loop: Header=BB101_6 Depth=1
	s_or_b64 exec, exec, s[24:25]
	v_add_u32_e32 v2, s29, v2
	v_cmp_lt_u32_e64 s[8:9], 7, v2
	s_or_b64 s[22:23], s[8:9], s[22:23]
	v_add_u32_e32 v3, s30, v3
	s_andn2_b64 exec, exec, s[22:23]
	s_cbranch_execz .LBB101_12
.LBB101_6:                              ; =>This Loop Header: Depth=1
                                        ;     Child Loop BB101_8 Depth 2
	v_mov_b32_e32 v5, 0xff800000
	v_mov_b32_e32 v8, 0xff800000
	s_and_saveexec_b64 s[24:25], vcc
	s_cbranch_execz .LBB101_10
; %bb.7:                                ;   in Loop: Header=BB101_6 Depth=1
	s_mov_b64 s[26:27], 0
	v_mov_b32_e32 v5, 0xff800000
	v_mov_b32_e32 v6, v3
	;; [unrolled: 1-line block ×4, first 2 shown]
.LBB101_8:                              ;   Parent Loop BB101_6 Depth=1
                                        ; =>  This Inner Loop Header: Depth=2
	ds_read_b64 v[10:11], v6
	v_add_u32_e32 v7, 8, v7
	v_max_f32_e32 v8, v8, v8
	v_cmp_le_i32_e64 s[8:9], s12, v7
	s_or_b64 s[26:27], s[8:9], s[26:27]
	s_waitcnt lgkmcnt(0)
	v_max_f32_e32 v12, v10, v10
	v_max_f32_e32 v8, v12, v8
	v_cmp_gt_f32_e64 s[8:9], v10, v5
	v_max_f32_e32 v9, v5, v5
	v_cndmask_b32_e64 v8, v8, v5, s[8:9]
	v_max_f32_e32 v13, v11, v11
	v_max_f32_e32 v9, v12, v9
	;; [unrolled: 1-line block ×4, first 2 shown]
	v_cmp_gt_f32_e64 s[8:9], v11, v9
	v_add_u32_e32 v6, 64, v6
	v_max_f32_e32 v5, v13, v9
	v_cndmask_b32_e64 v8, v8, v9, s[8:9]
	s_andn2_b64 exec, exec, s[26:27]
	s_cbranch_execnz .LBB101_8
; %bb.9:                                ;   in Loop: Header=BB101_6 Depth=1
	s_or_b64 exec, exec, s[26:27]
.LBB101_10:                             ;   in Loop: Header=BB101_6 Depth=1
	s_or_b64 exec, exec, s[24:25]
	v_mov_b32_dpp v6, v5 quad_perm:[1,0,3,2] row_mask:0xf bank_mask:0xf bound_ctrl:1
	v_mov_b32_dpp v7, v8 quad_perm:[1,0,3,2] row_mask:0xf bank_mask:0xf bound_ctrl:1
	v_max_f32_e32 v9, v6, v6
	v_max_f32_e32 v8, v8, v8
	v_max_f32_e32 v8, v9, v8
	v_cmp_lt_f32_e64 s[8:9], v5, v6
	v_cndmask_b32_e64 v6, v8, v5, s[8:9]
	v_max_f32_e32 v5, v5, v5
	v_max_f32_e32 v5, v9, v5
	;; [unrolled: 1-line block ×5, first 2 shown]
	s_nop 0
	v_mov_b32_dpp v7, v5 quad_perm:[2,3,0,1] row_mask:0xf bank_mask:0xf bound_ctrl:1
	v_max_f32_e32 v9, v7, v7
	v_mov_b32_dpp v8, v6 quad_perm:[2,3,0,1] row_mask:0xf bank_mask:0xf bound_ctrl:1
	v_max_f32_e32 v6, v9, v6
	v_cmp_lt_f32_e64 s[8:9], v5, v7
	v_cndmask_b32_e64 v6, v6, v5, s[8:9]
	v_max_f32_e32 v7, v8, v8
	v_max_f32_e32 v5, v9, v5
	;; [unrolled: 1-line block ×3, first 2 shown]
	s_nop 0
	v_mov_b32_dpp v7, v5 row_half_mirror row_mask:0xf bank_mask:0xf bound_ctrl:1
	v_mov_b32_dpp v6, v8 row_half_mirror row_mask:0xf bank_mask:0xf bound_ctrl:1
	s_and_saveexec_b64 s[24:25], s[2:3]
	s_cbranch_execz .LBB101_5
; %bb.11:                               ;   in Loop: Header=BB101_6 Depth=1
	v_max_f32_e32 v8, v8, v8
	v_max_f32_e32 v10, v7, v7
	;; [unrolled: 1-line block ×3, first 2 shown]
	v_cmp_lt_f32_e64 s[8:9], v5, v7
	v_cndmask_b32_e64 v7, v8, v5, s[8:9]
	v_max_f32_e32 v7, v7, v7
	v_max_f32_e32 v6, v6, v6
	;; [unrolled: 1-line block ×5, first 2 shown]
	v_lshl_add_u32 v9, v2, 2, s28
	v_add_f32_e32 v5, v5, v6
	ds_write_b32 v9, v5
	s_branch .LBB101_5
.LBB101_12:
	s_or_b64 exec, exec, s[20:21]
	s_cmp_lt_i32 s14, 1
	s_waitcnt lgkmcnt(0)
	s_barrier
	s_cbranch_scc1 .LBB101_15
; %bb.13:
	v_mov_b32_e32 v1, s28
	s_mov_b32 s2, 0xff800000
	v_mov_b32_e32 v2, 0xff800000
.LBB101_14:                             ; =>This Inner Loop Header: Depth=1
	ds_read2_b32 v[6:7], v1 offset1:1
	ds_read2_b32 v[8:9], v1 offset0:2 offset1:3
	ds_read2_b32 v[10:11], v1 offset0:4 offset1:5
	;; [unrolled: 1-line block ×3, first 2 shown]
	s_waitcnt lgkmcnt(3)
	v_cmp_nlg_f32_e32 vcc, s2, v6
	v_cndmask_b32_e64 v3, 0, 1, vcc
	v_cmp_lg_f32_e32 vcc, s2, v6
	v_readfirstlane_b32 s3, v3
	v_cndmask_b32_e32 v3, v2, v6, vcc
	v_cmp_gt_f32_e32 vcc, v7, v3
	s_lshl_b32 s3, s3, 3
	v_cndmask_b32_e32 v3, v3, v7, vcc
	s_and_b64 s[8:9], vcc, exec
	s_waitcnt lgkmcnt(2)
	v_cmp_gt_f32_e32 vcc, v8, v3
	v_cndmask_b32_e32 v3, v3, v8, vcc
	s_cselect_b32 s3, 1, s3
	s_and_b64 s[8:9], vcc, exec
	v_cmp_gt_f32_e32 vcc, v9, v3
	v_cndmask_b32_e32 v3, v3, v9, vcc
	s_cselect_b32 s3, 2, s3
	s_and_b64 s[8:9], vcc, exec
	s_waitcnt lgkmcnt(1)
	v_cmp_gt_f32_e32 vcc, v10, v3
	v_cndmask_b32_e32 v3, v3, v10, vcc
	s_cselect_b32 s3, 3, s3
	s_and_b64 s[8:9], vcc, exec
	v_cmp_gt_f32_e32 vcc, v11, v3
	v_cndmask_b32_e32 v3, v3, v11, vcc
	s_cselect_b32 s3, 4, s3
	s_and_b64 s[8:9], vcc, exec
	s_waitcnt lgkmcnt(0)
	v_cmp_gt_f32_e32 vcc, v12, v3
	v_cndmask_b32_e32 v3, v3, v12, vcc
	s_cselect_b32 s3, 5, s3
	s_and_b64 s[8:9], vcc, exec
	v_cmp_ngt_f32_e32 vcc, v13, v3
	s_cselect_b32 s3, 6, s3
	s_and_b64 s[8:9], vcc, exec
	s_cselect_b32 s3, s3, 7
	s_lshl_b32 s3, s3, 2
	s_add_i32 s3, s28, s3
	s_add_i32 s14, s14, -1
	v_mov_b32_e32 v3, s3
	s_cmp_lg_u32 s14, 0
	ds_write_b32 v3, v2
	s_cbranch_scc1 .LBB101_14
.LBB101_15:
	v_lshlrev_b32_e32 v5, 1, v0
	s_and_saveexec_b64 s[2:3], s[0:1]
	s_cbranch_execz .LBB101_20
; %bb.16:
	s_abs_i32 s12, s15
	v_cvt_f32_u32_e32 v2, s12
	s_load_dword s14, s[4:5], 0x4c
	s_ashr_i32 s20, s15, 31
	s_sub_i32 s15, 0, s12
	v_rcp_iflag_f32_e32 v2, v2
	v_lshlrev_b32_e32 v1, 1, v0
	s_waitcnt lgkmcnt(0)
	s_and_b32 s21, s14, 0xffff
	v_lshl_add_u32 v6, v0, 3, 0
	v_mul_f32_e32 v2, 0x4f7ffffe, v2
	v_cvt_u32_f32_e32 v2, v2
	s_mov_b64 s[8:9], 0
	s_lshl_b32 s22, s21, 1
	s_lshl_b32 s23, s21, 3
	v_mul_lo_u32 v3, s15, v2
	v_mul_hi_u32 v3, v2, v3
	v_add_u32_e32 v7, v2, v3
	s_mov_b32 s24, 0xff800000
	v_mov_b32_e32 v2, 0xff800000
	v_mov_b32_e32 v8, v0
	s_branch .LBB101_18
.LBB101_17:                             ;   in Loop: Header=BB101_18 Depth=1
	s_or_b64 exec, exec, s[14:15]
	v_add_u32_e32 v8, s21, v8
	v_cmp_le_i32_e32 vcc, s7, v8
	v_add_u32_e32 v1, s22, v1
	s_or_b64 s[8:9], vcc, s[8:9]
	v_add_u32_e32 v6, s23, v6
	s_andn2_b64 exec, exec, s[8:9]
	s_cbranch_execz .LBB101_20
.LBB101_18:                             ; =>This Inner Loop Header: Depth=1
	v_mul_hi_u32 v3, v1, v7
	v_mul_lo_u32 v9, v3, s12
	v_sub_u32_e32 v9, v1, v9
	v_add_u32_e32 v10, 1, v3
	v_cmp_le_u32_e32 vcc, s12, v9
	v_cndmask_b32_e32 v3, v3, v10, vcc
	v_subrev_u32_e32 v10, s12, v9
	v_cndmask_b32_e32 v9, v9, v10, vcc
	v_add_u32_e32 v10, 1, v3
	v_cmp_le_u32_e32 vcc, s12, v9
	v_cndmask_b32_e32 v3, v3, v10, vcc
	v_xor_b32_e32 v3, s20, v3
	v_subrev_u32_e32 v3, s20, v3
	v_lshl_add_u32 v3, v3, 2, s28
	ds_read_b32 v3, v3
	s_waitcnt lgkmcnt(0)
	v_cmp_neq_f32_e32 vcc, s24, v3
	s_and_saveexec_b64 s[14:15], vcc
	s_cbranch_execz .LBB101_17
; %bb.19:                               ;   in Loop: Header=BB101_18 Depth=1
	v_mov_b32_e32 v3, v2
	ds_write_b64 v6, v[2:3]
	s_branch .LBB101_17
.LBB101_20:
	s_or_b64 exec, exec, s[2:3]
	s_cmp_lt_i32 s13, 1
	s_waitcnt lgkmcnt(0)
	s_barrier
	s_cbranch_scc1 .LBB101_27
; %bb.21:
	s_add_u32 s2, s4, 64
	s_addc_u32 s3, s5, 0
	s_mov_b32 s12, 0
	v_mov_b32_e32 v6, 0
	v_mov_b32_e32 v7, 0xff800000
	;; [unrolled: 1-line block ×3, first 2 shown]
                                        ; implicit-def: $vgpr2
                                        ; implicit-def: $vgpr1
	s_branch .LBB101_23
.LBB101_22:                             ;   in Loop: Header=BB101_23 Depth=1
	s_or_b64 exec, exec, s[8:9]
	v_mov_b32_dpp v11, v9 quad_perm:[1,0,3,2] row_mask:0xf bank_mask:0xf
	v_cmp_lt_f32_e32 vcc, v9, v11
	v_cndmask_b32_e32 v9, v9, v11, vcc
	v_mov_b32_dpp v10, v8 quad_perm:[1,0,3,2] row_mask:0xf bank_mask:0xf
	v_cndmask_b32_e32 v8, v8, v10, vcc
	v_mov_b32_dpp v11, v9 quad_perm:[2,3,0,1] row_mask:0xf bank_mask:0xf
	v_cmp_gt_f32_e32 vcc, v11, v9
	v_cndmask_b32_e32 v9, v9, v11, vcc
	v_mov_b32_dpp v10, v8 quad_perm:[2,3,0,1] row_mask:0xf bank_mask:0xf
	v_cndmask_b32_e32 v8, v8, v10, vcc
	v_mov_b32_dpp v11, v9 row_half_mirror row_mask:0xf bank_mask:0xf
	v_cmp_gt_f32_e32 vcc, v11, v9
	v_cndmask_b32_e32 v9, v9, v11, vcc
	v_mov_b32_dpp v10, v8 row_half_mirror row_mask:0xf bank_mask:0xf
	v_cndmask_b32_e32 v8, v8, v10, vcc
	v_mov_b32_dpp v11, v9 row_mirror row_mask:0xf bank_mask:0xf
	v_cmp_gt_f32_e32 vcc, v11, v9
	v_cndmask_b32_e32 v9, v9, v11, vcc
	v_mov_b32_dpp v10, v8 row_mirror row_mask:0xf bank_mask:0xf
	v_cndmask_b32_e32 v8, v8, v10, vcc
	v_mov_b32_dpp v11, v9 row_bcast:15 row_mask:0xf bank_mask:0xf
	v_cmp_gt_f32_e32 vcc, v11, v9
	v_mov_b32_dpp v10, v8 row_bcast:15 row_mask:0xf bank_mask:0xf
	v_cndmask_b32_e32 v9, v9, v11, vcc
	v_cndmask_b32_e32 v8, v8, v10, vcc
	s_nop 0
	v_mov_b32_dpp v11, v9 row_bcast:31 row_mask:0xf bank_mask:0xf
	v_mov_b32_dpp v10, v8 row_bcast:31 row_mask:0xf bank_mask:0xf
	v_cmp_gt_f32_e32 vcc, v11, v9
	v_cndmask_b32_e32 v8, v8, v10, vcc
	v_readlane_b32 s8, v8, 63
	s_ashr_i32 s9, s8, 31
	s_lshl_b64 s[14:15], s[8:9], 1
	s_add_u32 s14, s16, s14
	s_addc_u32 s15, s17, s15
	global_load_ushort v8, v6, s[14:15]
	v_cndmask_b32_e32 v9, v9, v11, vcc
	v_readlane_b32 s9, v9, 63
	v_mov_b32_e32 v9, s8
	s_lshl_b32 s8, s8, 2
	v_cmp_eq_u32_e32 vcc, s12, v0
	s_add_i32 s12, s12, 1
	s_add_i32 s8, s8, 0
	v_cndmask_b32_e32 v1, v1, v9, vcc
	v_mov_b32_e32 v9, s8
	s_cmp_eq_u32 s12, s13
	ds_write_b32 v9, v7
	s_waitcnt vmcnt(0)
	v_cvt_f32_f16_e32 v8, v8
	v_sub_f32_e32 v8, s9, v8
	v_cndmask_b32_e32 v2, v2, v8, vcc
	v_add_f32_e32 v3, v3, v8
	s_cbranch_scc1 .LBB101_28
.LBB101_23:                             ; =>This Loop Header: Depth=1
                                        ;     Child Loop BB101_25 Depth 2
	v_mov_b32_e32 v8, s12
	v_mov_b32_e32 v9, 0xff800000
	s_and_saveexec_b64 s[8:9], s[0:1]
	s_cbranch_execz .LBB101_22
; %bb.24:                               ;   in Loop: Header=BB101_23 Depth=1
	s_load_dword s20, s[2:3], 0xc
	s_mov_b64 s[14:15], 0
	v_mov_b32_e32 v8, s12
	v_mov_b32_e32 v9, 0xff800000
	;; [unrolled: 1-line block ×3, first 2 shown]
	s_waitcnt lgkmcnt(0)
	s_and_b32 s20, s20, 0xffff
	s_lshl_b32 s21, s20, 1
	s_lshl_b32 s22, s20, 3
	v_mov_b32_e32 v11, v5
	v_mov_b32_e32 v12, v0
.LBB101_25:                             ;   Parent Loop BB101_23 Depth=1
                                        ; =>  This Inner Loop Header: Depth=2
	ds_read_b64 v[14:15], v10
	v_add_u32_e32 v12, s20, v12
	v_cmp_le_i32_e32 vcc, s7, v12
	s_or_b64 s[14:15], vcc, s[14:15]
	v_add_u32_e32 v13, 1, v11
	s_waitcnt lgkmcnt(0)
	v_cmp_gt_f32_e32 vcc, v14, v9
	v_cndmask_b32_e32 v9, v9, v14, vcc
	v_cndmask_b32_e32 v8, v8, v11, vcc
	v_cmp_gt_f32_e32 vcc, v15, v9
	v_add_u32_e32 v10, s22, v10
	v_cndmask_b32_e32 v9, v9, v15, vcc
	v_add_u32_e32 v11, s21, v11
	v_cndmask_b32_e32 v8, v8, v13, vcc
	s_andn2_b64 exec, exec, s[14:15]
	s_cbranch_execnz .LBB101_25
; %bb.26:                               ;   in Loop: Header=BB101_23 Depth=1
	s_or_b64 exec, exec, s[14:15]
	s_branch .LBB101_22
.LBB101_27:
	v_mov_b32_e32 v3, 0
                                        ; implicit-def: $vgpr2
                                        ; implicit-def: $vgpr1
.LBB101_28:
	v_cmp_gt_i32_e32 vcc, s13, v0
	s_and_saveexec_b64 s[0:1], vcc
	s_cbranch_execz .LBB101_31
; %bb.29:
	s_load_dword s7, s[4:5], 0x38
	s_load_dwordx2 s[0:1], s[4:5], 0x20
	s_load_dword s8, s[4:5], 0x4c
	s_waitcnt lgkmcnt(0)
	v_div_scale_f32 v4, s[2:3], v3, v3, s7
	v_rcp_f32_e32 v5, v4
	v_div_scale_f32 v6, vcc, s7, v3, s7
	s_ashr_i32 s2, s6, 31
	v_fma_f32 v7, -v4, v5, 1.0
	v_fmac_f32_e32 v5, v7, v5
	v_mul_f32_e32 v7, v6, v5
	v_fma_f32 v8, -v4, v7, v6
	v_fmac_f32_e32 v7, v8, v5
	v_fma_f32 v4, -v4, v7, v6
	s_mul_i32 s1, s6, s1
	s_mul_hi_u32 s3, s6, s0
	v_div_fmas_f32 v4, v4, v5, v7
	s_add_i32 s1, s3, s1
	s_mul_i32 s2, s2, s0
	v_div_fixup_f32 v3, v4, v3, s7
	s_add_i32 s4, s1, s2
	v_mul_f32_e32 v2, v3, v2
	s_mul_i32 s2, s6, s0
	s_and_b32 s3, s8, 0xffff
	s_mov_b64 s[0:1], 0
	v_mov_b32_e32 v3, s4
	v_mov_b32_e32 v4, s19
	;; [unrolled: 1-line block ×3, first 2 shown]
.LBB101_30:                             ; =>This Inner Loop Header: Depth=1
	v_ashrrev_i32_e32 v7, 31, v0
	v_add_co_u32_e32 v6, vcc, s2, v0
	v_addc_co_u32_e32 v7, vcc, v3, v7, vcc
	v_add_u32_e32 v0, s3, v0
	v_cmp_le_i32_e32 vcc, s13, v0
	v_lshlrev_b64 v[6:7], 2, v[6:7]
	s_or_b64 s[0:1], vcc, s[0:1]
	v_add_co_u32_e32 v8, vcc, s18, v6
	v_addc_co_u32_e32 v9, vcc, v4, v7, vcc
	v_add_co_u32_e32 v6, vcc, s10, v6
	v_addc_co_u32_e32 v7, vcc, v5, v7, vcc
	global_store_dword v[8:9], v2, off
	global_store_dword v[6:7], v1, off
	s_andn2_b64 exec, exec, s[0:1]
	s_cbranch_execnz .LBB101_30
.LBB101_31:
	s_endpgm
	.section	.rodata,"a",@progbits
	.p2align	6, 0x0
	.amdhsa_kernel _ZN5aiter19grouped_topk_kernelIN3c104HalfEDv2_fLi8ELb1ELb1ELb0EEEvPT_PKS4_PfPimiiiif
		.amdhsa_group_segment_fixed_size 0
		.amdhsa_private_segment_fixed_size 0
		.amdhsa_kernarg_size 320
		.amdhsa_user_sgpr_count 6
		.amdhsa_user_sgpr_private_segment_buffer 1
		.amdhsa_user_sgpr_dispatch_ptr 0
		.amdhsa_user_sgpr_queue_ptr 0
		.amdhsa_user_sgpr_kernarg_segment_ptr 1
		.amdhsa_user_sgpr_dispatch_id 0
		.amdhsa_user_sgpr_flat_scratch_init 0
		.amdhsa_user_sgpr_kernarg_preload_length 0
		.amdhsa_user_sgpr_kernarg_preload_offset 0
		.amdhsa_user_sgpr_private_segment_size 0
		.amdhsa_uses_dynamic_stack 0
		.amdhsa_system_sgpr_private_segment_wavefront_offset 0
		.amdhsa_system_sgpr_workgroup_id_x 1
		.amdhsa_system_sgpr_workgroup_id_y 0
		.amdhsa_system_sgpr_workgroup_id_z 0
		.amdhsa_system_sgpr_workgroup_info 0
		.amdhsa_system_vgpr_workitem_id 0
		.amdhsa_next_free_vgpr 24
		.amdhsa_next_free_sgpr 31
		.amdhsa_accum_offset 24
		.amdhsa_reserve_vcc 1
		.amdhsa_reserve_flat_scratch 0
		.amdhsa_float_round_mode_32 0
		.amdhsa_float_round_mode_16_64 0
		.amdhsa_float_denorm_mode_32 3
		.amdhsa_float_denorm_mode_16_64 3
		.amdhsa_dx10_clamp 1
		.amdhsa_ieee_mode 1
		.amdhsa_fp16_overflow 0
		.amdhsa_tg_split 0
		.amdhsa_exception_fp_ieee_invalid_op 0
		.amdhsa_exception_fp_denorm_src 0
		.amdhsa_exception_fp_ieee_div_zero 0
		.amdhsa_exception_fp_ieee_overflow 0
		.amdhsa_exception_fp_ieee_underflow 0
		.amdhsa_exception_fp_ieee_inexact 0
		.amdhsa_exception_int_div_zero 0
	.end_amdhsa_kernel
	.section	.text._ZN5aiter19grouped_topk_kernelIN3c104HalfEDv2_fLi8ELb1ELb1ELb0EEEvPT_PKS4_PfPimiiiif,"axG",@progbits,_ZN5aiter19grouped_topk_kernelIN3c104HalfEDv2_fLi8ELb1ELb1ELb0EEEvPT_PKS4_PfPimiiiif,comdat
.Lfunc_end101:
	.size	_ZN5aiter19grouped_topk_kernelIN3c104HalfEDv2_fLi8ELb1ELb1ELb0EEEvPT_PKS4_PfPimiiiif, .Lfunc_end101-_ZN5aiter19grouped_topk_kernelIN3c104HalfEDv2_fLi8ELb1ELb1ELb0EEEvPT_PKS4_PfPimiiiif
                                        ; -- End function
	.section	.AMDGPU.csdata,"",@progbits
; Kernel info:
; codeLenInByte = 2444
; NumSgprs: 35
; NumVgprs: 24
; NumAgprs: 0
; TotalNumVgprs: 24
; ScratchSize: 0
; MemoryBound: 0
; FloatMode: 240
; IeeeMode: 1
; LDSByteSize: 0 bytes/workgroup (compile time only)
; SGPRBlocks: 4
; VGPRBlocks: 2
; NumSGPRsForWavesPerEU: 35
; NumVGPRsForWavesPerEU: 24
; AccumOffset: 24
; Occupancy: 8
; WaveLimiterHint : 0
; COMPUTE_PGM_RSRC2:SCRATCH_EN: 0
; COMPUTE_PGM_RSRC2:USER_SGPR: 6
; COMPUTE_PGM_RSRC2:TRAP_HANDLER: 0
; COMPUTE_PGM_RSRC2:TGID_X_EN: 1
; COMPUTE_PGM_RSRC2:TGID_Y_EN: 0
; COMPUTE_PGM_RSRC2:TGID_Z_EN: 0
; COMPUTE_PGM_RSRC2:TIDIG_COMP_CNT: 0
; COMPUTE_PGM_RSRC3_GFX90A:ACCUM_OFFSET: 5
; COMPUTE_PGM_RSRC3_GFX90A:TG_SPLIT: 0
	.section	.text._ZN5aiter19grouped_topk_kernelIN3c108BFloat16EDv2_fLi8ELb1ELb1ELb0EEEvPT_PKS4_PfPimiiiif,"axG",@progbits,_ZN5aiter19grouped_topk_kernelIN3c108BFloat16EDv2_fLi8ELb1ELb1ELb0EEEvPT_PKS4_PfPimiiiif,comdat
	.protected	_ZN5aiter19grouped_topk_kernelIN3c108BFloat16EDv2_fLi8ELb1ELb1ELb0EEEvPT_PKS4_PfPimiiiif ; -- Begin function _ZN5aiter19grouped_topk_kernelIN3c108BFloat16EDv2_fLi8ELb1ELb1ELb0EEEvPT_PKS4_PfPimiiiif
	.globl	_ZN5aiter19grouped_topk_kernelIN3c108BFloat16EDv2_fLi8ELb1ELb1ELb0EEEvPT_PKS4_PfPimiiiif
	.p2align	8
	.type	_ZN5aiter19grouped_topk_kernelIN3c108BFloat16EDv2_fLi8ELb1ELb1ELb0EEEvPT_PKS4_PfPimiiiif,@function
_ZN5aiter19grouped_topk_kernelIN3c108BFloat16EDv2_fLi8ELb1ELb1ELb0EEEvPT_PKS4_PfPimiiiif: ; @_ZN5aiter19grouped_topk_kernelIN3c108BFloat16EDv2_fLi8ELb1ELb1ELb0EEEvPT_PKS4_PfPimiiiif
; %bb.0:
	s_load_dwordx4 s[12:15], s[4:5], 0x28
	s_load_dwordx4 s[16:19], s[4:5], 0x8
	s_load_dwordx2 s[10:11], s[4:5], 0x18
	v_lshl_add_u32 v4, v0, 3, 0
	s_waitcnt lgkmcnt(0)
	s_lshr_b32 s0, s12, 31
	s_add_i32 s0, s12, s0
	s_ashr_i32 s7, s0, 1
	v_cmp_gt_i32_e64 s[0:1], s7, v0
	s_and_saveexec_b64 s[8:9], s[0:1]
	s_cbranch_execz .LBB102_3
; %bb.1:
	s_load_dwordx2 s[2:3], s[4:5], 0x0
	s_load_dword s22, s[4:5], 0x4c
	s_mul_i32 s20, s6, s12
	s_ashr_i32 s21, s20, 31
	s_lshl_b64 s[20:21], s[20:21], 1
	s_waitcnt lgkmcnt(0)
	s_add_u32 s15, s2, s20
	s_addc_u32 s2, s3, s21
	s_and_b32 s22, s22, 0xffff
	s_mov_b32 s3, 0
	v_lshlrev_b32_e32 v2, 2, v0
	v_mov_b32_e32 v1, 0
	s_lshl_b32 s23, s22, 2
	v_lshl_add_u32 v3, v0, 3, 0
	s_lshl_b32 s24, s22, 3
	s_mov_b64 s[20:21], 0
	v_mov_b32_e32 v5, s2
	v_mov_b32_e32 v6, s17
	s_mov_b32 s25, 0xbfb8aa3b
	s_mov_b32 s26, 0x42ce8ed0
	;; [unrolled: 1-line block ×3, first 2 shown]
	v_mov_b32_e32 v7, 0x7f800000
	v_mov_b32_e32 v8, s3
	;; [unrolled: 1-line block ×3, first 2 shown]
.LBB102_2:                              ; =>This Inner Loop Header: Depth=1
	v_add_co_u32_e32 v10, vcc, s15, v2
	v_addc_co_u32_e32 v11, vcc, v5, v1, vcc
	v_add_co_u32_e32 v12, vcc, s16, v2
	v_addc_co_u32_e32 v13, vcc, v6, v1, vcc
	global_load_dword v14, v[10:11], off
	global_load_dword v15, v[12:13], off
	v_add_co_u32_e32 v2, vcc, s23, v2
	v_add_u32_e32 v9, s22, v9
	v_addc_co_u32_e32 v1, vcc, v1, v8, vcc
	v_cmp_le_i32_e32 vcc, s7, v9
	s_or_b64 s[20:21], vcc, s[20:21]
	s_waitcnt vmcnt(1)
	v_cvt_f32_u32_sdwa v12, v14 dst_sel:DWORD dst_unused:UNUSED_PAD src0_sel:WORD_1
	v_cvt_f32_u32_sdwa v13, v14 dst_sel:DWORD dst_unused:UNUSED_PAD src0_sel:WORD_0
	s_waitcnt vmcnt(0)
	v_cvt_f32_u32_sdwa v11, v15 dst_sel:DWORD dst_unused:UNUSED_PAD src0_sel:WORD_1
	v_cvt_f32_u32_sdwa v10, v15 dst_sel:DWORD dst_unused:UNUSED_PAD src0_sel:WORD_0
	v_mul_f32_e32 v14, 0xbfb8aa3b, v12
	v_mul_f32_e32 v15, 0xbfb8aa3b, v13
	v_fma_f32 v16, v12, s25, -v14
	v_rndne_f32_e32 v17, v14
	v_fma_f32 v18, v13, s25, -v15
	v_rndne_f32_e32 v19, v15
	v_fmac_f32_e32 v16, 0xb2a5705f, v12
	v_sub_f32_e32 v14, v14, v17
	v_fmac_f32_e32 v18, 0xb2a5705f, v13
	v_sub_f32_e32 v15, v15, v19
	v_add_f32_e32 v14, v14, v16
	v_add_f32_e32 v15, v15, v18
	v_cvt_i32_f32_e32 v17, v17
	v_cvt_i32_f32_e32 v19, v19
	v_exp_f32_e32 v14, v14
	v_exp_f32_e32 v15, v15
	v_cmp_nlt_f32_e32 vcc, s26, v13
	v_cmp_nlt_f32_e64 s[2:3], s26, v12
	v_ldexp_f32 v14, v14, v17
	v_ldexp_f32 v15, v15, v19
	v_cndmask_b32_e64 v14, 0, v14, s[2:3]
	v_cndmask_b32_e32 v15, 0, v15, vcc
	v_cmp_ngt_f32_e32 vcc, s27, v13
	v_cmp_ngt_f32_e64 s[2:3], s27, v12
	v_cndmask_b32_e64 v13, v7, v14, s[2:3]
	v_cndmask_b32_e32 v12, v7, v15, vcc
	v_pk_add_f32 v[12:13], v[12:13], 1.0 op_sel_hi:[1,0]
	v_div_scale_f32 v14, s[2:3], v13, v13, 1.0
	v_div_scale_f32 v16, s[2:3], v12, v12, 1.0
	v_rcp_f32_e32 v18, v14
	v_rcp_f32_e32 v19, v16
	v_div_scale_f32 v15, vcc, 1.0, v13, 1.0
	v_fma_f32 v20, -v14, v18, 1.0
	v_fma_f32 v21, -v16, v19, 1.0
	v_fmac_f32_e32 v18, v20, v18
	v_div_scale_f32 v17, s[2:3], 1.0, v12, 1.0
	v_fmac_f32_e32 v19, v21, v19
	v_mul_f32_e32 v20, v15, v18
	v_mul_f32_e32 v21, v17, v19
	v_fma_f32 v22, -v14, v20, v15
	v_fma_f32 v23, -v16, v21, v17
	v_fmac_f32_e32 v20, v22, v18
	v_fmac_f32_e32 v21, v23, v19
	v_fma_f32 v14, -v14, v20, v15
	v_fma_f32 v15, -v16, v21, v17
	v_div_fmas_f32 v14, v14, v18, v20
	s_mov_b64 vcc, s[2:3]
	v_div_fixup_f32 v13, v14, v13, 1.0
	v_div_fmas_f32 v14, v15, v19, v21
	v_div_fixup_f32 v12, v14, v12, 1.0
	v_pk_add_f32 v[10:11], v[12:13], v[10:11]
	ds_write_b64 v3, v[10:11]
	v_add_u32_e32 v3, s24, v3
	s_andn2_b64 exec, exec, s[20:21]
	s_cbranch_execnz .LBB102_2
.LBB102_3:
	s_or_b64 exec, exec, s[8:9]
	s_ashr_i32 s2, s12, 31
	s_lshr_b32 s3, s2, 29
	s_add_i32 s3, s12, s3
	s_ashr_i32 s15, s3, 3
	s_lshl_b32 s3, s12, 2
	s_add_i32 s28, s3, 0
	v_cmp_gt_u32_e32 vcc, 64, v0
	s_waitcnt lgkmcnt(0)
	s_barrier
	s_and_saveexec_b64 s[20:21], vcc
	s_cbranch_execz .LBB102_12
; %bb.4:
	s_load_dword s8, s[4:5], 0x4c
	v_lshrrev_b32_e32 v2, 3, v0
	s_lshr_b32 s2, s2, 28
	v_and_b32_e32 v1, 7, v0
	s_add_i32 s2, s12, s2
	s_waitcnt lgkmcnt(0)
	s_bfe_u32 s29, s8, 0xd0003
	v_mul_lo_u32 v3, s15, v2
	s_ashr_i32 s12, s2, 4
	v_lshlrev_b32_e32 v3, 2, v3
	v_lshlrev_b32_e32 v5, 3, v1
	s_mul_i32 s8, s15, s29
	v_cmp_gt_i32_e32 vcc, s12, v1
	v_cmp_eq_u32_e64 s[2:3], 0, v1
	v_add3_u32 v3, v3, v5, 0
	s_lshl_b32 s30, s8, 2
	s_mov_b64 s[22:23], 0
	s_branch .LBB102_6
.LBB102_5:                              ;   in Loop: Header=BB102_6 Depth=1
	s_or_b64 exec, exec, s[24:25]
	v_add_u32_e32 v2, s29, v2
	v_cmp_lt_u32_e64 s[8:9], 7, v2
	s_or_b64 s[22:23], s[8:9], s[22:23]
	v_add_u32_e32 v3, s30, v3
	s_andn2_b64 exec, exec, s[22:23]
	s_cbranch_execz .LBB102_12
.LBB102_6:                              ; =>This Loop Header: Depth=1
                                        ;     Child Loop BB102_8 Depth 2
	v_mov_b32_e32 v5, 0xff800000
	v_mov_b32_e32 v8, 0xff800000
	s_and_saveexec_b64 s[24:25], vcc
	s_cbranch_execz .LBB102_10
; %bb.7:                                ;   in Loop: Header=BB102_6 Depth=1
	s_mov_b64 s[26:27], 0
	v_mov_b32_e32 v5, 0xff800000
	v_mov_b32_e32 v6, v3
	;; [unrolled: 1-line block ×4, first 2 shown]
.LBB102_8:                              ;   Parent Loop BB102_6 Depth=1
                                        ; =>  This Inner Loop Header: Depth=2
	ds_read_b64 v[10:11], v6
	v_add_u32_e32 v7, 8, v7
	v_max_f32_e32 v8, v8, v8
	v_cmp_le_i32_e64 s[8:9], s12, v7
	s_or_b64 s[26:27], s[8:9], s[26:27]
	s_waitcnt lgkmcnt(0)
	v_max_f32_e32 v12, v10, v10
	v_max_f32_e32 v8, v12, v8
	v_cmp_gt_f32_e64 s[8:9], v10, v5
	v_max_f32_e32 v9, v5, v5
	v_cndmask_b32_e64 v8, v8, v5, s[8:9]
	v_max_f32_e32 v13, v11, v11
	v_max_f32_e32 v9, v12, v9
	;; [unrolled: 1-line block ×4, first 2 shown]
	v_cmp_gt_f32_e64 s[8:9], v11, v9
	v_add_u32_e32 v6, 64, v6
	v_max_f32_e32 v5, v13, v9
	v_cndmask_b32_e64 v8, v8, v9, s[8:9]
	s_andn2_b64 exec, exec, s[26:27]
	s_cbranch_execnz .LBB102_8
; %bb.9:                                ;   in Loop: Header=BB102_6 Depth=1
	s_or_b64 exec, exec, s[26:27]
.LBB102_10:                             ;   in Loop: Header=BB102_6 Depth=1
	s_or_b64 exec, exec, s[24:25]
	v_mov_b32_dpp v6, v5 quad_perm:[1,0,3,2] row_mask:0xf bank_mask:0xf bound_ctrl:1
	v_mov_b32_dpp v7, v8 quad_perm:[1,0,3,2] row_mask:0xf bank_mask:0xf bound_ctrl:1
	v_max_f32_e32 v9, v6, v6
	v_max_f32_e32 v8, v8, v8
	v_max_f32_e32 v8, v9, v8
	v_cmp_lt_f32_e64 s[8:9], v5, v6
	v_cndmask_b32_e64 v6, v8, v5, s[8:9]
	v_max_f32_e32 v5, v5, v5
	v_max_f32_e32 v5, v9, v5
	;; [unrolled: 1-line block ×5, first 2 shown]
	s_nop 0
	v_mov_b32_dpp v7, v5 quad_perm:[2,3,0,1] row_mask:0xf bank_mask:0xf bound_ctrl:1
	v_max_f32_e32 v9, v7, v7
	v_mov_b32_dpp v8, v6 quad_perm:[2,3,0,1] row_mask:0xf bank_mask:0xf bound_ctrl:1
	v_max_f32_e32 v6, v9, v6
	v_cmp_lt_f32_e64 s[8:9], v5, v7
	v_cndmask_b32_e64 v6, v6, v5, s[8:9]
	v_max_f32_e32 v7, v8, v8
	v_max_f32_e32 v5, v9, v5
	;; [unrolled: 1-line block ×3, first 2 shown]
	s_nop 0
	v_mov_b32_dpp v7, v5 row_half_mirror row_mask:0xf bank_mask:0xf bound_ctrl:1
	v_mov_b32_dpp v6, v8 row_half_mirror row_mask:0xf bank_mask:0xf bound_ctrl:1
	s_and_saveexec_b64 s[24:25], s[2:3]
	s_cbranch_execz .LBB102_5
; %bb.11:                               ;   in Loop: Header=BB102_6 Depth=1
	v_max_f32_e32 v8, v8, v8
	v_max_f32_e32 v10, v7, v7
	;; [unrolled: 1-line block ×3, first 2 shown]
	v_cmp_lt_f32_e64 s[8:9], v5, v7
	v_cndmask_b32_e64 v7, v8, v5, s[8:9]
	v_max_f32_e32 v7, v7, v7
	v_max_f32_e32 v6, v6, v6
	;; [unrolled: 1-line block ×5, first 2 shown]
	v_lshl_add_u32 v9, v2, 2, s28
	v_add_f32_e32 v5, v5, v6
	ds_write_b32 v9, v5
	s_branch .LBB102_5
.LBB102_12:
	s_or_b64 exec, exec, s[20:21]
	s_cmp_lt_i32 s14, 1
	s_waitcnt lgkmcnt(0)
	s_barrier
	s_cbranch_scc1 .LBB102_15
; %bb.13:
	v_mov_b32_e32 v1, s28
	s_mov_b32 s2, 0xff800000
	v_mov_b32_e32 v2, 0xff800000
.LBB102_14:                             ; =>This Inner Loop Header: Depth=1
	ds_read2_b32 v[6:7], v1 offset1:1
	ds_read2_b32 v[8:9], v1 offset0:2 offset1:3
	ds_read2_b32 v[10:11], v1 offset0:4 offset1:5
	;; [unrolled: 1-line block ×3, first 2 shown]
	s_waitcnt lgkmcnt(3)
	v_cmp_nlg_f32_e32 vcc, s2, v6
	v_cndmask_b32_e64 v3, 0, 1, vcc
	v_cmp_lg_f32_e32 vcc, s2, v6
	v_readfirstlane_b32 s3, v3
	v_cndmask_b32_e32 v3, v2, v6, vcc
	v_cmp_gt_f32_e32 vcc, v7, v3
	s_lshl_b32 s3, s3, 3
	v_cndmask_b32_e32 v3, v3, v7, vcc
	s_and_b64 s[8:9], vcc, exec
	s_waitcnt lgkmcnt(2)
	v_cmp_gt_f32_e32 vcc, v8, v3
	v_cndmask_b32_e32 v3, v3, v8, vcc
	s_cselect_b32 s3, 1, s3
	s_and_b64 s[8:9], vcc, exec
	v_cmp_gt_f32_e32 vcc, v9, v3
	v_cndmask_b32_e32 v3, v3, v9, vcc
	s_cselect_b32 s3, 2, s3
	s_and_b64 s[8:9], vcc, exec
	s_waitcnt lgkmcnt(1)
	v_cmp_gt_f32_e32 vcc, v10, v3
	v_cndmask_b32_e32 v3, v3, v10, vcc
	s_cselect_b32 s3, 3, s3
	s_and_b64 s[8:9], vcc, exec
	v_cmp_gt_f32_e32 vcc, v11, v3
	v_cndmask_b32_e32 v3, v3, v11, vcc
	s_cselect_b32 s3, 4, s3
	s_and_b64 s[8:9], vcc, exec
	s_waitcnt lgkmcnt(0)
	v_cmp_gt_f32_e32 vcc, v12, v3
	v_cndmask_b32_e32 v3, v3, v12, vcc
	s_cselect_b32 s3, 5, s3
	s_and_b64 s[8:9], vcc, exec
	v_cmp_ngt_f32_e32 vcc, v13, v3
	s_cselect_b32 s3, 6, s3
	s_and_b64 s[8:9], vcc, exec
	s_cselect_b32 s3, s3, 7
	s_lshl_b32 s3, s3, 2
	s_add_i32 s3, s28, s3
	s_add_i32 s14, s14, -1
	v_mov_b32_e32 v3, s3
	s_cmp_lg_u32 s14, 0
	ds_write_b32 v3, v2
	s_cbranch_scc1 .LBB102_14
.LBB102_15:
	v_lshlrev_b32_e32 v5, 1, v0
	s_and_saveexec_b64 s[2:3], s[0:1]
	s_cbranch_execz .LBB102_20
; %bb.16:
	s_abs_i32 s12, s15
	v_cvt_f32_u32_e32 v2, s12
	s_load_dword s14, s[4:5], 0x4c
	s_ashr_i32 s20, s15, 31
	s_sub_i32 s15, 0, s12
	v_rcp_iflag_f32_e32 v2, v2
	v_lshlrev_b32_e32 v1, 1, v0
	s_waitcnt lgkmcnt(0)
	s_and_b32 s21, s14, 0xffff
	v_lshl_add_u32 v6, v0, 3, 0
	v_mul_f32_e32 v2, 0x4f7ffffe, v2
	v_cvt_u32_f32_e32 v2, v2
	s_mov_b64 s[8:9], 0
	s_lshl_b32 s22, s21, 1
	s_lshl_b32 s23, s21, 3
	v_mul_lo_u32 v3, s15, v2
	v_mul_hi_u32 v3, v2, v3
	v_add_u32_e32 v7, v2, v3
	s_mov_b32 s24, 0xff800000
	v_mov_b32_e32 v2, 0xff800000
	v_mov_b32_e32 v8, v0
	s_branch .LBB102_18
.LBB102_17:                             ;   in Loop: Header=BB102_18 Depth=1
	s_or_b64 exec, exec, s[14:15]
	v_add_u32_e32 v8, s21, v8
	v_cmp_le_i32_e32 vcc, s7, v8
	v_add_u32_e32 v1, s22, v1
	s_or_b64 s[8:9], vcc, s[8:9]
	v_add_u32_e32 v6, s23, v6
	s_andn2_b64 exec, exec, s[8:9]
	s_cbranch_execz .LBB102_20
.LBB102_18:                             ; =>This Inner Loop Header: Depth=1
	v_mul_hi_u32 v3, v1, v7
	v_mul_lo_u32 v9, v3, s12
	v_sub_u32_e32 v9, v1, v9
	v_add_u32_e32 v10, 1, v3
	v_cmp_le_u32_e32 vcc, s12, v9
	v_cndmask_b32_e32 v3, v3, v10, vcc
	v_subrev_u32_e32 v10, s12, v9
	v_cndmask_b32_e32 v9, v9, v10, vcc
	v_add_u32_e32 v10, 1, v3
	v_cmp_le_u32_e32 vcc, s12, v9
	v_cndmask_b32_e32 v3, v3, v10, vcc
	v_xor_b32_e32 v3, s20, v3
	v_subrev_u32_e32 v3, s20, v3
	v_lshl_add_u32 v3, v3, 2, s28
	ds_read_b32 v3, v3
	s_waitcnt lgkmcnt(0)
	v_cmp_neq_f32_e32 vcc, s24, v3
	s_and_saveexec_b64 s[14:15], vcc
	s_cbranch_execz .LBB102_17
; %bb.19:                               ;   in Loop: Header=BB102_18 Depth=1
	v_mov_b32_e32 v3, v2
	ds_write_b64 v6, v[2:3]
	s_branch .LBB102_17
.LBB102_20:
	s_or_b64 exec, exec, s[2:3]
	s_cmp_lt_i32 s13, 1
	s_waitcnt lgkmcnt(0)
	s_barrier
	s_cbranch_scc1 .LBB102_27
; %bb.21:
	s_add_u32 s2, s4, 64
	s_addc_u32 s3, s5, 0
	s_mov_b32 s12, 0
	v_mov_b32_e32 v6, 0
	v_mov_b32_e32 v7, 0xff800000
	;; [unrolled: 1-line block ×3, first 2 shown]
                                        ; implicit-def: $vgpr2
                                        ; implicit-def: $vgpr1
	s_branch .LBB102_23
.LBB102_22:                             ;   in Loop: Header=BB102_23 Depth=1
	s_or_b64 exec, exec, s[8:9]
	v_mov_b32_dpp v11, v9 quad_perm:[1,0,3,2] row_mask:0xf bank_mask:0xf
	v_cmp_lt_f32_e32 vcc, v9, v11
	v_cndmask_b32_e32 v9, v9, v11, vcc
	v_mov_b32_dpp v10, v8 quad_perm:[1,0,3,2] row_mask:0xf bank_mask:0xf
	v_cndmask_b32_e32 v8, v8, v10, vcc
	v_mov_b32_dpp v11, v9 quad_perm:[2,3,0,1] row_mask:0xf bank_mask:0xf
	v_cmp_gt_f32_e32 vcc, v11, v9
	v_cndmask_b32_e32 v9, v9, v11, vcc
	v_mov_b32_dpp v10, v8 quad_perm:[2,3,0,1] row_mask:0xf bank_mask:0xf
	v_cndmask_b32_e32 v8, v8, v10, vcc
	v_mov_b32_dpp v11, v9 row_half_mirror row_mask:0xf bank_mask:0xf
	v_cmp_gt_f32_e32 vcc, v11, v9
	v_cndmask_b32_e32 v9, v9, v11, vcc
	v_mov_b32_dpp v10, v8 row_half_mirror row_mask:0xf bank_mask:0xf
	v_cndmask_b32_e32 v8, v8, v10, vcc
	v_mov_b32_dpp v11, v9 row_mirror row_mask:0xf bank_mask:0xf
	v_cmp_gt_f32_e32 vcc, v11, v9
	v_cndmask_b32_e32 v9, v9, v11, vcc
	v_mov_b32_dpp v10, v8 row_mirror row_mask:0xf bank_mask:0xf
	v_cndmask_b32_e32 v8, v8, v10, vcc
	v_mov_b32_dpp v11, v9 row_bcast:15 row_mask:0xf bank_mask:0xf
	v_cmp_gt_f32_e32 vcc, v11, v9
	v_mov_b32_dpp v10, v8 row_bcast:15 row_mask:0xf bank_mask:0xf
	v_cndmask_b32_e32 v9, v9, v11, vcc
	v_cndmask_b32_e32 v8, v8, v10, vcc
	s_nop 0
	v_mov_b32_dpp v11, v9 row_bcast:31 row_mask:0xf bank_mask:0xf
	v_mov_b32_dpp v10, v8 row_bcast:31 row_mask:0xf bank_mask:0xf
	v_cmp_gt_f32_e32 vcc, v11, v9
	v_cndmask_b32_e32 v8, v8, v10, vcc
	v_readlane_b32 s8, v8, 63
	s_ashr_i32 s9, s8, 31
	s_lshl_b64 s[14:15], s[8:9], 1
	s_add_u32 s14, s16, s14
	s_addc_u32 s15, s17, s15
	global_load_ushort v8, v6, s[14:15]
	v_cndmask_b32_e32 v9, v9, v11, vcc
	v_readlane_b32 s9, v9, 63
	v_mov_b32_e32 v9, s8
	s_lshl_b32 s8, s8, 2
	v_cmp_eq_u32_e32 vcc, s12, v0
	s_add_i32 s8, s8, 0
	v_cndmask_b32_e32 v1, v1, v9, vcc
	v_mov_b32_e32 v9, s8
	ds_write_b32 v9, v7
	s_add_i32 s12, s12, 1
	s_cmp_eq_u32 s12, s13
	s_waitcnt vmcnt(0)
	v_and_b32_e32 v9, 0xff, v8
	v_lshlrev_b32_e32 v8, 16, v8
	v_lshlrev_b32_e32 v9, 16, v9
	v_and_b32_e32 v8, 0xff000000, v8
	v_or_b32_e32 v8, v9, v8
	v_sub_f32_e32 v8, s9, v8
	v_cndmask_b32_e32 v2, v2, v8, vcc
	v_add_f32_e32 v3, v3, v8
	s_cbranch_scc1 .LBB102_28
.LBB102_23:                             ; =>This Loop Header: Depth=1
                                        ;     Child Loop BB102_25 Depth 2
	v_mov_b32_e32 v8, s12
	v_mov_b32_e32 v9, 0xff800000
	s_and_saveexec_b64 s[8:9], s[0:1]
	s_cbranch_execz .LBB102_22
; %bb.24:                               ;   in Loop: Header=BB102_23 Depth=1
	s_load_dword s20, s[2:3], 0xc
	s_mov_b64 s[14:15], 0
	v_mov_b32_e32 v8, s12
	v_mov_b32_e32 v9, 0xff800000
	;; [unrolled: 1-line block ×3, first 2 shown]
	s_waitcnt lgkmcnt(0)
	s_and_b32 s20, s20, 0xffff
	s_lshl_b32 s21, s20, 1
	s_lshl_b32 s22, s20, 3
	v_mov_b32_e32 v11, v5
	v_mov_b32_e32 v12, v0
.LBB102_25:                             ;   Parent Loop BB102_23 Depth=1
                                        ; =>  This Inner Loop Header: Depth=2
	ds_read_b64 v[14:15], v10
	v_add_u32_e32 v12, s20, v12
	v_cmp_le_i32_e32 vcc, s7, v12
	s_or_b64 s[14:15], vcc, s[14:15]
	v_add_u32_e32 v13, 1, v11
	s_waitcnt lgkmcnt(0)
	v_cmp_gt_f32_e32 vcc, v14, v9
	v_cndmask_b32_e32 v9, v9, v14, vcc
	v_cndmask_b32_e32 v8, v8, v11, vcc
	v_cmp_gt_f32_e32 vcc, v15, v9
	v_add_u32_e32 v10, s22, v10
	v_cndmask_b32_e32 v9, v9, v15, vcc
	v_add_u32_e32 v11, s21, v11
	v_cndmask_b32_e32 v8, v8, v13, vcc
	s_andn2_b64 exec, exec, s[14:15]
	s_cbranch_execnz .LBB102_25
; %bb.26:                               ;   in Loop: Header=BB102_23 Depth=1
	s_or_b64 exec, exec, s[14:15]
	s_branch .LBB102_22
.LBB102_27:
	v_mov_b32_e32 v3, 0
                                        ; implicit-def: $vgpr2
                                        ; implicit-def: $vgpr1
.LBB102_28:
	v_cmp_gt_i32_e32 vcc, s13, v0
	s_and_saveexec_b64 s[0:1], vcc
	s_cbranch_execz .LBB102_31
; %bb.29:
	s_load_dword s7, s[4:5], 0x38
	s_load_dwordx2 s[0:1], s[4:5], 0x20
	s_load_dword s8, s[4:5], 0x4c
	s_waitcnt lgkmcnt(0)
	v_div_scale_f32 v4, s[2:3], v3, v3, s7
	v_rcp_f32_e32 v5, v4
	v_div_scale_f32 v6, vcc, s7, v3, s7
	s_ashr_i32 s2, s6, 31
	v_fma_f32 v7, -v4, v5, 1.0
	v_fmac_f32_e32 v5, v7, v5
	v_mul_f32_e32 v7, v6, v5
	v_fma_f32 v8, -v4, v7, v6
	v_fmac_f32_e32 v7, v8, v5
	v_fma_f32 v4, -v4, v7, v6
	s_mul_i32 s1, s6, s1
	s_mul_hi_u32 s3, s6, s0
	v_div_fmas_f32 v4, v4, v5, v7
	s_add_i32 s1, s3, s1
	s_mul_i32 s2, s2, s0
	v_div_fixup_f32 v3, v4, v3, s7
	s_add_i32 s4, s1, s2
	v_mul_f32_e32 v2, v3, v2
	s_mul_i32 s2, s6, s0
	s_and_b32 s3, s8, 0xffff
	s_mov_b64 s[0:1], 0
	v_mov_b32_e32 v3, s4
	v_mov_b32_e32 v4, s19
	;; [unrolled: 1-line block ×3, first 2 shown]
.LBB102_30:                             ; =>This Inner Loop Header: Depth=1
	v_ashrrev_i32_e32 v7, 31, v0
	v_add_co_u32_e32 v6, vcc, s2, v0
	v_addc_co_u32_e32 v7, vcc, v3, v7, vcc
	v_add_u32_e32 v0, s3, v0
	v_cmp_le_i32_e32 vcc, s13, v0
	v_lshlrev_b64 v[6:7], 2, v[6:7]
	s_or_b64 s[0:1], vcc, s[0:1]
	v_add_co_u32_e32 v8, vcc, s18, v6
	v_addc_co_u32_e32 v9, vcc, v4, v7, vcc
	v_add_co_u32_e32 v6, vcc, s10, v6
	v_addc_co_u32_e32 v7, vcc, v5, v7, vcc
	global_store_dword v[8:9], v2, off
	global_store_dword v[6:7], v1, off
	s_andn2_b64 exec, exec, s[0:1]
	s_cbranch_execnz .LBB102_30
.LBB102_31:
	s_endpgm
	.section	.rodata,"a",@progbits
	.p2align	6, 0x0
	.amdhsa_kernel _ZN5aiter19grouped_topk_kernelIN3c108BFloat16EDv2_fLi8ELb1ELb1ELb0EEEvPT_PKS4_PfPimiiiif
		.amdhsa_group_segment_fixed_size 0
		.amdhsa_private_segment_fixed_size 0
		.amdhsa_kernarg_size 320
		.amdhsa_user_sgpr_count 6
		.amdhsa_user_sgpr_private_segment_buffer 1
		.amdhsa_user_sgpr_dispatch_ptr 0
		.amdhsa_user_sgpr_queue_ptr 0
		.amdhsa_user_sgpr_kernarg_segment_ptr 1
		.amdhsa_user_sgpr_dispatch_id 0
		.amdhsa_user_sgpr_flat_scratch_init 0
		.amdhsa_user_sgpr_kernarg_preload_length 0
		.amdhsa_user_sgpr_kernarg_preload_offset 0
		.amdhsa_user_sgpr_private_segment_size 0
		.amdhsa_uses_dynamic_stack 0
		.amdhsa_system_sgpr_private_segment_wavefront_offset 0
		.amdhsa_system_sgpr_workgroup_id_x 1
		.amdhsa_system_sgpr_workgroup_id_y 0
		.amdhsa_system_sgpr_workgroup_id_z 0
		.amdhsa_system_sgpr_workgroup_info 0
		.amdhsa_system_vgpr_workitem_id 0
		.amdhsa_next_free_vgpr 24
		.amdhsa_next_free_sgpr 31
		.amdhsa_accum_offset 24
		.amdhsa_reserve_vcc 1
		.amdhsa_reserve_flat_scratch 0
		.amdhsa_float_round_mode_32 0
		.amdhsa_float_round_mode_16_64 0
		.amdhsa_float_denorm_mode_32 3
		.amdhsa_float_denorm_mode_16_64 3
		.amdhsa_dx10_clamp 1
		.amdhsa_ieee_mode 1
		.amdhsa_fp16_overflow 0
		.amdhsa_tg_split 0
		.amdhsa_exception_fp_ieee_invalid_op 0
		.amdhsa_exception_fp_denorm_src 0
		.amdhsa_exception_fp_ieee_div_zero 0
		.amdhsa_exception_fp_ieee_overflow 0
		.amdhsa_exception_fp_ieee_underflow 0
		.amdhsa_exception_fp_ieee_inexact 0
		.amdhsa_exception_int_div_zero 0
	.end_amdhsa_kernel
	.section	.text._ZN5aiter19grouped_topk_kernelIN3c108BFloat16EDv2_fLi8ELb1ELb1ELb0EEEvPT_PKS4_PfPimiiiif,"axG",@progbits,_ZN5aiter19grouped_topk_kernelIN3c108BFloat16EDv2_fLi8ELb1ELb1ELb0EEEvPT_PKS4_PfPimiiiif,comdat
.Lfunc_end102:
	.size	_ZN5aiter19grouped_topk_kernelIN3c108BFloat16EDv2_fLi8ELb1ELb1ELb0EEEvPT_PKS4_PfPimiiiif, .Lfunc_end102-_ZN5aiter19grouped_topk_kernelIN3c108BFloat16EDv2_fLi8ELb1ELb1ELb0EEEvPT_PKS4_PfPimiiiif
                                        ; -- End function
	.section	.AMDGPU.csdata,"",@progbits
; Kernel info:
; codeLenInByte = 2464
; NumSgprs: 35
; NumVgprs: 24
; NumAgprs: 0
; TotalNumVgprs: 24
; ScratchSize: 0
; MemoryBound: 0
; FloatMode: 240
; IeeeMode: 1
; LDSByteSize: 0 bytes/workgroup (compile time only)
; SGPRBlocks: 4
; VGPRBlocks: 2
; NumSGPRsForWavesPerEU: 35
; NumVGPRsForWavesPerEU: 24
; AccumOffset: 24
; Occupancy: 8
; WaveLimiterHint : 0
; COMPUTE_PGM_RSRC2:SCRATCH_EN: 0
; COMPUTE_PGM_RSRC2:USER_SGPR: 6
; COMPUTE_PGM_RSRC2:TRAP_HANDLER: 0
; COMPUTE_PGM_RSRC2:TGID_X_EN: 1
; COMPUTE_PGM_RSRC2:TGID_Y_EN: 0
; COMPUTE_PGM_RSRC2:TGID_Z_EN: 0
; COMPUTE_PGM_RSRC2:TIDIG_COMP_CNT: 0
; COMPUTE_PGM_RSRC3_GFX90A:ACCUM_OFFSET: 5
; COMPUTE_PGM_RSRC3_GFX90A:TG_SPLIT: 0
	.section	.text._ZN5aiter19grouped_topk_kernelIfDv2_fLi8ELb1ELb0ELb1EEEvPT_PKS2_PfPimiiiif,"axG",@progbits,_ZN5aiter19grouped_topk_kernelIfDv2_fLi8ELb1ELb0ELb1EEEvPT_PKS2_PfPimiiiif,comdat
	.protected	_ZN5aiter19grouped_topk_kernelIfDv2_fLi8ELb1ELb0ELb1EEEvPT_PKS2_PfPimiiiif ; -- Begin function _ZN5aiter19grouped_topk_kernelIfDv2_fLi8ELb1ELb0ELb1EEEvPT_PKS2_PfPimiiiif
	.globl	_ZN5aiter19grouped_topk_kernelIfDv2_fLi8ELb1ELb0ELb1EEEvPT_PKS2_PfPimiiiif
	.p2align	8
	.type	_ZN5aiter19grouped_topk_kernelIfDv2_fLi8ELb1ELb0ELb1EEEvPT_PKS2_PfPimiiiif,@function
_ZN5aiter19grouped_topk_kernelIfDv2_fLi8ELb1ELb0ELb1EEEvPT_PKS2_PfPimiiiif: ; @_ZN5aiter19grouped_topk_kernelIfDv2_fLi8ELb1ELb0ELb1EEEvPT_PKS2_PfPimiiiif
; %bb.0:
	s_load_dwordx4 s[8:11], s[4:5], 0x28
	s_load_dwordx4 s[12:15], s[4:5], 0x10
	v_mov_b32_e32 v1, 0xff800000
	s_waitcnt lgkmcnt(0)
	v_cmp_gt_i32_e32 vcc, s8, v0
	s_and_saveexec_b64 s[2:3], vcc
	s_cbranch_execz .LBB103_4
; %bb.1:
	s_load_dword s0, s[4:5], 0x4c
	s_load_dwordx2 s[16:17], s[4:5], 0x0
	s_mul_i32 s7, s6, s8
	v_lshl_add_u32 v2, v0, 2, 0
	s_mov_b64 s[18:19], 0
	s_waitcnt lgkmcnt(0)
	s_and_b32 s11, s0, 0xffff
	s_lshl_b32 s20, s11, 2
	v_mov_b32_e32 v1, 0xff800000
	v_mov_b32_e32 v3, s17
	;; [unrolled: 1-line block ×3, first 2 shown]
.LBB103_2:                              ; =>This Inner Loop Header: Depth=1
	v_add_u32_e32 v6, s7, v4
	v_ashrrev_i32_e32 v7, 31, v6
	v_lshlrev_b64 v[6:7], 2, v[6:7]
	v_add_co_u32_e64 v6, s[0:1], s16, v6
	v_addc_co_u32_e64 v7, s[0:1], v3, v7, s[0:1]
	global_load_dword v5, v[6:7], off
	v_add_u32_e32 v4, s11, v4
	v_cmp_le_i32_e64 s[0:1], s8, v4
	s_or_b64 s[18:19], s[0:1], s[18:19]
	s_waitcnt vmcnt(0)
	v_cmp_gt_f32_e64 s[0:1], v5, v1
	ds_write_b32 v2, v5
	v_cndmask_b32_e64 v1, v1, v5, s[0:1]
	v_add_u32_e32 v2, s20, v2
	s_andn2_b64 exec, exec, s[18:19]
	s_cbranch_execnz .LBB103_2
; %bb.3:
	s_or_b64 exec, exec, s[18:19]
.LBB103_4:
	s_or_b64 exec, exec, s[2:3]
	v_mov_b32_dpp v2, v1 quad_perm:[1,0,3,2] row_mask:0xf bank_mask:0xf
	v_cmp_lt_f32_e64 s[0:1], v1, v2
	v_cndmask_b32_e64 v1, v1, v2, s[0:1]
	v_bfrev_b32_e32 v3, 0.5
	s_waitcnt lgkmcnt(0)
	v_mov_b32_dpp v2, v1 quad_perm:[2,3,0,1] row_mask:0xf bank_mask:0xf
	v_cmp_lt_f32_e64 s[0:1], v1, v2
	v_cndmask_b32_e64 v1, v1, v2, s[0:1]
	s_barrier
	s_nop 0
	v_mov_b32_dpp v2, v1 row_half_mirror row_mask:0xf bank_mask:0xf
	v_cmp_lt_f32_e64 s[0:1], v1, v2
	v_cndmask_b32_e64 v1, v1, v2, s[0:1]
	s_nop 1
	v_mov_b32_dpp v2, v1 row_mirror row_mask:0xf bank_mask:0xf
	v_cmp_lt_f32_e64 s[0:1], v1, v2
	v_cndmask_b32_e64 v1, v1, v2, s[0:1]
	s_nop 1
	v_mov_b32_dpp v2, v1 row_bcast:15 row_mask:0xf bank_mask:0xf
	v_cmp_lt_f32_e64 s[0:1], v1, v2
	v_cndmask_b32_e64 v1, v1, v2, s[0:1]
	s_nop 1
	v_mov_b32_dpp v2, v1 row_bcast:31 row_mask:0xf bank_mask:0xf
	v_cmp_lt_f32_e64 s[0:1], v1, v2
	v_cndmask_b32_e64 v2, v1, v2, s[0:1]
	v_mbcnt_lo_u32_b32 v1, -1, 0
	v_mbcnt_hi_u32_b32 v1, -1, v1
	v_lshl_or_b32 v1, v1, 2, v3
	ds_bpermute_b32 v3, v1, v2
	v_mov_b32_e32 v2, 0
	s_and_saveexec_b64 s[2:3], vcc
	s_cbranch_execz .LBB103_8
; %bb.5:
	s_load_dword s0, s[4:5], 0x4c
	v_lshl_add_u32 v4, v0, 2, 0
	s_mov_b64 s[16:17], 0
	v_mov_b32_e32 v2, 0
	s_mov_b32 s7, 0x3fb8aa3b
	s_waitcnt lgkmcnt(0)
	s_and_b32 s11, s0, 0xffff
	s_lshl_b32 s18, s11, 2
	s_mov_b32 s19, 0xc2ce8ed0
	s_mov_b32 s20, 0x42b17218
	v_mov_b32_e32 v5, 0x7f800000
	v_mov_b32_e32 v6, v0
.LBB103_6:                              ; =>This Inner Loop Header: Depth=1
	ds_read_b32 v7, v4
	v_add_u32_e32 v6, s11, v6
	s_waitcnt lgkmcnt(0)
	v_sub_f32_e32 v7, v7, v3
	v_mul_f32_e32 v8, 0x3fb8aa3b, v7
	v_fma_f32 v9, v7, s7, -v8
	v_rndne_f32_e32 v10, v8
	v_fmac_f32_e32 v9, 0x32a5705f, v7
	v_sub_f32_e32 v8, v8, v10
	v_add_f32_e32 v8, v8, v9
	v_cvt_i32_f32_e32 v10, v10
	v_exp_f32_e32 v8, v8
	v_cmp_ngt_f32_e64 s[0:1], s19, v7
	v_ldexp_f32 v8, v8, v10
	v_cndmask_b32_e64 v8, 0, v8, s[0:1]
	v_cmp_nlt_f32_e64 s[0:1], s20, v7
	v_cndmask_b32_e64 v7, v5, v8, s[0:1]
	v_cmp_le_i32_e64 s[0:1], s8, v6
	ds_write_b32 v4, v7
	v_add_f32_e32 v2, v2, v7
	s_or_b64 s[16:17], s[0:1], s[16:17]
	v_add_u32_e32 v4, s18, v4
	s_andn2_b64 exec, exec, s[16:17]
	s_cbranch_execnz .LBB103_6
; %bb.7:
	s_or_b64 exec, exec, s[16:17]
.LBB103_8:
	s_or_b64 exec, exec, s[2:3]
	s_waitcnt lgkmcnt(0)
	v_mov_b32_dpp v3, v2 quad_perm:[1,0,3,2] row_mask:0xf bank_mask:0xf
	v_add_f32_e32 v2, v2, v3
	s_barrier
	s_nop 0
	v_mov_b32_dpp v3, v2 quad_perm:[2,3,0,1] row_mask:0xf bank_mask:0xf
	v_add_f32_e32 v2, v2, v3
	s_nop 1
	v_mov_b32_dpp v3, v2 row_half_mirror row_mask:0xf bank_mask:0xf
	v_add_f32_e32 v2, v2, v3
	s_nop 1
	v_mov_b32_dpp v3, v2 row_mirror row_mask:0xf bank_mask:0xf
	v_add_f32_e32 v2, v2, v3
	s_nop 1
	v_mov_b32_dpp v3, v2 row_bcast:15 row_mask:0xf bank_mask:0xf
	v_add_f32_e32 v2, v2, v3
	s_nop 1
	v_mov_b32_dpp v3, v2 row_bcast:31 row_mask:0xf bank_mask:0xf
	v_add_f32_e32 v2, v2, v3
	ds_bpermute_b32 v1, v1, v2
	s_and_saveexec_b64 s[0:1], vcc
	s_cbranch_execz .LBB103_11
; %bb.9:
	s_load_dword s7, s[4:5], 0x4c
	v_lshl_add_u32 v2, v0, 2, 0
	s_mov_b64 s[2:3], 0
	v_mov_b32_e32 v3, v0
	s_waitcnt lgkmcnt(0)
	s_and_b32 s7, s7, 0xffff
	s_lshl_b32 s11, s7, 2
.LBB103_10:                             ; =>This Inner Loop Header: Depth=1
	ds_read_b32 v4, v2
	v_add_u32_e32 v3, s7, v3
	v_cmp_le_i32_e32 vcc, s8, v3
	s_or_b64 s[2:3], vcc, s[2:3]
	s_waitcnt lgkmcnt(0)
	v_div_scale_f32 v5, s[16:17], v1, v1, v4
	v_rcp_f32_e32 v6, v5
	v_div_scale_f32 v7, vcc, v4, v1, v4
	v_fma_f32 v8, -v5, v6, 1.0
	v_fmac_f32_e32 v6, v8, v6
	v_mul_f32_e32 v8, v7, v6
	v_fma_f32 v9, -v5, v8, v7
	v_fmac_f32_e32 v8, v9, v6
	v_fma_f32 v5, -v5, v8, v7
	v_div_fmas_f32 v5, v5, v6, v8
	v_div_fixup_f32 v4, v5, v1, v4
	ds_write_b32 v2, v4
	v_add_u32_e32 v2, s11, v2
	s_andn2_b64 exec, exec, s[2:3]
	s_cbranch_execnz .LBB103_10
.LBB103_11:
	s_or_b64 exec, exec, s[0:1]
	s_ashr_i32 s0, s8, 31
	s_lshr_b32 s0, s0, 29
	s_add_i32 s0, s8, s0
	s_ashr_i32 s11, s0, 3
	s_lshl_b32 s0, s8, 2
	s_add_i32 s7, s0, 0
	v_cmp_gt_u32_e32 vcc, 8, v0
	s_waitcnt lgkmcnt(0)
	s_barrier
	s_and_saveexec_b64 s[2:3], vcc
	s_cbranch_execz .LBB103_18
; %bb.12:
	s_load_dword s0, s[4:5], 0x4c
	v_mul_lo_u32 v1, v0, s11
	v_lshl_add_u32 v1, v1, 2, 0
	s_waitcnt lgkmcnt(0)
	s_and_b32 s20, s0, 0xffff
	s_cmp_gt_i32 s8, 7
	s_cselect_b64 s[0:1], -1, 0
	s_mul_i32 s16, s11, s20
	v_cndmask_b32_e64 v2, 0, 1, s[0:1]
	s_lshl_b32 s21, s16, 2
	s_mov_b64 s[16:17], 0
	v_cmp_ne_u32_e64 s[0:1], 1, v2
	v_mov_b32_e32 v2, v0
	s_branch .LBB103_14
.LBB103_13:                             ;   in Loop: Header=BB103_14 Depth=1
	v_lshl_add_u32 v4, v2, 2, s7
	v_add_u32_e32 v2, s20, v2
	v_cmp_lt_u32_e32 vcc, 7, v2
	s_or_b64 s[16:17], vcc, s[16:17]
	v_add_u32_e32 v1, s21, v1
	ds_write_b32 v4, v3
	s_andn2_b64 exec, exec, s[16:17]
	s_cbranch_execz .LBB103_18
.LBB103_14:                             ; =>This Loop Header: Depth=1
                                        ;     Child Loop BB103_16 Depth 2
	s_and_b64 vcc, exec, s[0:1]
	v_mov_b32_e32 v3, 0xff800000
	s_cbranch_vccnz .LBB103_13
; %bb.15:                               ;   in Loop: Header=BB103_14 Depth=1
	v_mul_lo_u32 v4, v2, s11
	v_add_u32_e32 v5, s11, v4
	s_mov_b64 s[18:19], 0
	v_mov_b32_e32 v3, 0xff800000
	v_mov_b32_e32 v6, v1
.LBB103_16:                             ;   Parent Loop BB103_14 Depth=1
                                        ; =>  This Inner Loop Header: Depth=2
	ds_read_b32 v7, v6
	v_add_u32_e32 v4, 1, v4
	v_cmp_ge_i32_e32 vcc, v4, v5
	s_or_b64 s[18:19], vcc, s[18:19]
	v_add_u32_e32 v6, 4, v6
	s_waitcnt lgkmcnt(0)
	v_cmp_gt_f32_e32 vcc, v7, v3
	v_cndmask_b32_e32 v3, v3, v7, vcc
	s_andn2_b64 exec, exec, s[18:19]
	s_cbranch_execnz .LBB103_16
; %bb.17:                               ;   in Loop: Header=BB103_14 Depth=1
	s_or_b64 exec, exec, s[18:19]
	s_branch .LBB103_13
.LBB103_18:
	s_or_b64 exec, exec, s[2:3]
	s_cmp_lt_i32 s10, 1
	s_waitcnt lgkmcnt(0)
	s_barrier
	s_cbranch_scc1 .LBB103_21
; %bb.19:
	v_mov_b32_e32 v1, s7
	s_mov_b32 s0, 0xff800000
	v_mov_b32_e32 v2, 0xff800000
.LBB103_20:                             ; =>This Inner Loop Header: Depth=1
	ds_read2_b32 v[4:5], v1 offset1:1
	ds_read2_b32 v[6:7], v1 offset0:2 offset1:3
	ds_read2_b32 v[8:9], v1 offset0:4 offset1:5
	;; [unrolled: 1-line block ×3, first 2 shown]
	s_waitcnt lgkmcnt(3)
	v_cmp_nlg_f32_e32 vcc, s0, v4
	v_cndmask_b32_e64 v3, 0, 1, vcc
	v_cmp_lg_f32_e32 vcc, s0, v4
	v_readfirstlane_b32 s1, v3
	v_cndmask_b32_e32 v3, v2, v4, vcc
	v_cmp_gt_f32_e32 vcc, v5, v3
	s_lshl_b32 s1, s1, 3
	v_cndmask_b32_e32 v3, v3, v5, vcc
	s_and_b64 s[2:3], vcc, exec
	s_waitcnt lgkmcnt(2)
	v_cmp_gt_f32_e32 vcc, v6, v3
	v_cndmask_b32_e32 v3, v3, v6, vcc
	s_cselect_b32 s1, 1, s1
	s_and_b64 s[2:3], vcc, exec
	v_cmp_gt_f32_e32 vcc, v7, v3
	v_cndmask_b32_e32 v3, v3, v7, vcc
	s_cselect_b32 s1, 2, s1
	s_and_b64 s[2:3], vcc, exec
	s_waitcnt lgkmcnt(1)
	v_cmp_gt_f32_e32 vcc, v8, v3
	v_cndmask_b32_e32 v3, v3, v8, vcc
	s_cselect_b32 s1, 3, s1
	s_and_b64 s[2:3], vcc, exec
	v_cmp_gt_f32_e32 vcc, v9, v3
	v_cndmask_b32_e32 v3, v3, v9, vcc
	s_cselect_b32 s1, 4, s1
	s_and_b64 s[2:3], vcc, exec
	s_waitcnt lgkmcnt(0)
	v_cmp_gt_f32_e32 vcc, v10, v3
	v_cndmask_b32_e32 v3, v3, v10, vcc
	s_cselect_b32 s1, 5, s1
	s_and_b64 s[2:3], vcc, exec
	v_cmp_ngt_f32_e32 vcc, v11, v3
	s_cselect_b32 s1, 6, s1
	s_and_b64 s[2:3], vcc, exec
	s_cselect_b32 s1, s1, 7
	s_lshl_b32 s1, s1, 2
	s_add_i32 s1, s7, s1
	s_add_i32 s10, s10, -1
	v_mov_b32_e32 v3, s1
	s_cmp_lg_u32 s10, 0
	ds_write_b32 v3, v2
	s_cbranch_scc1 .LBB103_20
.LBB103_21:
	s_lshr_b32 s0, s8, 31
	s_add_i32 s0, s8, s0
	s_ashr_i32 s8, s0, 1
	v_cmp_gt_i32_e32 vcc, s8, v0
	v_lshlrev_b32_e32 v4, 1, v0
	v_lshl_add_u32 v5, v0, 3, 0
	s_and_saveexec_b64 s[2:3], vcc
	s_cbranch_execz .LBB103_26
; %bb.22:
	s_abs_i32 s18, s11
	v_cvt_f32_u32_e32 v2, s18
	s_load_dword s0, s[4:5], 0x4c
	s_sub_i32 s1, 0, s18
	s_ashr_i32 s19, s11, 31
	v_rcp_iflag_f32_e32 v2, v2
	v_lshlrev_b32_e32 v1, 1, v0
	s_waitcnt lgkmcnt(0)
	s_and_b32 s20, s0, 0xffff
	v_lshl_add_u32 v6, v0, 3, 0
	v_mul_f32_e32 v2, 0x4f7ffffe, v2
	v_cvt_u32_f32_e32 v2, v2
	s_mov_b64 s[10:11], 0
	s_lshl_b32 s21, s20, 1
	s_lshl_b32 s22, s20, 3
	v_mul_lo_u32 v3, s1, v2
	v_mul_hi_u32 v3, v2, v3
	v_add_u32_e32 v7, v2, v3
	s_mov_b32 s23, 0xff800000
	v_mov_b32_e32 v2, 0xff800000
	v_mov_b32_e32 v8, v0
	s_branch .LBB103_24
.LBB103_23:                             ;   in Loop: Header=BB103_24 Depth=1
	s_or_b64 exec, exec, s[16:17]
	v_add_u32_e32 v8, s20, v8
	v_cmp_le_i32_e64 s[0:1], s8, v8
	v_add_u32_e32 v1, s21, v1
	s_or_b64 s[10:11], s[0:1], s[10:11]
	v_add_u32_e32 v6, s22, v6
	s_andn2_b64 exec, exec, s[10:11]
	s_cbranch_execz .LBB103_26
.LBB103_24:                             ; =>This Inner Loop Header: Depth=1
	v_mul_hi_u32 v3, v1, v7
	v_mul_lo_u32 v9, v3, s18
	v_sub_u32_e32 v9, v1, v9
	v_add_u32_e32 v10, 1, v3
	v_cmp_le_u32_e64 s[0:1], s18, v9
	v_cndmask_b32_e64 v3, v3, v10, s[0:1]
	v_subrev_u32_e32 v10, s18, v9
	v_cndmask_b32_e64 v9, v9, v10, s[0:1]
	v_add_u32_e32 v10, 1, v3
	v_cmp_le_u32_e64 s[0:1], s18, v9
	v_cndmask_b32_e64 v3, v3, v10, s[0:1]
	v_xor_b32_e32 v3, s19, v3
	v_subrev_u32_e32 v3, s19, v3
	v_lshl_add_u32 v3, v3, 2, s7
	ds_read_b32 v3, v3
	s_waitcnt lgkmcnt(0)
	v_cmp_neq_f32_e64 s[0:1], s23, v3
	s_and_saveexec_b64 s[16:17], s[0:1]
	s_cbranch_execz .LBB103_23
; %bb.25:                               ;   in Loop: Header=BB103_24 Depth=1
	v_mov_b32_e32 v3, v2
	ds_write_b64 v6, v[2:3]
	s_branch .LBB103_23
.LBB103_26:
	s_or_b64 exec, exec, s[2:3]
	s_cmp_lt_i32 s9, 1
	s_waitcnt lgkmcnt(0)
	s_barrier
	s_cbranch_scc1 .LBB103_33
; %bb.27:
	s_add_u32 s2, s4, 64
	s_addc_u32 s3, s5, 0
	s_mov_b32 s7, 0
	v_mov_b32_e32 v2, 0
	v_mov_b32_e32 v6, 0xff800000
                                        ; implicit-def: $vgpr3
                                        ; implicit-def: $vgpr1
	s_branch .LBB103_29
.LBB103_28:                             ;   in Loop: Header=BB103_29 Depth=1
	s_or_b64 exec, exec, s[10:11]
	v_mov_b32_dpp v10, v8 quad_perm:[1,0,3,2] row_mask:0xf bank_mask:0xf
	v_cmp_lt_f32_e64 s[0:1], v8, v10
	v_cndmask_b32_e64 v8, v8, v10, s[0:1]
	v_mov_b32_dpp v9, v7 quad_perm:[1,0,3,2] row_mask:0xf bank_mask:0xf
	v_cndmask_b32_e64 v7, v7, v9, s[0:1]
	v_mov_b32_dpp v10, v8 quad_perm:[2,3,0,1] row_mask:0xf bank_mask:0xf
	v_cmp_gt_f32_e64 s[0:1], v10, v8
	v_cndmask_b32_e64 v8, v8, v10, s[0:1]
	v_mov_b32_dpp v9, v7 quad_perm:[2,3,0,1] row_mask:0xf bank_mask:0xf
	v_cndmask_b32_e64 v7, v7, v9, s[0:1]
	v_mov_b32_dpp v10, v8 row_half_mirror row_mask:0xf bank_mask:0xf
	v_cmp_gt_f32_e64 s[0:1], v10, v8
	v_cndmask_b32_e64 v8, v8, v10, s[0:1]
	v_mov_b32_dpp v9, v7 row_half_mirror row_mask:0xf bank_mask:0xf
	v_cndmask_b32_e64 v7, v7, v9, s[0:1]
	v_mov_b32_dpp v10, v8 row_mirror row_mask:0xf bank_mask:0xf
	v_cmp_gt_f32_e64 s[0:1], v10, v8
	v_cndmask_b32_e64 v8, v8, v10, s[0:1]
	v_mov_b32_dpp v9, v7 row_mirror row_mask:0xf bank_mask:0xf
	v_cndmask_b32_e64 v7, v7, v9, s[0:1]
	v_mov_b32_dpp v10, v8 row_bcast:15 row_mask:0xf bank_mask:0xf
	v_cmp_gt_f32_e64 s[0:1], v10, v8
	v_mov_b32_dpp v9, v7 row_bcast:15 row_mask:0xf bank_mask:0xf
	v_cndmask_b32_e64 v8, v8, v10, s[0:1]
	v_cndmask_b32_e64 v7, v7, v9, s[0:1]
	s_nop 0
	v_mov_b32_dpp v10, v8 row_bcast:31 row_mask:0xf bank_mask:0xf
	v_mov_b32_dpp v9, v7 row_bcast:31 row_mask:0xf bank_mask:0xf
	v_cmp_gt_f32_e64 s[0:1], v10, v8
	v_cndmask_b32_e64 v7, v7, v9, s[0:1]
	v_cndmask_b32_e64 v8, v8, v10, s[0:1]
	v_readlane_b32 s0, v7, 63
	s_lshl_b32 s1, s0, 2
	s_add_i32 s1, s1, 0
	v_mov_b32_e32 v7, s1
	v_readlane_b32 s10, v8, 63
	ds_write_b32 v7, v6
	v_mov_b32_e32 v7, s0
	v_cmp_eq_u32_e64 s[0:1], s7, v0
	v_cndmask_b32_e64 v1, v1, v7, s[0:1]
	v_mov_b32_e32 v7, s10
	s_add_i32 s7, s7, 1
	v_cndmask_b32_e64 v3, v3, v7, s[0:1]
	s_cmp_eq_u32 s7, s9
	v_add_f32_e32 v2, s10, v2
	s_cbranch_scc1 .LBB103_34
.LBB103_29:                             ; =>This Loop Header: Depth=1
                                        ;     Child Loop BB103_31 Depth 2
	v_mov_b32_e32 v7, s7
	v_mov_b32_e32 v8, 0xff800000
	s_and_saveexec_b64 s[10:11], vcc
	s_cbranch_execz .LBB103_28
; %bb.30:                               ;   in Loop: Header=BB103_29 Depth=1
	s_load_dword s0, s[2:3], 0xc
	s_mov_b64 s[16:17], 0
	v_mov_b32_e32 v7, s7
	v_mov_b32_e32 v8, 0xff800000
	v_mov_b32_e32 v9, v5
	s_waitcnt lgkmcnt(0)
	s_and_b32 s18, s0, 0xffff
	s_lshl_b32 s19, s18, 1
	s_lshl_b32 s20, s18, 3
	v_mov_b32_e32 v10, v4
	v_mov_b32_e32 v11, v0
.LBB103_31:                             ;   Parent Loop BB103_29 Depth=1
                                        ; =>  This Inner Loop Header: Depth=2
	ds_read_b64 v[12:13], v9
	v_add_u32_e32 v11, s18, v11
	v_cmp_le_i32_e64 s[0:1], s8, v11
	s_or_b64 s[16:17], s[0:1], s[16:17]
	v_add_u32_e32 v14, 1, v10
	s_waitcnt lgkmcnt(0)
	v_cmp_gt_f32_e64 s[0:1], v12, v8
	v_cndmask_b32_e64 v8, v8, v12, s[0:1]
	v_cndmask_b32_e64 v7, v7, v10, s[0:1]
	v_cmp_gt_f32_e64 s[0:1], v13, v8
	v_add_u32_e32 v9, s20, v9
	v_cndmask_b32_e64 v8, v8, v13, s[0:1]
	v_add_u32_e32 v10, s19, v10
	v_cndmask_b32_e64 v7, v7, v14, s[0:1]
	s_andn2_b64 exec, exec, s[16:17]
	s_cbranch_execnz .LBB103_31
; %bb.32:                               ;   in Loop: Header=BB103_29 Depth=1
	s_or_b64 exec, exec, s[16:17]
	s_branch .LBB103_28
.LBB103_33:
	v_mov_b32_e32 v2, 0
                                        ; implicit-def: $vgpr3
                                        ; implicit-def: $vgpr1
.LBB103_34:
	v_cmp_gt_i32_e32 vcc, s9, v0
	s_and_saveexec_b64 s[0:1], vcc
	s_cbranch_execz .LBB103_37
; %bb.35:
	s_load_dword s7, s[4:5], 0x38
	s_load_dwordx2 s[0:1], s[4:5], 0x20
	s_load_dword s8, s[4:5], 0x4c
	s_waitcnt lgkmcnt(0)
	v_div_scale_f32 v4, s[2:3], v2, v2, s7
	v_rcp_f32_e32 v5, v4
	v_div_scale_f32 v6, vcc, s7, v2, s7
	s_ashr_i32 s2, s6, 31
	v_fma_f32 v7, -v4, v5, 1.0
	v_fmac_f32_e32 v5, v7, v5
	v_mul_f32_e32 v7, v6, v5
	v_fma_f32 v8, -v4, v7, v6
	v_fmac_f32_e32 v7, v8, v5
	v_fma_f32 v4, -v4, v7, v6
	s_mul_i32 s1, s6, s1
	s_mul_hi_u32 s3, s6, s0
	v_div_fmas_f32 v4, v4, v5, v7
	s_add_i32 s1, s3, s1
	s_mul_i32 s2, s2, s0
	v_div_fixup_f32 v2, v4, v2, s7
	s_add_i32 s4, s1, s2
	v_mul_f32_e32 v2, v2, v3
	s_mul_i32 s2, s6, s0
	s_and_b32 s3, s8, 0xffff
	s_mov_b64 s[0:1], 0
	v_mov_b32_e32 v3, s4
	v_mov_b32_e32 v4, s13
	;; [unrolled: 1-line block ×3, first 2 shown]
.LBB103_36:                             ; =>This Inner Loop Header: Depth=1
	v_ashrrev_i32_e32 v7, 31, v0
	v_add_co_u32_e32 v6, vcc, s2, v0
	v_addc_co_u32_e32 v7, vcc, v3, v7, vcc
	v_add_u32_e32 v0, s3, v0
	v_cmp_le_i32_e32 vcc, s9, v0
	v_lshlrev_b64 v[6:7], 2, v[6:7]
	s_or_b64 s[0:1], vcc, s[0:1]
	v_add_co_u32_e32 v8, vcc, s12, v6
	v_addc_co_u32_e32 v9, vcc, v4, v7, vcc
	v_add_co_u32_e32 v6, vcc, s14, v6
	v_addc_co_u32_e32 v7, vcc, v5, v7, vcc
	global_store_dword v[8:9], v2, off
	global_store_dword v[6:7], v1, off
	s_andn2_b64 exec, exec, s[0:1]
	s_cbranch_execnz .LBB103_36
.LBB103_37:
	s_endpgm
	.section	.rodata,"a",@progbits
	.p2align	6, 0x0
	.amdhsa_kernel _ZN5aiter19grouped_topk_kernelIfDv2_fLi8ELb1ELb0ELb1EEEvPT_PKS2_PfPimiiiif
		.amdhsa_group_segment_fixed_size 0
		.amdhsa_private_segment_fixed_size 0
		.amdhsa_kernarg_size 320
		.amdhsa_user_sgpr_count 6
		.amdhsa_user_sgpr_private_segment_buffer 1
		.amdhsa_user_sgpr_dispatch_ptr 0
		.amdhsa_user_sgpr_queue_ptr 0
		.amdhsa_user_sgpr_kernarg_segment_ptr 1
		.amdhsa_user_sgpr_dispatch_id 0
		.amdhsa_user_sgpr_flat_scratch_init 0
		.amdhsa_user_sgpr_kernarg_preload_length 0
		.amdhsa_user_sgpr_kernarg_preload_offset 0
		.amdhsa_user_sgpr_private_segment_size 0
		.amdhsa_uses_dynamic_stack 0
		.amdhsa_system_sgpr_private_segment_wavefront_offset 0
		.amdhsa_system_sgpr_workgroup_id_x 1
		.amdhsa_system_sgpr_workgroup_id_y 0
		.amdhsa_system_sgpr_workgroup_id_z 0
		.amdhsa_system_sgpr_workgroup_info 0
		.amdhsa_system_vgpr_workitem_id 0
		.amdhsa_next_free_vgpr 15
		.amdhsa_next_free_sgpr 24
		.amdhsa_accum_offset 16
		.amdhsa_reserve_vcc 1
		.amdhsa_reserve_flat_scratch 0
		.amdhsa_float_round_mode_32 0
		.amdhsa_float_round_mode_16_64 0
		.amdhsa_float_denorm_mode_32 3
		.amdhsa_float_denorm_mode_16_64 3
		.amdhsa_dx10_clamp 1
		.amdhsa_ieee_mode 1
		.amdhsa_fp16_overflow 0
		.amdhsa_tg_split 0
		.amdhsa_exception_fp_ieee_invalid_op 0
		.amdhsa_exception_fp_denorm_src 0
		.amdhsa_exception_fp_ieee_div_zero 0
		.amdhsa_exception_fp_ieee_overflow 0
		.amdhsa_exception_fp_ieee_underflow 0
		.amdhsa_exception_fp_ieee_inexact 0
		.amdhsa_exception_int_div_zero 0
	.end_amdhsa_kernel
	.section	.text._ZN5aiter19grouped_topk_kernelIfDv2_fLi8ELb1ELb0ELb1EEEvPT_PKS2_PfPimiiiif,"axG",@progbits,_ZN5aiter19grouped_topk_kernelIfDv2_fLi8ELb1ELb0ELb1EEEvPT_PKS2_PfPimiiiif,comdat
.Lfunc_end103:
	.size	_ZN5aiter19grouped_topk_kernelIfDv2_fLi8ELb1ELb0ELb1EEEvPT_PKS2_PfPimiiiif, .Lfunc_end103-_ZN5aiter19grouped_topk_kernelIfDv2_fLi8ELb1ELb0ELb1EEEvPT_PKS2_PfPimiiiif
                                        ; -- End function
	.section	.AMDGPU.csdata,"",@progbits
; Kernel info:
; codeLenInByte = 2572
; NumSgprs: 28
; NumVgprs: 15
; NumAgprs: 0
; TotalNumVgprs: 15
; ScratchSize: 0
; MemoryBound: 0
; FloatMode: 240
; IeeeMode: 1
; LDSByteSize: 0 bytes/workgroup (compile time only)
; SGPRBlocks: 3
; VGPRBlocks: 1
; NumSGPRsForWavesPerEU: 28
; NumVGPRsForWavesPerEU: 15
; AccumOffset: 16
; Occupancy: 8
; WaveLimiterHint : 0
; COMPUTE_PGM_RSRC2:SCRATCH_EN: 0
; COMPUTE_PGM_RSRC2:USER_SGPR: 6
; COMPUTE_PGM_RSRC2:TRAP_HANDLER: 0
; COMPUTE_PGM_RSRC2:TGID_X_EN: 1
; COMPUTE_PGM_RSRC2:TGID_Y_EN: 0
; COMPUTE_PGM_RSRC2:TGID_Z_EN: 0
; COMPUTE_PGM_RSRC2:TIDIG_COMP_CNT: 0
; COMPUTE_PGM_RSRC3_GFX90A:ACCUM_OFFSET: 3
; COMPUTE_PGM_RSRC3_GFX90A:TG_SPLIT: 0
	.section	.text._ZN5aiter19grouped_topk_kernelIN3c104HalfEDv2_fLi8ELb1ELb0ELb1EEEvPT_PKS4_PfPimiiiif,"axG",@progbits,_ZN5aiter19grouped_topk_kernelIN3c104HalfEDv2_fLi8ELb1ELb0ELb1EEEvPT_PKS4_PfPimiiiif,comdat
	.protected	_ZN5aiter19grouped_topk_kernelIN3c104HalfEDv2_fLi8ELb1ELb0ELb1EEEvPT_PKS4_PfPimiiiif ; -- Begin function _ZN5aiter19grouped_topk_kernelIN3c104HalfEDv2_fLi8ELb1ELb0ELb1EEEvPT_PKS4_PfPimiiiif
	.globl	_ZN5aiter19grouped_topk_kernelIN3c104HalfEDv2_fLi8ELb1ELb0ELb1EEEvPT_PKS4_PfPimiiiif
	.p2align	8
	.type	_ZN5aiter19grouped_topk_kernelIN3c104HalfEDv2_fLi8ELb1ELb0ELb1EEEvPT_PKS4_PfPimiiiif,@function
_ZN5aiter19grouped_topk_kernelIN3c104HalfEDv2_fLi8ELb1ELb0ELb1EEEvPT_PKS4_PfPimiiiif: ; @_ZN5aiter19grouped_topk_kernelIN3c104HalfEDv2_fLi8ELb1ELb0ELb1EEEvPT_PKS4_PfPimiiiif
; %bb.0:
	s_load_dwordx4 s[8:11], s[4:5], 0x28
	s_load_dwordx4 s[12:15], s[4:5], 0x10
	v_mov_b32_e32 v1, 0xff800000
	s_waitcnt lgkmcnt(0)
	v_cmp_gt_i32_e32 vcc, s8, v0
	s_and_saveexec_b64 s[2:3], vcc
	s_cbranch_execz .LBB104_4
; %bb.1:
	s_load_dword s0, s[4:5], 0x4c
	s_load_dwordx2 s[16:17], s[4:5], 0x0
	s_mul_i32 s7, s6, s8
	v_lshl_add_u32 v2, v0, 2, 0
	s_mov_b64 s[18:19], 0
	s_waitcnt lgkmcnt(0)
	s_and_b32 s11, s0, 0xffff
	s_lshl_b32 s20, s11, 2
	v_mov_b32_e32 v1, 0xff800000
	v_mov_b32_e32 v3, s17
	;; [unrolled: 1-line block ×3, first 2 shown]
.LBB104_2:                              ; =>This Inner Loop Header: Depth=1
	v_add_u32_e32 v6, s7, v4
	v_ashrrev_i32_e32 v7, 31, v6
	v_lshlrev_b64 v[6:7], 1, v[6:7]
	v_add_co_u32_e64 v6, s[0:1], s16, v6
	v_addc_co_u32_e64 v7, s[0:1], v3, v7, s[0:1]
	global_load_ushort v5, v[6:7], off
	v_add_u32_e32 v4, s11, v4
	v_cmp_le_i32_e64 s[0:1], s8, v4
	s_or_b64 s[18:19], s[0:1], s[18:19]
	s_waitcnt vmcnt(0)
	v_cvt_f32_f16_e32 v5, v5
	v_cmp_lt_f32_e64 s[0:1], v1, v5
	ds_write_b32 v2, v5
	v_cndmask_b32_e64 v1, v1, v5, s[0:1]
	v_add_u32_e32 v2, s20, v2
	s_andn2_b64 exec, exec, s[18:19]
	s_cbranch_execnz .LBB104_2
; %bb.3:
	s_or_b64 exec, exec, s[18:19]
.LBB104_4:
	s_or_b64 exec, exec, s[2:3]
	v_mov_b32_dpp v2, v1 quad_perm:[1,0,3,2] row_mask:0xf bank_mask:0xf
	v_cmp_lt_f32_e64 s[0:1], v1, v2
	v_cndmask_b32_e64 v1, v1, v2, s[0:1]
	v_bfrev_b32_e32 v3, 0.5
	s_waitcnt lgkmcnt(0)
	v_mov_b32_dpp v2, v1 quad_perm:[2,3,0,1] row_mask:0xf bank_mask:0xf
	v_cmp_lt_f32_e64 s[0:1], v1, v2
	v_cndmask_b32_e64 v1, v1, v2, s[0:1]
	s_barrier
	s_nop 0
	v_mov_b32_dpp v2, v1 row_half_mirror row_mask:0xf bank_mask:0xf
	v_cmp_lt_f32_e64 s[0:1], v1, v2
	v_cndmask_b32_e64 v1, v1, v2, s[0:1]
	s_nop 1
	v_mov_b32_dpp v2, v1 row_mirror row_mask:0xf bank_mask:0xf
	v_cmp_lt_f32_e64 s[0:1], v1, v2
	v_cndmask_b32_e64 v1, v1, v2, s[0:1]
	s_nop 1
	v_mov_b32_dpp v2, v1 row_bcast:15 row_mask:0xf bank_mask:0xf
	v_cmp_lt_f32_e64 s[0:1], v1, v2
	v_cndmask_b32_e64 v1, v1, v2, s[0:1]
	s_nop 1
	v_mov_b32_dpp v2, v1 row_bcast:31 row_mask:0xf bank_mask:0xf
	v_cmp_lt_f32_e64 s[0:1], v1, v2
	v_cndmask_b32_e64 v2, v1, v2, s[0:1]
	v_mbcnt_lo_u32_b32 v1, -1, 0
	v_mbcnt_hi_u32_b32 v1, -1, v1
	v_lshl_or_b32 v1, v1, 2, v3
	ds_bpermute_b32 v3, v1, v2
	v_mov_b32_e32 v2, 0
	s_and_saveexec_b64 s[2:3], vcc
	s_cbranch_execz .LBB104_8
; %bb.5:
	s_load_dword s0, s[4:5], 0x4c
	v_lshl_add_u32 v4, v0, 2, 0
	s_mov_b64 s[16:17], 0
	v_mov_b32_e32 v2, 0
	s_mov_b32 s7, 0x3fb8aa3b
	s_waitcnt lgkmcnt(0)
	s_and_b32 s11, s0, 0xffff
	s_lshl_b32 s18, s11, 2
	s_mov_b32 s19, 0xc2ce8ed0
	s_mov_b32 s20, 0x42b17218
	v_mov_b32_e32 v5, 0x7f800000
	v_mov_b32_e32 v6, v0
.LBB104_6:                              ; =>This Inner Loop Header: Depth=1
	ds_read_b32 v7, v4
	v_add_u32_e32 v6, s11, v6
	s_waitcnt lgkmcnt(0)
	v_sub_f32_e32 v7, v7, v3
	v_mul_f32_e32 v8, 0x3fb8aa3b, v7
	v_fma_f32 v9, v7, s7, -v8
	v_rndne_f32_e32 v10, v8
	v_fmac_f32_e32 v9, 0x32a5705f, v7
	v_sub_f32_e32 v8, v8, v10
	v_add_f32_e32 v8, v8, v9
	v_cvt_i32_f32_e32 v10, v10
	v_exp_f32_e32 v8, v8
	v_cmp_ngt_f32_e64 s[0:1], s19, v7
	v_ldexp_f32 v8, v8, v10
	v_cndmask_b32_e64 v8, 0, v8, s[0:1]
	v_cmp_nlt_f32_e64 s[0:1], s20, v7
	v_cndmask_b32_e64 v7, v5, v8, s[0:1]
	v_cmp_le_i32_e64 s[0:1], s8, v6
	ds_write_b32 v4, v7
	v_add_f32_e32 v2, v2, v7
	s_or_b64 s[16:17], s[0:1], s[16:17]
	v_add_u32_e32 v4, s18, v4
	s_andn2_b64 exec, exec, s[16:17]
	s_cbranch_execnz .LBB104_6
; %bb.7:
	s_or_b64 exec, exec, s[16:17]
.LBB104_8:
	s_or_b64 exec, exec, s[2:3]
	s_waitcnt lgkmcnt(0)
	v_mov_b32_dpp v3, v2 quad_perm:[1,0,3,2] row_mask:0xf bank_mask:0xf
	v_add_f32_e32 v2, v2, v3
	s_barrier
	s_nop 0
	v_mov_b32_dpp v3, v2 quad_perm:[2,3,0,1] row_mask:0xf bank_mask:0xf
	v_add_f32_e32 v2, v2, v3
	s_nop 1
	v_mov_b32_dpp v3, v2 row_half_mirror row_mask:0xf bank_mask:0xf
	v_add_f32_e32 v2, v2, v3
	s_nop 1
	v_mov_b32_dpp v3, v2 row_mirror row_mask:0xf bank_mask:0xf
	v_add_f32_e32 v2, v2, v3
	s_nop 1
	v_mov_b32_dpp v3, v2 row_bcast:15 row_mask:0xf bank_mask:0xf
	v_add_f32_e32 v2, v2, v3
	s_nop 1
	v_mov_b32_dpp v3, v2 row_bcast:31 row_mask:0xf bank_mask:0xf
	v_add_f32_e32 v2, v2, v3
	ds_bpermute_b32 v1, v1, v2
	s_and_saveexec_b64 s[0:1], vcc
	s_cbranch_execz .LBB104_11
; %bb.9:
	s_load_dword s7, s[4:5], 0x4c
	v_lshl_add_u32 v2, v0, 2, 0
	s_mov_b64 s[2:3], 0
	v_mov_b32_e32 v3, v0
	s_waitcnt lgkmcnt(0)
	s_and_b32 s7, s7, 0xffff
	s_lshl_b32 s11, s7, 2
.LBB104_10:                             ; =>This Inner Loop Header: Depth=1
	ds_read_b32 v4, v2
	v_add_u32_e32 v3, s7, v3
	v_cmp_le_i32_e32 vcc, s8, v3
	s_or_b64 s[2:3], vcc, s[2:3]
	s_waitcnt lgkmcnt(0)
	v_div_scale_f32 v5, s[16:17], v1, v1, v4
	v_rcp_f32_e32 v6, v5
	v_div_scale_f32 v7, vcc, v4, v1, v4
	v_fma_f32 v8, -v5, v6, 1.0
	v_fmac_f32_e32 v6, v8, v6
	v_mul_f32_e32 v8, v7, v6
	v_fma_f32 v9, -v5, v8, v7
	v_fmac_f32_e32 v8, v9, v6
	v_fma_f32 v5, -v5, v8, v7
	v_div_fmas_f32 v5, v5, v6, v8
	v_div_fixup_f32 v4, v5, v1, v4
	ds_write_b32 v2, v4
	v_add_u32_e32 v2, s11, v2
	s_andn2_b64 exec, exec, s[2:3]
	s_cbranch_execnz .LBB104_10
.LBB104_11:
	s_or_b64 exec, exec, s[0:1]
	s_ashr_i32 s0, s8, 31
	s_lshr_b32 s0, s0, 29
	s_add_i32 s0, s8, s0
	s_ashr_i32 s11, s0, 3
	s_lshl_b32 s0, s8, 2
	s_add_i32 s7, s0, 0
	v_cmp_gt_u32_e32 vcc, 8, v0
	s_waitcnt lgkmcnt(0)
	s_barrier
	s_and_saveexec_b64 s[2:3], vcc
	s_cbranch_execz .LBB104_18
; %bb.12:
	s_load_dword s0, s[4:5], 0x4c
	v_mul_lo_u32 v1, v0, s11
	v_lshl_add_u32 v1, v1, 2, 0
	s_waitcnt lgkmcnt(0)
	s_and_b32 s20, s0, 0xffff
	s_cmp_gt_i32 s8, 7
	s_cselect_b64 s[0:1], -1, 0
	s_mul_i32 s16, s11, s20
	v_cndmask_b32_e64 v2, 0, 1, s[0:1]
	s_lshl_b32 s21, s16, 2
	s_mov_b64 s[16:17], 0
	v_cmp_ne_u32_e64 s[0:1], 1, v2
	v_mov_b32_e32 v2, v0
	s_branch .LBB104_14
.LBB104_13:                             ;   in Loop: Header=BB104_14 Depth=1
	v_lshl_add_u32 v4, v2, 2, s7
	v_add_u32_e32 v2, s20, v2
	v_cmp_lt_u32_e32 vcc, 7, v2
	s_or_b64 s[16:17], vcc, s[16:17]
	v_add_u32_e32 v1, s21, v1
	ds_write_b32 v4, v3
	s_andn2_b64 exec, exec, s[16:17]
	s_cbranch_execz .LBB104_18
.LBB104_14:                             ; =>This Loop Header: Depth=1
                                        ;     Child Loop BB104_16 Depth 2
	s_and_b64 vcc, exec, s[0:1]
	v_mov_b32_e32 v3, 0xff800000
	s_cbranch_vccnz .LBB104_13
; %bb.15:                               ;   in Loop: Header=BB104_14 Depth=1
	v_mul_lo_u32 v4, v2, s11
	v_add_u32_e32 v5, s11, v4
	s_mov_b64 s[18:19], 0
	v_mov_b32_e32 v3, 0xff800000
	v_mov_b32_e32 v6, v1
.LBB104_16:                             ;   Parent Loop BB104_14 Depth=1
                                        ; =>  This Inner Loop Header: Depth=2
	ds_read_b32 v7, v6
	v_add_u32_e32 v4, 1, v4
	v_cmp_ge_i32_e32 vcc, v4, v5
	s_or_b64 s[18:19], vcc, s[18:19]
	v_add_u32_e32 v6, 4, v6
	s_waitcnt lgkmcnt(0)
	v_cmp_gt_f32_e32 vcc, v7, v3
	v_cndmask_b32_e32 v3, v3, v7, vcc
	s_andn2_b64 exec, exec, s[18:19]
	s_cbranch_execnz .LBB104_16
; %bb.17:                               ;   in Loop: Header=BB104_14 Depth=1
	s_or_b64 exec, exec, s[18:19]
	s_branch .LBB104_13
.LBB104_18:
	s_or_b64 exec, exec, s[2:3]
	s_cmp_lt_i32 s10, 1
	s_waitcnt lgkmcnt(0)
	s_barrier
	s_cbranch_scc1 .LBB104_21
; %bb.19:
	v_mov_b32_e32 v1, s7
	s_mov_b32 s0, 0xff800000
	v_mov_b32_e32 v2, 0xff800000
.LBB104_20:                             ; =>This Inner Loop Header: Depth=1
	ds_read2_b32 v[4:5], v1 offset1:1
	ds_read2_b32 v[6:7], v1 offset0:2 offset1:3
	ds_read2_b32 v[8:9], v1 offset0:4 offset1:5
	ds_read2_b32 v[10:11], v1 offset0:6 offset1:7
	s_waitcnt lgkmcnt(3)
	v_cmp_nlg_f32_e32 vcc, s0, v4
	v_cndmask_b32_e64 v3, 0, 1, vcc
	v_cmp_lg_f32_e32 vcc, s0, v4
	v_readfirstlane_b32 s1, v3
	v_cndmask_b32_e32 v3, v2, v4, vcc
	v_cmp_gt_f32_e32 vcc, v5, v3
	s_lshl_b32 s1, s1, 3
	v_cndmask_b32_e32 v3, v3, v5, vcc
	s_and_b64 s[2:3], vcc, exec
	s_waitcnt lgkmcnt(2)
	v_cmp_gt_f32_e32 vcc, v6, v3
	v_cndmask_b32_e32 v3, v3, v6, vcc
	s_cselect_b32 s1, 1, s1
	s_and_b64 s[2:3], vcc, exec
	v_cmp_gt_f32_e32 vcc, v7, v3
	v_cndmask_b32_e32 v3, v3, v7, vcc
	s_cselect_b32 s1, 2, s1
	s_and_b64 s[2:3], vcc, exec
	s_waitcnt lgkmcnt(1)
	v_cmp_gt_f32_e32 vcc, v8, v3
	v_cndmask_b32_e32 v3, v3, v8, vcc
	s_cselect_b32 s1, 3, s1
	s_and_b64 s[2:3], vcc, exec
	v_cmp_gt_f32_e32 vcc, v9, v3
	v_cndmask_b32_e32 v3, v3, v9, vcc
	s_cselect_b32 s1, 4, s1
	s_and_b64 s[2:3], vcc, exec
	s_waitcnt lgkmcnt(0)
	v_cmp_gt_f32_e32 vcc, v10, v3
	v_cndmask_b32_e32 v3, v3, v10, vcc
	s_cselect_b32 s1, 5, s1
	s_and_b64 s[2:3], vcc, exec
	v_cmp_ngt_f32_e32 vcc, v11, v3
	s_cselect_b32 s1, 6, s1
	s_and_b64 s[2:3], vcc, exec
	s_cselect_b32 s1, s1, 7
	s_lshl_b32 s1, s1, 2
	s_add_i32 s1, s7, s1
	s_add_i32 s10, s10, -1
	v_mov_b32_e32 v3, s1
	s_cmp_lg_u32 s10, 0
	ds_write_b32 v3, v2
	s_cbranch_scc1 .LBB104_20
.LBB104_21:
	s_lshr_b32 s0, s8, 31
	s_add_i32 s0, s8, s0
	s_ashr_i32 s8, s0, 1
	v_cmp_gt_i32_e32 vcc, s8, v0
	v_lshlrev_b32_e32 v4, 1, v0
	v_lshl_add_u32 v5, v0, 3, 0
	s_and_saveexec_b64 s[2:3], vcc
	s_cbranch_execz .LBB104_26
; %bb.22:
	s_abs_i32 s18, s11
	v_cvt_f32_u32_e32 v2, s18
	s_load_dword s0, s[4:5], 0x4c
	s_sub_i32 s1, 0, s18
	s_ashr_i32 s19, s11, 31
	v_rcp_iflag_f32_e32 v2, v2
	v_lshlrev_b32_e32 v1, 1, v0
	s_waitcnt lgkmcnt(0)
	s_and_b32 s20, s0, 0xffff
	v_lshl_add_u32 v6, v0, 3, 0
	v_mul_f32_e32 v2, 0x4f7ffffe, v2
	v_cvt_u32_f32_e32 v2, v2
	s_mov_b64 s[10:11], 0
	s_lshl_b32 s21, s20, 1
	s_lshl_b32 s22, s20, 3
	v_mul_lo_u32 v3, s1, v2
	v_mul_hi_u32 v3, v2, v3
	v_add_u32_e32 v7, v2, v3
	s_mov_b32 s23, 0xff800000
	v_mov_b32_e32 v2, 0xff800000
	v_mov_b32_e32 v8, v0
	s_branch .LBB104_24
.LBB104_23:                             ;   in Loop: Header=BB104_24 Depth=1
	s_or_b64 exec, exec, s[16:17]
	v_add_u32_e32 v8, s20, v8
	v_cmp_le_i32_e64 s[0:1], s8, v8
	v_add_u32_e32 v1, s21, v1
	s_or_b64 s[10:11], s[0:1], s[10:11]
	v_add_u32_e32 v6, s22, v6
	s_andn2_b64 exec, exec, s[10:11]
	s_cbranch_execz .LBB104_26
.LBB104_24:                             ; =>This Inner Loop Header: Depth=1
	v_mul_hi_u32 v3, v1, v7
	v_mul_lo_u32 v9, v3, s18
	v_sub_u32_e32 v9, v1, v9
	v_add_u32_e32 v10, 1, v3
	v_cmp_le_u32_e64 s[0:1], s18, v9
	v_cndmask_b32_e64 v3, v3, v10, s[0:1]
	v_subrev_u32_e32 v10, s18, v9
	v_cndmask_b32_e64 v9, v9, v10, s[0:1]
	v_add_u32_e32 v10, 1, v3
	v_cmp_le_u32_e64 s[0:1], s18, v9
	v_cndmask_b32_e64 v3, v3, v10, s[0:1]
	v_xor_b32_e32 v3, s19, v3
	v_subrev_u32_e32 v3, s19, v3
	v_lshl_add_u32 v3, v3, 2, s7
	ds_read_b32 v3, v3
	s_waitcnt lgkmcnt(0)
	v_cmp_neq_f32_e64 s[0:1], s23, v3
	s_and_saveexec_b64 s[16:17], s[0:1]
	s_cbranch_execz .LBB104_23
; %bb.25:                               ;   in Loop: Header=BB104_24 Depth=1
	v_mov_b32_e32 v3, v2
	ds_write_b64 v6, v[2:3]
	s_branch .LBB104_23
.LBB104_26:
	s_or_b64 exec, exec, s[2:3]
	s_cmp_lt_i32 s9, 1
	s_waitcnt lgkmcnt(0)
	s_barrier
	s_cbranch_scc1 .LBB104_33
; %bb.27:
	s_add_u32 s2, s4, 64
	s_addc_u32 s3, s5, 0
	s_mov_b32 s7, 0
	v_mov_b32_e32 v2, 0
	v_mov_b32_e32 v6, 0xff800000
                                        ; implicit-def: $vgpr3
                                        ; implicit-def: $vgpr1
	s_branch .LBB104_29
.LBB104_28:                             ;   in Loop: Header=BB104_29 Depth=1
	s_or_b64 exec, exec, s[10:11]
	v_mov_b32_dpp v10, v8 quad_perm:[1,0,3,2] row_mask:0xf bank_mask:0xf
	v_cmp_lt_f32_e64 s[0:1], v8, v10
	v_cndmask_b32_e64 v8, v8, v10, s[0:1]
	v_mov_b32_dpp v9, v7 quad_perm:[1,0,3,2] row_mask:0xf bank_mask:0xf
	v_cndmask_b32_e64 v7, v7, v9, s[0:1]
	v_mov_b32_dpp v10, v8 quad_perm:[2,3,0,1] row_mask:0xf bank_mask:0xf
	v_cmp_gt_f32_e64 s[0:1], v10, v8
	v_cndmask_b32_e64 v8, v8, v10, s[0:1]
	v_mov_b32_dpp v9, v7 quad_perm:[2,3,0,1] row_mask:0xf bank_mask:0xf
	v_cndmask_b32_e64 v7, v7, v9, s[0:1]
	v_mov_b32_dpp v10, v8 row_half_mirror row_mask:0xf bank_mask:0xf
	v_cmp_gt_f32_e64 s[0:1], v10, v8
	v_cndmask_b32_e64 v8, v8, v10, s[0:1]
	v_mov_b32_dpp v9, v7 row_half_mirror row_mask:0xf bank_mask:0xf
	v_cndmask_b32_e64 v7, v7, v9, s[0:1]
	v_mov_b32_dpp v10, v8 row_mirror row_mask:0xf bank_mask:0xf
	v_cmp_gt_f32_e64 s[0:1], v10, v8
	v_cndmask_b32_e64 v8, v8, v10, s[0:1]
	v_mov_b32_dpp v9, v7 row_mirror row_mask:0xf bank_mask:0xf
	v_cndmask_b32_e64 v7, v7, v9, s[0:1]
	v_mov_b32_dpp v10, v8 row_bcast:15 row_mask:0xf bank_mask:0xf
	v_cmp_gt_f32_e64 s[0:1], v10, v8
	v_mov_b32_dpp v9, v7 row_bcast:15 row_mask:0xf bank_mask:0xf
	v_cndmask_b32_e64 v8, v8, v10, s[0:1]
	v_cndmask_b32_e64 v7, v7, v9, s[0:1]
	s_nop 0
	v_mov_b32_dpp v10, v8 row_bcast:31 row_mask:0xf bank_mask:0xf
	v_mov_b32_dpp v9, v7 row_bcast:31 row_mask:0xf bank_mask:0xf
	v_cmp_gt_f32_e64 s[0:1], v10, v8
	v_cndmask_b32_e64 v7, v7, v9, s[0:1]
	v_cndmask_b32_e64 v8, v8, v10, s[0:1]
	v_readlane_b32 s0, v7, 63
	s_lshl_b32 s1, s0, 2
	s_add_i32 s1, s1, 0
	v_mov_b32_e32 v7, s1
	v_readlane_b32 s10, v8, 63
	ds_write_b32 v7, v6
	v_mov_b32_e32 v7, s0
	v_cmp_eq_u32_e64 s[0:1], s7, v0
	v_cndmask_b32_e64 v1, v1, v7, s[0:1]
	v_mov_b32_e32 v7, s10
	s_add_i32 s7, s7, 1
	v_cndmask_b32_e64 v3, v3, v7, s[0:1]
	s_cmp_eq_u32 s7, s9
	v_add_f32_e32 v2, s10, v2
	s_cbranch_scc1 .LBB104_34
.LBB104_29:                             ; =>This Loop Header: Depth=1
                                        ;     Child Loop BB104_31 Depth 2
	v_mov_b32_e32 v7, s7
	v_mov_b32_e32 v8, 0xff800000
	s_and_saveexec_b64 s[10:11], vcc
	s_cbranch_execz .LBB104_28
; %bb.30:                               ;   in Loop: Header=BB104_29 Depth=1
	s_load_dword s0, s[2:3], 0xc
	s_mov_b64 s[16:17], 0
	v_mov_b32_e32 v7, s7
	v_mov_b32_e32 v8, 0xff800000
	;; [unrolled: 1-line block ×3, first 2 shown]
	s_waitcnt lgkmcnt(0)
	s_and_b32 s18, s0, 0xffff
	s_lshl_b32 s19, s18, 1
	s_lshl_b32 s20, s18, 3
	v_mov_b32_e32 v10, v4
	v_mov_b32_e32 v11, v0
.LBB104_31:                             ;   Parent Loop BB104_29 Depth=1
                                        ; =>  This Inner Loop Header: Depth=2
	ds_read_b64 v[12:13], v9
	v_add_u32_e32 v11, s18, v11
	v_cmp_le_i32_e64 s[0:1], s8, v11
	s_or_b64 s[16:17], s[0:1], s[16:17]
	v_add_u32_e32 v14, 1, v10
	s_waitcnt lgkmcnt(0)
	v_cmp_gt_f32_e64 s[0:1], v12, v8
	v_cndmask_b32_e64 v8, v8, v12, s[0:1]
	v_cndmask_b32_e64 v7, v7, v10, s[0:1]
	v_cmp_gt_f32_e64 s[0:1], v13, v8
	v_add_u32_e32 v9, s20, v9
	v_cndmask_b32_e64 v8, v8, v13, s[0:1]
	v_add_u32_e32 v10, s19, v10
	v_cndmask_b32_e64 v7, v7, v14, s[0:1]
	s_andn2_b64 exec, exec, s[16:17]
	s_cbranch_execnz .LBB104_31
; %bb.32:                               ;   in Loop: Header=BB104_29 Depth=1
	s_or_b64 exec, exec, s[16:17]
	s_branch .LBB104_28
.LBB104_33:
	v_mov_b32_e32 v2, 0
                                        ; implicit-def: $vgpr3
                                        ; implicit-def: $vgpr1
.LBB104_34:
	v_cmp_gt_i32_e32 vcc, s9, v0
	s_and_saveexec_b64 s[0:1], vcc
	s_cbranch_execz .LBB104_37
; %bb.35:
	s_load_dword s7, s[4:5], 0x38
	s_load_dwordx2 s[0:1], s[4:5], 0x20
	s_load_dword s8, s[4:5], 0x4c
	s_waitcnt lgkmcnt(0)
	v_div_scale_f32 v4, s[2:3], v2, v2, s7
	v_rcp_f32_e32 v5, v4
	v_div_scale_f32 v6, vcc, s7, v2, s7
	s_ashr_i32 s2, s6, 31
	v_fma_f32 v7, -v4, v5, 1.0
	v_fmac_f32_e32 v5, v7, v5
	v_mul_f32_e32 v7, v6, v5
	v_fma_f32 v8, -v4, v7, v6
	v_fmac_f32_e32 v7, v8, v5
	v_fma_f32 v4, -v4, v7, v6
	s_mul_i32 s1, s6, s1
	s_mul_hi_u32 s3, s6, s0
	v_div_fmas_f32 v4, v4, v5, v7
	s_add_i32 s1, s3, s1
	s_mul_i32 s2, s2, s0
	v_div_fixup_f32 v2, v4, v2, s7
	s_add_i32 s4, s1, s2
	v_mul_f32_e32 v2, v2, v3
	s_mul_i32 s2, s6, s0
	s_and_b32 s3, s8, 0xffff
	s_mov_b64 s[0:1], 0
	v_mov_b32_e32 v3, s4
	v_mov_b32_e32 v4, s13
	;; [unrolled: 1-line block ×3, first 2 shown]
.LBB104_36:                             ; =>This Inner Loop Header: Depth=1
	v_ashrrev_i32_e32 v7, 31, v0
	v_add_co_u32_e32 v6, vcc, s2, v0
	v_addc_co_u32_e32 v7, vcc, v3, v7, vcc
	v_add_u32_e32 v0, s3, v0
	v_cmp_le_i32_e32 vcc, s9, v0
	v_lshlrev_b64 v[6:7], 2, v[6:7]
	s_or_b64 s[0:1], vcc, s[0:1]
	v_add_co_u32_e32 v8, vcc, s12, v6
	v_addc_co_u32_e32 v9, vcc, v4, v7, vcc
	v_add_co_u32_e32 v6, vcc, s14, v6
	v_addc_co_u32_e32 v7, vcc, v5, v7, vcc
	global_store_dword v[8:9], v2, off
	global_store_dword v[6:7], v1, off
	s_andn2_b64 exec, exec, s[0:1]
	s_cbranch_execnz .LBB104_36
.LBB104_37:
	s_endpgm
	.section	.rodata,"a",@progbits
	.p2align	6, 0x0
	.amdhsa_kernel _ZN5aiter19grouped_topk_kernelIN3c104HalfEDv2_fLi8ELb1ELb0ELb1EEEvPT_PKS4_PfPimiiiif
		.amdhsa_group_segment_fixed_size 0
		.amdhsa_private_segment_fixed_size 0
		.amdhsa_kernarg_size 320
		.amdhsa_user_sgpr_count 6
		.amdhsa_user_sgpr_private_segment_buffer 1
		.amdhsa_user_sgpr_dispatch_ptr 0
		.amdhsa_user_sgpr_queue_ptr 0
		.amdhsa_user_sgpr_kernarg_segment_ptr 1
		.amdhsa_user_sgpr_dispatch_id 0
		.amdhsa_user_sgpr_flat_scratch_init 0
		.amdhsa_user_sgpr_kernarg_preload_length 0
		.amdhsa_user_sgpr_kernarg_preload_offset 0
		.amdhsa_user_sgpr_private_segment_size 0
		.amdhsa_uses_dynamic_stack 0
		.amdhsa_system_sgpr_private_segment_wavefront_offset 0
		.amdhsa_system_sgpr_workgroup_id_x 1
		.amdhsa_system_sgpr_workgroup_id_y 0
		.amdhsa_system_sgpr_workgroup_id_z 0
		.amdhsa_system_sgpr_workgroup_info 0
		.amdhsa_system_vgpr_workitem_id 0
		.amdhsa_next_free_vgpr 15
		.amdhsa_next_free_sgpr 24
		.amdhsa_accum_offset 16
		.amdhsa_reserve_vcc 1
		.amdhsa_reserve_flat_scratch 0
		.amdhsa_float_round_mode_32 0
		.amdhsa_float_round_mode_16_64 0
		.amdhsa_float_denorm_mode_32 3
		.amdhsa_float_denorm_mode_16_64 3
		.amdhsa_dx10_clamp 1
		.amdhsa_ieee_mode 1
		.amdhsa_fp16_overflow 0
		.amdhsa_tg_split 0
		.amdhsa_exception_fp_ieee_invalid_op 0
		.amdhsa_exception_fp_denorm_src 0
		.amdhsa_exception_fp_ieee_div_zero 0
		.amdhsa_exception_fp_ieee_overflow 0
		.amdhsa_exception_fp_ieee_underflow 0
		.amdhsa_exception_fp_ieee_inexact 0
		.amdhsa_exception_int_div_zero 0
	.end_amdhsa_kernel
	.section	.text._ZN5aiter19grouped_topk_kernelIN3c104HalfEDv2_fLi8ELb1ELb0ELb1EEEvPT_PKS4_PfPimiiiif,"axG",@progbits,_ZN5aiter19grouped_topk_kernelIN3c104HalfEDv2_fLi8ELb1ELb0ELb1EEEvPT_PKS4_PfPimiiiif,comdat
.Lfunc_end104:
	.size	_ZN5aiter19grouped_topk_kernelIN3c104HalfEDv2_fLi8ELb1ELb0ELb1EEEvPT_PKS4_PfPimiiiif, .Lfunc_end104-_ZN5aiter19grouped_topk_kernelIN3c104HalfEDv2_fLi8ELb1ELb0ELb1EEEvPT_PKS4_PfPimiiiif
                                        ; -- End function
	.section	.AMDGPU.csdata,"",@progbits
; Kernel info:
; codeLenInByte = 2576
; NumSgprs: 28
; NumVgprs: 15
; NumAgprs: 0
; TotalNumVgprs: 15
; ScratchSize: 0
; MemoryBound: 0
; FloatMode: 240
; IeeeMode: 1
; LDSByteSize: 0 bytes/workgroup (compile time only)
; SGPRBlocks: 3
; VGPRBlocks: 1
; NumSGPRsForWavesPerEU: 28
; NumVGPRsForWavesPerEU: 15
; AccumOffset: 16
; Occupancy: 8
; WaveLimiterHint : 0
; COMPUTE_PGM_RSRC2:SCRATCH_EN: 0
; COMPUTE_PGM_RSRC2:USER_SGPR: 6
; COMPUTE_PGM_RSRC2:TRAP_HANDLER: 0
; COMPUTE_PGM_RSRC2:TGID_X_EN: 1
; COMPUTE_PGM_RSRC2:TGID_Y_EN: 0
; COMPUTE_PGM_RSRC2:TGID_Z_EN: 0
; COMPUTE_PGM_RSRC2:TIDIG_COMP_CNT: 0
; COMPUTE_PGM_RSRC3_GFX90A:ACCUM_OFFSET: 3
; COMPUTE_PGM_RSRC3_GFX90A:TG_SPLIT: 0
	.section	.text._ZN5aiter19grouped_topk_kernelIN3c108BFloat16EDv2_fLi8ELb1ELb0ELb1EEEvPT_PKS4_PfPimiiiif,"axG",@progbits,_ZN5aiter19grouped_topk_kernelIN3c108BFloat16EDv2_fLi8ELb1ELb0ELb1EEEvPT_PKS4_PfPimiiiif,comdat
	.protected	_ZN5aiter19grouped_topk_kernelIN3c108BFloat16EDv2_fLi8ELb1ELb0ELb1EEEvPT_PKS4_PfPimiiiif ; -- Begin function _ZN5aiter19grouped_topk_kernelIN3c108BFloat16EDv2_fLi8ELb1ELb0ELb1EEEvPT_PKS4_PfPimiiiif
	.globl	_ZN5aiter19grouped_topk_kernelIN3c108BFloat16EDv2_fLi8ELb1ELb0ELb1EEEvPT_PKS4_PfPimiiiif
	.p2align	8
	.type	_ZN5aiter19grouped_topk_kernelIN3c108BFloat16EDv2_fLi8ELb1ELb0ELb1EEEvPT_PKS4_PfPimiiiif,@function
_ZN5aiter19grouped_topk_kernelIN3c108BFloat16EDv2_fLi8ELb1ELb0ELb1EEEvPT_PKS4_PfPimiiiif: ; @_ZN5aiter19grouped_topk_kernelIN3c108BFloat16EDv2_fLi8ELb1ELb0ELb1EEEvPT_PKS4_PfPimiiiif
; %bb.0:
	s_load_dwordx4 s[8:11], s[4:5], 0x28
	s_load_dwordx4 s[12:15], s[4:5], 0x10
	v_mov_b32_e32 v1, 0xff800000
	s_waitcnt lgkmcnt(0)
	v_cmp_gt_i32_e32 vcc, s8, v0
	s_and_saveexec_b64 s[2:3], vcc
	s_cbranch_execz .LBB105_4
; %bb.1:
	s_load_dword s0, s[4:5], 0x4c
	s_load_dwordx2 s[16:17], s[4:5], 0x0
	s_mul_i32 s7, s6, s8
	v_lshl_add_u32 v2, v0, 2, 0
	s_mov_b64 s[18:19], 0
	s_waitcnt lgkmcnt(0)
	s_and_b32 s11, s0, 0xffff
	s_lshl_b32 s20, s11, 2
	v_mov_b32_e32 v1, 0xff800000
	v_mov_b32_e32 v3, s17
	;; [unrolled: 1-line block ×3, first 2 shown]
.LBB105_2:                              ; =>This Inner Loop Header: Depth=1
	v_add_u32_e32 v6, s7, v4
	v_ashrrev_i32_e32 v7, 31, v6
	v_lshlrev_b64 v[6:7], 1, v[6:7]
	v_add_co_u32_e64 v6, s[0:1], s16, v6
	v_addc_co_u32_e64 v7, s[0:1], v3, v7, s[0:1]
	global_load_ushort v5, v[6:7], off
	v_add_u32_e32 v4, s11, v4
	v_cmp_le_i32_e64 s[0:1], s8, v4
	s_or_b64 s[18:19], s[0:1], s[18:19]
	s_waitcnt vmcnt(0)
	v_lshrrev_b16_e32 v6, 8, v5
	v_and_b32_e32 v5, 0xff, v5
	v_lshlrev_b32_e32 v5, 16, v5
	v_lshl_or_b32 v5, v6, 24, v5
	v_cmp_lt_f32_e64 s[0:1], v1, v5
	ds_write_b32 v2, v5
	v_cndmask_b32_e64 v1, v1, v5, s[0:1]
	v_add_u32_e32 v2, s20, v2
	s_andn2_b64 exec, exec, s[18:19]
	s_cbranch_execnz .LBB105_2
; %bb.3:
	s_or_b64 exec, exec, s[18:19]
.LBB105_4:
	s_or_b64 exec, exec, s[2:3]
	v_mov_b32_dpp v2, v1 quad_perm:[1,0,3,2] row_mask:0xf bank_mask:0xf
	v_cmp_lt_f32_e64 s[0:1], v1, v2
	v_cndmask_b32_e64 v1, v1, v2, s[0:1]
	v_bfrev_b32_e32 v3, 0.5
	s_waitcnt lgkmcnt(0)
	v_mov_b32_dpp v2, v1 quad_perm:[2,3,0,1] row_mask:0xf bank_mask:0xf
	v_cmp_lt_f32_e64 s[0:1], v1, v2
	v_cndmask_b32_e64 v1, v1, v2, s[0:1]
	s_barrier
	s_nop 0
	v_mov_b32_dpp v2, v1 row_half_mirror row_mask:0xf bank_mask:0xf
	v_cmp_lt_f32_e64 s[0:1], v1, v2
	v_cndmask_b32_e64 v1, v1, v2, s[0:1]
	s_nop 1
	v_mov_b32_dpp v2, v1 row_mirror row_mask:0xf bank_mask:0xf
	v_cmp_lt_f32_e64 s[0:1], v1, v2
	v_cndmask_b32_e64 v1, v1, v2, s[0:1]
	s_nop 1
	v_mov_b32_dpp v2, v1 row_bcast:15 row_mask:0xf bank_mask:0xf
	v_cmp_lt_f32_e64 s[0:1], v1, v2
	v_cndmask_b32_e64 v1, v1, v2, s[0:1]
	s_nop 1
	v_mov_b32_dpp v2, v1 row_bcast:31 row_mask:0xf bank_mask:0xf
	v_cmp_lt_f32_e64 s[0:1], v1, v2
	v_cndmask_b32_e64 v2, v1, v2, s[0:1]
	v_mbcnt_lo_u32_b32 v1, -1, 0
	v_mbcnt_hi_u32_b32 v1, -1, v1
	v_lshl_or_b32 v1, v1, 2, v3
	ds_bpermute_b32 v3, v1, v2
	v_mov_b32_e32 v2, 0
	s_and_saveexec_b64 s[2:3], vcc
	s_cbranch_execz .LBB105_8
; %bb.5:
	s_load_dword s0, s[4:5], 0x4c
	v_lshl_add_u32 v4, v0, 2, 0
	s_mov_b64 s[16:17], 0
	v_mov_b32_e32 v2, 0
	s_mov_b32 s7, 0x3fb8aa3b
	s_waitcnt lgkmcnt(0)
	s_and_b32 s11, s0, 0xffff
	s_lshl_b32 s18, s11, 2
	s_mov_b32 s19, 0xc2ce8ed0
	s_mov_b32 s20, 0x42b17218
	v_mov_b32_e32 v5, 0x7f800000
	v_mov_b32_e32 v6, v0
.LBB105_6:                              ; =>This Inner Loop Header: Depth=1
	ds_read_b32 v7, v4
	v_add_u32_e32 v6, s11, v6
	s_waitcnt lgkmcnt(0)
	v_sub_f32_e32 v7, v7, v3
	v_mul_f32_e32 v8, 0x3fb8aa3b, v7
	v_fma_f32 v9, v7, s7, -v8
	v_rndne_f32_e32 v10, v8
	v_fmac_f32_e32 v9, 0x32a5705f, v7
	v_sub_f32_e32 v8, v8, v10
	v_add_f32_e32 v8, v8, v9
	v_cvt_i32_f32_e32 v10, v10
	v_exp_f32_e32 v8, v8
	v_cmp_ngt_f32_e64 s[0:1], s19, v7
	v_ldexp_f32 v8, v8, v10
	v_cndmask_b32_e64 v8, 0, v8, s[0:1]
	v_cmp_nlt_f32_e64 s[0:1], s20, v7
	v_cndmask_b32_e64 v7, v5, v8, s[0:1]
	v_cmp_le_i32_e64 s[0:1], s8, v6
	ds_write_b32 v4, v7
	v_add_f32_e32 v2, v2, v7
	s_or_b64 s[16:17], s[0:1], s[16:17]
	v_add_u32_e32 v4, s18, v4
	s_andn2_b64 exec, exec, s[16:17]
	s_cbranch_execnz .LBB105_6
; %bb.7:
	s_or_b64 exec, exec, s[16:17]
.LBB105_8:
	s_or_b64 exec, exec, s[2:3]
	s_waitcnt lgkmcnt(0)
	v_mov_b32_dpp v3, v2 quad_perm:[1,0,3,2] row_mask:0xf bank_mask:0xf
	v_add_f32_e32 v2, v2, v3
	s_barrier
	s_nop 0
	v_mov_b32_dpp v3, v2 quad_perm:[2,3,0,1] row_mask:0xf bank_mask:0xf
	v_add_f32_e32 v2, v2, v3
	s_nop 1
	v_mov_b32_dpp v3, v2 row_half_mirror row_mask:0xf bank_mask:0xf
	v_add_f32_e32 v2, v2, v3
	s_nop 1
	v_mov_b32_dpp v3, v2 row_mirror row_mask:0xf bank_mask:0xf
	v_add_f32_e32 v2, v2, v3
	s_nop 1
	v_mov_b32_dpp v3, v2 row_bcast:15 row_mask:0xf bank_mask:0xf
	v_add_f32_e32 v2, v2, v3
	s_nop 1
	v_mov_b32_dpp v3, v2 row_bcast:31 row_mask:0xf bank_mask:0xf
	v_add_f32_e32 v2, v2, v3
	ds_bpermute_b32 v1, v1, v2
	s_and_saveexec_b64 s[0:1], vcc
	s_cbranch_execz .LBB105_11
; %bb.9:
	s_load_dword s7, s[4:5], 0x4c
	v_lshl_add_u32 v2, v0, 2, 0
	s_mov_b64 s[2:3], 0
	v_mov_b32_e32 v3, v0
	s_waitcnt lgkmcnt(0)
	s_and_b32 s7, s7, 0xffff
	s_lshl_b32 s11, s7, 2
.LBB105_10:                             ; =>This Inner Loop Header: Depth=1
	ds_read_b32 v4, v2
	v_add_u32_e32 v3, s7, v3
	v_cmp_le_i32_e32 vcc, s8, v3
	s_or_b64 s[2:3], vcc, s[2:3]
	s_waitcnt lgkmcnt(0)
	v_div_scale_f32 v5, s[16:17], v1, v1, v4
	v_rcp_f32_e32 v6, v5
	v_div_scale_f32 v7, vcc, v4, v1, v4
	v_fma_f32 v8, -v5, v6, 1.0
	v_fmac_f32_e32 v6, v8, v6
	v_mul_f32_e32 v8, v7, v6
	v_fma_f32 v9, -v5, v8, v7
	v_fmac_f32_e32 v8, v9, v6
	v_fma_f32 v5, -v5, v8, v7
	v_div_fmas_f32 v5, v5, v6, v8
	v_div_fixup_f32 v4, v5, v1, v4
	ds_write_b32 v2, v4
	v_add_u32_e32 v2, s11, v2
	s_andn2_b64 exec, exec, s[2:3]
	s_cbranch_execnz .LBB105_10
.LBB105_11:
	s_or_b64 exec, exec, s[0:1]
	s_ashr_i32 s0, s8, 31
	s_lshr_b32 s0, s0, 29
	s_add_i32 s0, s8, s0
	s_ashr_i32 s11, s0, 3
	s_lshl_b32 s0, s8, 2
	s_add_i32 s7, s0, 0
	v_cmp_gt_u32_e32 vcc, 8, v0
	s_waitcnt lgkmcnt(0)
	s_barrier
	s_and_saveexec_b64 s[2:3], vcc
	s_cbranch_execz .LBB105_18
; %bb.12:
	s_load_dword s0, s[4:5], 0x4c
	v_mul_lo_u32 v1, v0, s11
	v_lshl_add_u32 v1, v1, 2, 0
	s_waitcnt lgkmcnt(0)
	s_and_b32 s20, s0, 0xffff
	s_cmp_gt_i32 s8, 7
	s_cselect_b64 s[0:1], -1, 0
	s_mul_i32 s16, s11, s20
	v_cndmask_b32_e64 v2, 0, 1, s[0:1]
	s_lshl_b32 s21, s16, 2
	s_mov_b64 s[16:17], 0
	v_cmp_ne_u32_e64 s[0:1], 1, v2
	v_mov_b32_e32 v2, v0
	s_branch .LBB105_14
.LBB105_13:                             ;   in Loop: Header=BB105_14 Depth=1
	v_lshl_add_u32 v4, v2, 2, s7
	v_add_u32_e32 v2, s20, v2
	v_cmp_lt_u32_e32 vcc, 7, v2
	s_or_b64 s[16:17], vcc, s[16:17]
	v_add_u32_e32 v1, s21, v1
	ds_write_b32 v4, v3
	s_andn2_b64 exec, exec, s[16:17]
	s_cbranch_execz .LBB105_18
.LBB105_14:                             ; =>This Loop Header: Depth=1
                                        ;     Child Loop BB105_16 Depth 2
	s_and_b64 vcc, exec, s[0:1]
	v_mov_b32_e32 v3, 0xff800000
	s_cbranch_vccnz .LBB105_13
; %bb.15:                               ;   in Loop: Header=BB105_14 Depth=1
	v_mul_lo_u32 v4, v2, s11
	v_add_u32_e32 v5, s11, v4
	s_mov_b64 s[18:19], 0
	v_mov_b32_e32 v3, 0xff800000
	v_mov_b32_e32 v6, v1
.LBB105_16:                             ;   Parent Loop BB105_14 Depth=1
                                        ; =>  This Inner Loop Header: Depth=2
	ds_read_b32 v7, v6
	v_add_u32_e32 v4, 1, v4
	v_cmp_ge_i32_e32 vcc, v4, v5
	s_or_b64 s[18:19], vcc, s[18:19]
	v_add_u32_e32 v6, 4, v6
	s_waitcnt lgkmcnt(0)
	v_cmp_gt_f32_e32 vcc, v7, v3
	v_cndmask_b32_e32 v3, v3, v7, vcc
	s_andn2_b64 exec, exec, s[18:19]
	s_cbranch_execnz .LBB105_16
; %bb.17:                               ;   in Loop: Header=BB105_14 Depth=1
	s_or_b64 exec, exec, s[18:19]
	s_branch .LBB105_13
.LBB105_18:
	s_or_b64 exec, exec, s[2:3]
	s_cmp_lt_i32 s10, 1
	s_waitcnt lgkmcnt(0)
	s_barrier
	s_cbranch_scc1 .LBB105_21
; %bb.19:
	v_mov_b32_e32 v1, s7
	s_mov_b32 s0, 0xff800000
	v_mov_b32_e32 v2, 0xff800000
.LBB105_20:                             ; =>This Inner Loop Header: Depth=1
	ds_read2_b32 v[4:5], v1 offset1:1
	ds_read2_b32 v[6:7], v1 offset0:2 offset1:3
	ds_read2_b32 v[8:9], v1 offset0:4 offset1:5
	ds_read2_b32 v[10:11], v1 offset0:6 offset1:7
	s_waitcnt lgkmcnt(3)
	v_cmp_nlg_f32_e32 vcc, s0, v4
	v_cndmask_b32_e64 v3, 0, 1, vcc
	v_cmp_lg_f32_e32 vcc, s0, v4
	v_readfirstlane_b32 s1, v3
	v_cndmask_b32_e32 v3, v2, v4, vcc
	v_cmp_gt_f32_e32 vcc, v5, v3
	s_lshl_b32 s1, s1, 3
	v_cndmask_b32_e32 v3, v3, v5, vcc
	s_and_b64 s[2:3], vcc, exec
	s_waitcnt lgkmcnt(2)
	v_cmp_gt_f32_e32 vcc, v6, v3
	v_cndmask_b32_e32 v3, v3, v6, vcc
	s_cselect_b32 s1, 1, s1
	s_and_b64 s[2:3], vcc, exec
	v_cmp_gt_f32_e32 vcc, v7, v3
	v_cndmask_b32_e32 v3, v3, v7, vcc
	s_cselect_b32 s1, 2, s1
	s_and_b64 s[2:3], vcc, exec
	s_waitcnt lgkmcnt(1)
	v_cmp_gt_f32_e32 vcc, v8, v3
	v_cndmask_b32_e32 v3, v3, v8, vcc
	s_cselect_b32 s1, 3, s1
	s_and_b64 s[2:3], vcc, exec
	v_cmp_gt_f32_e32 vcc, v9, v3
	v_cndmask_b32_e32 v3, v3, v9, vcc
	s_cselect_b32 s1, 4, s1
	s_and_b64 s[2:3], vcc, exec
	s_waitcnt lgkmcnt(0)
	v_cmp_gt_f32_e32 vcc, v10, v3
	v_cndmask_b32_e32 v3, v3, v10, vcc
	s_cselect_b32 s1, 5, s1
	s_and_b64 s[2:3], vcc, exec
	v_cmp_ngt_f32_e32 vcc, v11, v3
	s_cselect_b32 s1, 6, s1
	s_and_b64 s[2:3], vcc, exec
	s_cselect_b32 s1, s1, 7
	s_lshl_b32 s1, s1, 2
	s_add_i32 s1, s7, s1
	s_add_i32 s10, s10, -1
	v_mov_b32_e32 v3, s1
	s_cmp_lg_u32 s10, 0
	ds_write_b32 v3, v2
	s_cbranch_scc1 .LBB105_20
.LBB105_21:
	s_lshr_b32 s0, s8, 31
	s_add_i32 s0, s8, s0
	s_ashr_i32 s8, s0, 1
	v_cmp_gt_i32_e32 vcc, s8, v0
	v_lshlrev_b32_e32 v4, 1, v0
	v_lshl_add_u32 v5, v0, 3, 0
	s_and_saveexec_b64 s[2:3], vcc
	s_cbranch_execz .LBB105_26
; %bb.22:
	s_abs_i32 s18, s11
	v_cvt_f32_u32_e32 v2, s18
	s_load_dword s0, s[4:5], 0x4c
	s_sub_i32 s1, 0, s18
	s_ashr_i32 s19, s11, 31
	v_rcp_iflag_f32_e32 v2, v2
	v_lshlrev_b32_e32 v1, 1, v0
	s_waitcnt lgkmcnt(0)
	s_and_b32 s20, s0, 0xffff
	v_lshl_add_u32 v6, v0, 3, 0
	v_mul_f32_e32 v2, 0x4f7ffffe, v2
	v_cvt_u32_f32_e32 v2, v2
	s_mov_b64 s[10:11], 0
	s_lshl_b32 s21, s20, 1
	s_lshl_b32 s22, s20, 3
	v_mul_lo_u32 v3, s1, v2
	v_mul_hi_u32 v3, v2, v3
	v_add_u32_e32 v7, v2, v3
	s_mov_b32 s23, 0xff800000
	v_mov_b32_e32 v2, 0xff800000
	v_mov_b32_e32 v8, v0
	s_branch .LBB105_24
.LBB105_23:                             ;   in Loop: Header=BB105_24 Depth=1
	s_or_b64 exec, exec, s[16:17]
	v_add_u32_e32 v8, s20, v8
	v_cmp_le_i32_e64 s[0:1], s8, v8
	v_add_u32_e32 v1, s21, v1
	s_or_b64 s[10:11], s[0:1], s[10:11]
	v_add_u32_e32 v6, s22, v6
	s_andn2_b64 exec, exec, s[10:11]
	s_cbranch_execz .LBB105_26
.LBB105_24:                             ; =>This Inner Loop Header: Depth=1
	v_mul_hi_u32 v3, v1, v7
	v_mul_lo_u32 v9, v3, s18
	v_sub_u32_e32 v9, v1, v9
	v_add_u32_e32 v10, 1, v3
	v_cmp_le_u32_e64 s[0:1], s18, v9
	v_cndmask_b32_e64 v3, v3, v10, s[0:1]
	v_subrev_u32_e32 v10, s18, v9
	v_cndmask_b32_e64 v9, v9, v10, s[0:1]
	v_add_u32_e32 v10, 1, v3
	v_cmp_le_u32_e64 s[0:1], s18, v9
	v_cndmask_b32_e64 v3, v3, v10, s[0:1]
	v_xor_b32_e32 v3, s19, v3
	v_subrev_u32_e32 v3, s19, v3
	v_lshl_add_u32 v3, v3, 2, s7
	ds_read_b32 v3, v3
	s_waitcnt lgkmcnt(0)
	v_cmp_neq_f32_e64 s[0:1], s23, v3
	s_and_saveexec_b64 s[16:17], s[0:1]
	s_cbranch_execz .LBB105_23
; %bb.25:                               ;   in Loop: Header=BB105_24 Depth=1
	v_mov_b32_e32 v3, v2
	ds_write_b64 v6, v[2:3]
	s_branch .LBB105_23
.LBB105_26:
	s_or_b64 exec, exec, s[2:3]
	s_cmp_lt_i32 s9, 1
	s_waitcnt lgkmcnt(0)
	s_barrier
	s_cbranch_scc1 .LBB105_33
; %bb.27:
	s_add_u32 s2, s4, 64
	s_addc_u32 s3, s5, 0
	s_mov_b32 s7, 0
	v_mov_b32_e32 v2, 0
	v_mov_b32_e32 v6, 0xff800000
                                        ; implicit-def: $vgpr3
                                        ; implicit-def: $vgpr1
	s_branch .LBB105_29
.LBB105_28:                             ;   in Loop: Header=BB105_29 Depth=1
	s_or_b64 exec, exec, s[10:11]
	v_mov_b32_dpp v10, v8 quad_perm:[1,0,3,2] row_mask:0xf bank_mask:0xf
	v_cmp_lt_f32_e64 s[0:1], v8, v10
	v_cndmask_b32_e64 v8, v8, v10, s[0:1]
	v_mov_b32_dpp v9, v7 quad_perm:[1,0,3,2] row_mask:0xf bank_mask:0xf
	v_cndmask_b32_e64 v7, v7, v9, s[0:1]
	v_mov_b32_dpp v10, v8 quad_perm:[2,3,0,1] row_mask:0xf bank_mask:0xf
	v_cmp_gt_f32_e64 s[0:1], v10, v8
	v_cndmask_b32_e64 v8, v8, v10, s[0:1]
	v_mov_b32_dpp v9, v7 quad_perm:[2,3,0,1] row_mask:0xf bank_mask:0xf
	v_cndmask_b32_e64 v7, v7, v9, s[0:1]
	v_mov_b32_dpp v10, v8 row_half_mirror row_mask:0xf bank_mask:0xf
	v_cmp_gt_f32_e64 s[0:1], v10, v8
	v_cndmask_b32_e64 v8, v8, v10, s[0:1]
	v_mov_b32_dpp v9, v7 row_half_mirror row_mask:0xf bank_mask:0xf
	v_cndmask_b32_e64 v7, v7, v9, s[0:1]
	v_mov_b32_dpp v10, v8 row_mirror row_mask:0xf bank_mask:0xf
	v_cmp_gt_f32_e64 s[0:1], v10, v8
	v_cndmask_b32_e64 v8, v8, v10, s[0:1]
	v_mov_b32_dpp v9, v7 row_mirror row_mask:0xf bank_mask:0xf
	v_cndmask_b32_e64 v7, v7, v9, s[0:1]
	v_mov_b32_dpp v10, v8 row_bcast:15 row_mask:0xf bank_mask:0xf
	v_cmp_gt_f32_e64 s[0:1], v10, v8
	v_mov_b32_dpp v9, v7 row_bcast:15 row_mask:0xf bank_mask:0xf
	v_cndmask_b32_e64 v8, v8, v10, s[0:1]
	v_cndmask_b32_e64 v7, v7, v9, s[0:1]
	s_nop 0
	v_mov_b32_dpp v10, v8 row_bcast:31 row_mask:0xf bank_mask:0xf
	v_mov_b32_dpp v9, v7 row_bcast:31 row_mask:0xf bank_mask:0xf
	v_cmp_gt_f32_e64 s[0:1], v10, v8
	v_cndmask_b32_e64 v7, v7, v9, s[0:1]
	v_cndmask_b32_e64 v8, v8, v10, s[0:1]
	v_readlane_b32 s0, v7, 63
	s_lshl_b32 s1, s0, 2
	s_add_i32 s1, s1, 0
	v_mov_b32_e32 v7, s1
	v_readlane_b32 s10, v8, 63
	ds_write_b32 v7, v6
	v_mov_b32_e32 v7, s0
	v_cmp_eq_u32_e64 s[0:1], s7, v0
	v_cndmask_b32_e64 v1, v1, v7, s[0:1]
	v_mov_b32_e32 v7, s10
	s_add_i32 s7, s7, 1
	v_cndmask_b32_e64 v3, v3, v7, s[0:1]
	s_cmp_eq_u32 s7, s9
	v_add_f32_e32 v2, s10, v2
	s_cbranch_scc1 .LBB105_34
.LBB105_29:                             ; =>This Loop Header: Depth=1
                                        ;     Child Loop BB105_31 Depth 2
	v_mov_b32_e32 v7, s7
	v_mov_b32_e32 v8, 0xff800000
	s_and_saveexec_b64 s[10:11], vcc
	s_cbranch_execz .LBB105_28
; %bb.30:                               ;   in Loop: Header=BB105_29 Depth=1
	s_load_dword s0, s[2:3], 0xc
	s_mov_b64 s[16:17], 0
	v_mov_b32_e32 v7, s7
	v_mov_b32_e32 v8, 0xff800000
	;; [unrolled: 1-line block ×3, first 2 shown]
	s_waitcnt lgkmcnt(0)
	s_and_b32 s18, s0, 0xffff
	s_lshl_b32 s19, s18, 1
	s_lshl_b32 s20, s18, 3
	v_mov_b32_e32 v10, v4
	v_mov_b32_e32 v11, v0
.LBB105_31:                             ;   Parent Loop BB105_29 Depth=1
                                        ; =>  This Inner Loop Header: Depth=2
	ds_read_b64 v[12:13], v9
	v_add_u32_e32 v11, s18, v11
	v_cmp_le_i32_e64 s[0:1], s8, v11
	s_or_b64 s[16:17], s[0:1], s[16:17]
	v_add_u32_e32 v14, 1, v10
	s_waitcnt lgkmcnt(0)
	v_cmp_gt_f32_e64 s[0:1], v12, v8
	v_cndmask_b32_e64 v8, v8, v12, s[0:1]
	v_cndmask_b32_e64 v7, v7, v10, s[0:1]
	v_cmp_gt_f32_e64 s[0:1], v13, v8
	v_add_u32_e32 v9, s20, v9
	v_cndmask_b32_e64 v8, v8, v13, s[0:1]
	v_add_u32_e32 v10, s19, v10
	v_cndmask_b32_e64 v7, v7, v14, s[0:1]
	s_andn2_b64 exec, exec, s[16:17]
	s_cbranch_execnz .LBB105_31
; %bb.32:                               ;   in Loop: Header=BB105_29 Depth=1
	s_or_b64 exec, exec, s[16:17]
	s_branch .LBB105_28
.LBB105_33:
	v_mov_b32_e32 v2, 0
                                        ; implicit-def: $vgpr3
                                        ; implicit-def: $vgpr1
.LBB105_34:
	v_cmp_gt_i32_e32 vcc, s9, v0
	s_and_saveexec_b64 s[0:1], vcc
	s_cbranch_execz .LBB105_37
; %bb.35:
	s_load_dword s7, s[4:5], 0x38
	s_load_dwordx2 s[0:1], s[4:5], 0x20
	s_load_dword s8, s[4:5], 0x4c
	s_waitcnt lgkmcnt(0)
	v_div_scale_f32 v4, s[2:3], v2, v2, s7
	v_rcp_f32_e32 v5, v4
	v_div_scale_f32 v6, vcc, s7, v2, s7
	s_ashr_i32 s2, s6, 31
	v_fma_f32 v7, -v4, v5, 1.0
	v_fmac_f32_e32 v5, v7, v5
	v_mul_f32_e32 v7, v6, v5
	v_fma_f32 v8, -v4, v7, v6
	v_fmac_f32_e32 v7, v8, v5
	v_fma_f32 v4, -v4, v7, v6
	s_mul_i32 s1, s6, s1
	s_mul_hi_u32 s3, s6, s0
	v_div_fmas_f32 v4, v4, v5, v7
	s_add_i32 s1, s3, s1
	s_mul_i32 s2, s2, s0
	v_div_fixup_f32 v2, v4, v2, s7
	s_add_i32 s4, s1, s2
	v_mul_f32_e32 v2, v2, v3
	s_mul_i32 s2, s6, s0
	s_and_b32 s3, s8, 0xffff
	s_mov_b64 s[0:1], 0
	v_mov_b32_e32 v3, s4
	v_mov_b32_e32 v4, s13
	;; [unrolled: 1-line block ×3, first 2 shown]
.LBB105_36:                             ; =>This Inner Loop Header: Depth=1
	v_ashrrev_i32_e32 v7, 31, v0
	v_add_co_u32_e32 v6, vcc, s2, v0
	v_addc_co_u32_e32 v7, vcc, v3, v7, vcc
	v_add_u32_e32 v0, s3, v0
	v_cmp_le_i32_e32 vcc, s9, v0
	v_lshlrev_b64 v[6:7], 2, v[6:7]
	s_or_b64 s[0:1], vcc, s[0:1]
	v_add_co_u32_e32 v8, vcc, s12, v6
	v_addc_co_u32_e32 v9, vcc, v4, v7, vcc
	v_add_co_u32_e32 v6, vcc, s14, v6
	v_addc_co_u32_e32 v7, vcc, v5, v7, vcc
	global_store_dword v[8:9], v2, off
	global_store_dword v[6:7], v1, off
	s_andn2_b64 exec, exec, s[0:1]
	s_cbranch_execnz .LBB105_36
.LBB105_37:
	s_endpgm
	.section	.rodata,"a",@progbits
	.p2align	6, 0x0
	.amdhsa_kernel _ZN5aiter19grouped_topk_kernelIN3c108BFloat16EDv2_fLi8ELb1ELb0ELb1EEEvPT_PKS4_PfPimiiiif
		.amdhsa_group_segment_fixed_size 0
		.amdhsa_private_segment_fixed_size 0
		.amdhsa_kernarg_size 320
		.amdhsa_user_sgpr_count 6
		.amdhsa_user_sgpr_private_segment_buffer 1
		.amdhsa_user_sgpr_dispatch_ptr 0
		.amdhsa_user_sgpr_queue_ptr 0
		.amdhsa_user_sgpr_kernarg_segment_ptr 1
		.amdhsa_user_sgpr_dispatch_id 0
		.amdhsa_user_sgpr_flat_scratch_init 0
		.amdhsa_user_sgpr_kernarg_preload_length 0
		.amdhsa_user_sgpr_kernarg_preload_offset 0
		.amdhsa_user_sgpr_private_segment_size 0
		.amdhsa_uses_dynamic_stack 0
		.amdhsa_system_sgpr_private_segment_wavefront_offset 0
		.amdhsa_system_sgpr_workgroup_id_x 1
		.amdhsa_system_sgpr_workgroup_id_y 0
		.amdhsa_system_sgpr_workgroup_id_z 0
		.amdhsa_system_sgpr_workgroup_info 0
		.amdhsa_system_vgpr_workitem_id 0
		.amdhsa_next_free_vgpr 15
		.amdhsa_next_free_sgpr 24
		.amdhsa_accum_offset 16
		.amdhsa_reserve_vcc 1
		.amdhsa_reserve_flat_scratch 0
		.amdhsa_float_round_mode_32 0
		.amdhsa_float_round_mode_16_64 0
		.amdhsa_float_denorm_mode_32 3
		.amdhsa_float_denorm_mode_16_64 3
		.amdhsa_dx10_clamp 1
		.amdhsa_ieee_mode 1
		.amdhsa_fp16_overflow 0
		.amdhsa_tg_split 0
		.amdhsa_exception_fp_ieee_invalid_op 0
		.amdhsa_exception_fp_denorm_src 0
		.amdhsa_exception_fp_ieee_div_zero 0
		.amdhsa_exception_fp_ieee_overflow 0
		.amdhsa_exception_fp_ieee_underflow 0
		.amdhsa_exception_fp_ieee_inexact 0
		.amdhsa_exception_int_div_zero 0
	.end_amdhsa_kernel
	.section	.text._ZN5aiter19grouped_topk_kernelIN3c108BFloat16EDv2_fLi8ELb1ELb0ELb1EEEvPT_PKS4_PfPimiiiif,"axG",@progbits,_ZN5aiter19grouped_topk_kernelIN3c108BFloat16EDv2_fLi8ELb1ELb0ELb1EEEvPT_PKS4_PfPimiiiif,comdat
.Lfunc_end105:
	.size	_ZN5aiter19grouped_topk_kernelIN3c108BFloat16EDv2_fLi8ELb1ELb0ELb1EEEvPT_PKS4_PfPimiiiif, .Lfunc_end105-_ZN5aiter19grouped_topk_kernelIN3c108BFloat16EDv2_fLi8ELb1ELb0ELb1EEEvPT_PKS4_PfPimiiiif
                                        ; -- End function
	.section	.AMDGPU.csdata,"",@progbits
; Kernel info:
; codeLenInByte = 2596
; NumSgprs: 28
; NumVgprs: 15
; NumAgprs: 0
; TotalNumVgprs: 15
; ScratchSize: 0
; MemoryBound: 0
; FloatMode: 240
; IeeeMode: 1
; LDSByteSize: 0 bytes/workgroup (compile time only)
; SGPRBlocks: 3
; VGPRBlocks: 1
; NumSGPRsForWavesPerEU: 28
; NumVGPRsForWavesPerEU: 15
; AccumOffset: 16
; Occupancy: 8
; WaveLimiterHint : 0
; COMPUTE_PGM_RSRC2:SCRATCH_EN: 0
; COMPUTE_PGM_RSRC2:USER_SGPR: 6
; COMPUTE_PGM_RSRC2:TRAP_HANDLER: 0
; COMPUTE_PGM_RSRC2:TGID_X_EN: 1
; COMPUTE_PGM_RSRC2:TGID_Y_EN: 0
; COMPUTE_PGM_RSRC2:TGID_Z_EN: 0
; COMPUTE_PGM_RSRC2:TIDIG_COMP_CNT: 0
; COMPUTE_PGM_RSRC3_GFX90A:ACCUM_OFFSET: 3
; COMPUTE_PGM_RSRC3_GFX90A:TG_SPLIT: 0
	.section	.text._ZN5aiter19grouped_topk_kernelIfDv2_fLi8ELb1ELb0ELb0EEEvPT_PKS2_PfPimiiiif,"axG",@progbits,_ZN5aiter19grouped_topk_kernelIfDv2_fLi8ELb1ELb0ELb0EEEvPT_PKS2_PfPimiiiif,comdat
	.protected	_ZN5aiter19grouped_topk_kernelIfDv2_fLi8ELb1ELb0ELb0EEEvPT_PKS2_PfPimiiiif ; -- Begin function _ZN5aiter19grouped_topk_kernelIfDv2_fLi8ELb1ELb0ELb0EEEvPT_PKS2_PfPimiiiif
	.globl	_ZN5aiter19grouped_topk_kernelIfDv2_fLi8ELb1ELb0ELb0EEEvPT_PKS2_PfPimiiiif
	.p2align	8
	.type	_ZN5aiter19grouped_topk_kernelIfDv2_fLi8ELb1ELb0ELb0EEEvPT_PKS2_PfPimiiiif,@function
_ZN5aiter19grouped_topk_kernelIfDv2_fLi8ELb1ELb0ELb0EEEvPT_PKS2_PfPimiiiif: ; @_ZN5aiter19grouped_topk_kernelIfDv2_fLi8ELb1ELb0ELb0EEEvPT_PKS2_PfPimiiiif
; %bb.0:
	s_load_dwordx4 s[8:11], s[4:5], 0x28
	s_load_dwordx4 s[12:15], s[4:5], 0x10
	s_waitcnt lgkmcnt(0)
	s_lshr_b32 s0, s8, 31
	s_add_i32 s0, s8, s0
	s_ashr_i32 s7, s0, 1
	v_cmp_gt_i32_e64 s[0:1], s7, v0
	s_and_saveexec_b64 s[16:17], s[0:1]
	s_cbranch_execz .LBB106_3
; %bb.1:
	s_load_dword s11, s[4:5], 0x4c
	s_load_dwordx2 s[2:3], s[4:5], 0x0
	s_mul_i32 s18, s6, s8
	s_ashr_i32 s19, s18, 31
	s_lshl_b64 s[18:19], s[18:19], 2
	s_waitcnt lgkmcnt(0)
	s_and_b32 s11, s11, 0xffff
	s_add_u32 s2, s2, s18
	v_lshlrev_b32_e32 v1, 3, v0
	s_addc_u32 s3, s3, s19
	s_mov_b32 s24, 0
	v_mov_b32_e32 v3, s3
	v_add_co_u32_e32 v2, vcc, s2, v1
	v_addc_co_u32_e32 v3, vcc, 0, v3, vcc
	s_lshl_b32 s20, s11, 3
	v_add_u32_e32 v1, 0, v1
	s_mov_b64 s[18:19], 0
	s_mov_b32 s21, 0xbfb8aa3b
	s_mov_b32 s22, 0x42ce8ed0
	;; [unrolled: 1-line block ×3, first 2 shown]
	v_mov_b32_e32 v4, 0x7f800000
	v_mov_b32_e32 v5, s24
	;; [unrolled: 1-line block ×3, first 2 shown]
.LBB106_2:                              ; =>This Inner Loop Header: Depth=1
	global_load_dwordx2 v[8:9], v[2:3], off
	v_add_co_u32_e32 v2, vcc, s20, v2
	v_add_u32_e32 v6, s11, v6
	v_addc_co_u32_e32 v3, vcc, v3, v5, vcc
	v_cmp_le_i32_e32 vcc, s7, v6
	s_or_b64 s[18:19], vcc, s[18:19]
	s_waitcnt vmcnt(0)
	v_mul_f32_e32 v7, 0xbfb8aa3b, v9
	v_mul_f32_e32 v10, 0xbfb8aa3b, v8
	v_rndne_f32_e32 v11, v7
	v_fma_f32 v12, v9, s21, -v7
	v_rndne_f32_e32 v13, v10
	v_fma_f32 v14, v8, s21, -v10
	v_sub_f32_e32 v7, v7, v11
	v_fmac_f32_e32 v12, 0xb2a5705f, v9
	v_sub_f32_e32 v10, v10, v13
	v_fmac_f32_e32 v14, 0xb2a5705f, v8
	v_add_f32_e32 v7, v7, v12
	v_add_f32_e32 v10, v10, v14
	v_cvt_i32_f32_e32 v11, v11
	v_cvt_i32_f32_e32 v13, v13
	v_exp_f32_e32 v7, v7
	v_exp_f32_e32 v10, v10
	v_cmp_nlt_f32_e32 vcc, s22, v8
	v_cmp_nlt_f32_e64 s[2:3], s22, v9
	v_ldexp_f32 v7, v7, v11
	v_ldexp_f32 v10, v10, v13
	v_cndmask_b32_e64 v7, 0, v7, s[2:3]
	v_cndmask_b32_e32 v10, 0, v10, vcc
	v_cmp_ngt_f32_e32 vcc, s23, v8
	v_cmp_ngt_f32_e64 s[2:3], s23, v9
	v_cndmask_b32_e64 v9, v4, v7, s[2:3]
	v_cndmask_b32_e32 v8, v4, v10, vcc
	v_pk_add_f32 v[8:9], v[8:9], 1.0 op_sel_hi:[1,0]
	v_div_scale_f32 v7, s[2:3], v9, v9, 1.0
	v_div_scale_f32 v11, s[2:3], v8, v8, 1.0
	v_rcp_f32_e32 v13, v7
	v_rcp_f32_e32 v14, v11
	v_div_scale_f32 v10, vcc, 1.0, v9, 1.0
	v_fma_f32 v15, -v7, v13, 1.0
	v_fma_f32 v16, -v11, v14, 1.0
	v_fmac_f32_e32 v13, v15, v13
	v_div_scale_f32 v12, s[2:3], 1.0, v8, 1.0
	v_fmac_f32_e32 v14, v16, v14
	v_mul_f32_e32 v15, v10, v13
	v_mul_f32_e32 v16, v12, v14
	v_fma_f32 v17, -v7, v15, v10
	v_fma_f32 v18, -v11, v16, v12
	v_fmac_f32_e32 v15, v17, v13
	v_fmac_f32_e32 v16, v18, v14
	v_fma_f32 v7, -v7, v15, v10
	v_fma_f32 v10, -v11, v16, v12
	v_div_fmas_f32 v7, v7, v13, v15
	s_mov_b64 vcc, s[2:3]
	v_div_fixup_f32 v9, v7, v9, 1.0
	v_div_fmas_f32 v7, v10, v14, v16
	v_div_fixup_f32 v8, v7, v8, 1.0
	ds_write_b64 v1, v[8:9]
	v_add_u32_e32 v1, s20, v1
	s_andn2_b64 exec, exec, s[18:19]
	s_cbranch_execnz .LBB106_2
.LBB106_3:
	s_or_b64 exec, exec, s[16:17]
	s_ashr_i32 s2, s8, 31
	s_lshr_b32 s2, s2, 29
	s_add_i32 s2, s8, s2
	s_ashr_i32 s11, s2, 3
	s_lshl_b32 s2, s8, 2
	s_add_i32 s22, s2, 0
	v_cmp_gt_u32_e32 vcc, 8, v0
	s_waitcnt lgkmcnt(0)
	s_barrier
	s_and_saveexec_b64 s[16:17], vcc
	s_cbranch_execz .LBB106_10
; %bb.4:
	s_load_dword s2, s[4:5], 0x4c
	v_mul_lo_u32 v1, v0, s11
	v_lshl_add_u32 v1, v1, 2, 0
	s_mov_b64 s[18:19], 0
	s_waitcnt lgkmcnt(0)
	s_and_b32 s23, s2, 0xffff
	s_cmp_gt_i32 s8, 7
	s_cselect_b64 s[2:3], -1, 0
	s_mul_i32 s8, s11, s23
	v_cndmask_b32_e64 v2, 0, 1, s[2:3]
	s_lshl_b32 s8, s8, 2
	v_cmp_ne_u32_e64 s[2:3], 1, v2
	v_mov_b32_e32 v2, v0
	s_branch .LBB106_6
.LBB106_5:                              ;   in Loop: Header=BB106_6 Depth=1
	v_lshl_add_u32 v4, v2, 2, s22
	v_add_u32_e32 v2, s23, v2
	v_cmp_lt_u32_e32 vcc, 7, v2
	s_or_b64 s[18:19], vcc, s[18:19]
	v_add_u32_e32 v1, s8, v1
	ds_write_b32 v4, v3
	s_andn2_b64 exec, exec, s[18:19]
	s_cbranch_execz .LBB106_10
.LBB106_6:                              ; =>This Loop Header: Depth=1
                                        ;     Child Loop BB106_8 Depth 2
	s_and_b64 vcc, exec, s[2:3]
	v_mov_b32_e32 v3, 0xff800000
	s_cbranch_vccnz .LBB106_5
; %bb.7:                                ;   in Loop: Header=BB106_6 Depth=1
	v_mul_lo_u32 v4, v2, s11
	v_add_u32_e32 v5, s11, v4
	s_mov_b64 s[20:21], 0
	v_mov_b32_e32 v3, 0xff800000
	v_mov_b32_e32 v6, v1
.LBB106_8:                              ;   Parent Loop BB106_6 Depth=1
                                        ; =>  This Inner Loop Header: Depth=2
	ds_read_b32 v7, v6
	v_add_u32_e32 v4, 1, v4
	v_cmp_ge_i32_e32 vcc, v4, v5
	s_or_b64 s[20:21], vcc, s[20:21]
	v_add_u32_e32 v6, 4, v6
	s_waitcnt lgkmcnt(0)
	v_cmp_gt_f32_e32 vcc, v7, v3
	v_cndmask_b32_e32 v3, v3, v7, vcc
	s_andn2_b64 exec, exec, s[20:21]
	s_cbranch_execnz .LBB106_8
; %bb.9:                                ;   in Loop: Header=BB106_6 Depth=1
	s_or_b64 exec, exec, s[20:21]
	s_branch .LBB106_5
.LBB106_10:
	s_or_b64 exec, exec, s[16:17]
	s_cmp_lt_i32 s10, 1
	s_waitcnt lgkmcnt(0)
	s_barrier
	s_cbranch_scc1 .LBB106_13
; %bb.11:
	v_mov_b32_e32 v1, s22
	s_mov_b32 s2, 0xff800000
	v_mov_b32_e32 v2, 0xff800000
.LBB106_12:                             ; =>This Inner Loop Header: Depth=1
	ds_read2_b32 v[4:5], v1 offset1:1
	ds_read2_b32 v[6:7], v1 offset0:2 offset1:3
	ds_read2_b32 v[8:9], v1 offset0:4 offset1:5
	;; [unrolled: 1-line block ×3, first 2 shown]
	s_waitcnt lgkmcnt(3)
	v_cmp_nlg_f32_e32 vcc, s2, v4
	v_cndmask_b32_e64 v3, 0, 1, vcc
	v_cmp_lg_f32_e32 vcc, s2, v4
	v_readfirstlane_b32 s3, v3
	v_cndmask_b32_e32 v3, v2, v4, vcc
	v_cmp_gt_f32_e32 vcc, v5, v3
	s_lshl_b32 s3, s3, 3
	v_cndmask_b32_e32 v3, v3, v5, vcc
	s_and_b64 s[16:17], vcc, exec
	s_waitcnt lgkmcnt(2)
	v_cmp_gt_f32_e32 vcc, v6, v3
	v_cndmask_b32_e32 v3, v3, v6, vcc
	s_cselect_b32 s3, 1, s3
	s_and_b64 s[16:17], vcc, exec
	v_cmp_gt_f32_e32 vcc, v7, v3
	v_cndmask_b32_e32 v3, v3, v7, vcc
	s_cselect_b32 s3, 2, s3
	s_and_b64 s[16:17], vcc, exec
	s_waitcnt lgkmcnt(1)
	v_cmp_gt_f32_e32 vcc, v8, v3
	v_cndmask_b32_e32 v3, v3, v8, vcc
	s_cselect_b32 s3, 3, s3
	s_and_b64 s[16:17], vcc, exec
	v_cmp_gt_f32_e32 vcc, v9, v3
	v_cndmask_b32_e32 v3, v3, v9, vcc
	s_cselect_b32 s3, 4, s3
	s_and_b64 s[16:17], vcc, exec
	s_waitcnt lgkmcnt(0)
	v_cmp_gt_f32_e32 vcc, v10, v3
	v_cndmask_b32_e32 v3, v3, v10, vcc
	s_cselect_b32 s3, 5, s3
	s_and_b64 s[16:17], vcc, exec
	v_cmp_ngt_f32_e32 vcc, v11, v3
	s_cselect_b32 s3, 6, s3
	s_and_b64 s[16:17], vcc, exec
	s_cselect_b32 s3, s3, 7
	s_lshl_b32 s3, s3, 2
	s_add_i32 s3, s22, s3
	s_add_i32 s10, s10, -1
	v_mov_b32_e32 v3, s3
	s_cmp_lg_u32 s10, 0
	ds_write_b32 v3, v2
	s_cbranch_scc1 .LBB106_12
.LBB106_13:
	v_lshlrev_b32_e32 v4, 1, v0
	v_lshl_add_u32 v5, v0, 3, 0
	s_and_saveexec_b64 s[2:3], s[0:1]
	s_cbranch_execz .LBB106_18
; %bb.14:
	s_abs_i32 s8, s11
	v_cvt_f32_u32_e32 v2, s8
	s_load_dword s16, s[4:5], 0x4c
	s_sub_i32 s17, 0, s8
	s_ashr_i32 s18, s11, 31
	v_rcp_iflag_f32_e32 v2, v2
	v_lshlrev_b32_e32 v1, 1, v0
	s_waitcnt lgkmcnt(0)
	s_and_b32 s19, s16, 0xffff
	v_lshl_add_u32 v6, v0, 3, 0
	v_mul_f32_e32 v2, 0x4f7ffffe, v2
	v_cvt_u32_f32_e32 v2, v2
	s_mov_b64 s[10:11], 0
	s_lshl_b32 s20, s19, 1
	s_lshl_b32 s21, s19, 3
	v_mul_lo_u32 v3, s17, v2
	v_mul_hi_u32 v3, v2, v3
	v_add_u32_e32 v7, v2, v3
	s_mov_b32 s23, 0xff800000
	v_mov_b32_e32 v2, 0xff800000
	v_mov_b32_e32 v8, v0
	s_branch .LBB106_16
.LBB106_15:                             ;   in Loop: Header=BB106_16 Depth=1
	s_or_b64 exec, exec, s[16:17]
	v_add_u32_e32 v8, s19, v8
	v_cmp_le_i32_e32 vcc, s7, v8
	v_add_u32_e32 v1, s20, v1
	s_or_b64 s[10:11], vcc, s[10:11]
	v_add_u32_e32 v6, s21, v6
	s_andn2_b64 exec, exec, s[10:11]
	s_cbranch_execz .LBB106_18
.LBB106_16:                             ; =>This Inner Loop Header: Depth=1
	v_mul_hi_u32 v3, v1, v7
	v_mul_lo_u32 v9, v3, s8
	v_sub_u32_e32 v9, v1, v9
	v_add_u32_e32 v10, 1, v3
	v_cmp_le_u32_e32 vcc, s8, v9
	v_cndmask_b32_e32 v3, v3, v10, vcc
	v_subrev_u32_e32 v10, s8, v9
	v_cndmask_b32_e32 v9, v9, v10, vcc
	v_add_u32_e32 v10, 1, v3
	v_cmp_le_u32_e32 vcc, s8, v9
	v_cndmask_b32_e32 v3, v3, v10, vcc
	v_xor_b32_e32 v3, s18, v3
	v_subrev_u32_e32 v3, s18, v3
	v_lshl_add_u32 v3, v3, 2, s22
	ds_read_b32 v3, v3
	s_waitcnt lgkmcnt(0)
	v_cmp_neq_f32_e32 vcc, s23, v3
	s_and_saveexec_b64 s[16:17], vcc
	s_cbranch_execz .LBB106_15
; %bb.17:                               ;   in Loop: Header=BB106_16 Depth=1
	v_mov_b32_e32 v3, v2
	ds_write_b64 v6, v[2:3]
	s_branch .LBB106_15
.LBB106_18:
	s_or_b64 exec, exec, s[2:3]
	s_cmp_lt_i32 s9, 1
	s_waitcnt lgkmcnt(0)
	s_barrier
	s_cbranch_scc1 .LBB106_25
; %bb.19:
	s_add_u32 s2, s4, 64
	s_addc_u32 s3, s5, 0
	s_mov_b32 s8, 0
	v_mov_b32_e32 v2, 0
	v_mov_b32_e32 v6, 0xff800000
                                        ; implicit-def: $vgpr3
                                        ; implicit-def: $vgpr1
	s_branch .LBB106_21
.LBB106_20:                             ;   in Loop: Header=BB106_21 Depth=1
	s_or_b64 exec, exec, s[10:11]
	v_mov_b32_dpp v10, v8 quad_perm:[1,0,3,2] row_mask:0xf bank_mask:0xf
	v_cmp_lt_f32_e32 vcc, v8, v10
	v_cndmask_b32_e32 v8, v8, v10, vcc
	v_mov_b32_dpp v9, v7 quad_perm:[1,0,3,2] row_mask:0xf bank_mask:0xf
	v_cndmask_b32_e32 v7, v7, v9, vcc
	v_mov_b32_dpp v10, v8 quad_perm:[2,3,0,1] row_mask:0xf bank_mask:0xf
	v_cmp_gt_f32_e32 vcc, v10, v8
	v_cndmask_b32_e32 v8, v8, v10, vcc
	v_mov_b32_dpp v9, v7 quad_perm:[2,3,0,1] row_mask:0xf bank_mask:0xf
	v_cndmask_b32_e32 v7, v7, v9, vcc
	v_mov_b32_dpp v10, v8 row_half_mirror row_mask:0xf bank_mask:0xf
	v_cmp_gt_f32_e32 vcc, v10, v8
	v_cndmask_b32_e32 v8, v8, v10, vcc
	v_mov_b32_dpp v9, v7 row_half_mirror row_mask:0xf bank_mask:0xf
	v_cndmask_b32_e32 v7, v7, v9, vcc
	v_mov_b32_dpp v10, v8 row_mirror row_mask:0xf bank_mask:0xf
	v_cmp_gt_f32_e32 vcc, v10, v8
	v_cndmask_b32_e32 v8, v8, v10, vcc
	v_mov_b32_dpp v9, v7 row_mirror row_mask:0xf bank_mask:0xf
	v_cndmask_b32_e32 v7, v7, v9, vcc
	v_mov_b32_dpp v10, v8 row_bcast:15 row_mask:0xf bank_mask:0xf
	v_cmp_gt_f32_e32 vcc, v10, v8
	v_mov_b32_dpp v9, v7 row_bcast:15 row_mask:0xf bank_mask:0xf
	v_cndmask_b32_e32 v8, v8, v10, vcc
	v_cndmask_b32_e32 v7, v7, v9, vcc
	s_nop 0
	v_mov_b32_dpp v10, v8 row_bcast:31 row_mask:0xf bank_mask:0xf
	v_mov_b32_dpp v9, v7 row_bcast:31 row_mask:0xf bank_mask:0xf
	v_cmp_gt_f32_e32 vcc, v10, v8
	v_cndmask_b32_e32 v7, v7, v9, vcc
	v_readlane_b32 s11, v7, 63
	s_lshl_b32 s16, s11, 2
	s_add_i32 s16, s16, 0
	v_cndmask_b32_e32 v8, v8, v10, vcc
	v_mov_b32_e32 v7, s16
	v_readlane_b32 s10, v8, 63
	ds_write_b32 v7, v6
	v_mov_b32_e32 v7, s11
	v_cmp_eq_u32_e32 vcc, s8, v0
	v_cndmask_b32_e32 v1, v1, v7, vcc
	v_mov_b32_e32 v7, s10
	s_add_i32 s8, s8, 1
	v_cndmask_b32_e32 v3, v3, v7, vcc
	s_cmp_eq_u32 s8, s9
	v_add_f32_e32 v2, s10, v2
	s_cbranch_scc1 .LBB106_26
.LBB106_21:                             ; =>This Loop Header: Depth=1
                                        ;     Child Loop BB106_23 Depth 2
	v_mov_b32_e32 v7, s8
	v_mov_b32_e32 v8, 0xff800000
	s_and_saveexec_b64 s[10:11], s[0:1]
	s_cbranch_execz .LBB106_20
; %bb.22:                               ;   in Loop: Header=BB106_21 Depth=1
	s_load_dword s18, s[2:3], 0xc
	s_mov_b64 s[16:17], 0
	v_mov_b32_e32 v7, s8
	v_mov_b32_e32 v8, 0xff800000
	;; [unrolled: 1-line block ×3, first 2 shown]
	s_waitcnt lgkmcnt(0)
	s_and_b32 s18, s18, 0xffff
	s_lshl_b32 s19, s18, 1
	s_lshl_b32 s20, s18, 3
	v_mov_b32_e32 v10, v4
	v_mov_b32_e32 v11, v0
.LBB106_23:                             ;   Parent Loop BB106_21 Depth=1
                                        ; =>  This Inner Loop Header: Depth=2
	ds_read_b64 v[12:13], v9
	v_add_u32_e32 v11, s18, v11
	v_cmp_le_i32_e32 vcc, s7, v11
	s_or_b64 s[16:17], vcc, s[16:17]
	v_add_u32_e32 v14, 1, v10
	s_waitcnt lgkmcnt(0)
	v_cmp_gt_f32_e32 vcc, v12, v8
	v_cndmask_b32_e32 v8, v8, v12, vcc
	v_cndmask_b32_e32 v7, v7, v10, vcc
	v_cmp_gt_f32_e32 vcc, v13, v8
	v_add_u32_e32 v9, s20, v9
	v_cndmask_b32_e32 v8, v8, v13, vcc
	v_add_u32_e32 v10, s19, v10
	v_cndmask_b32_e32 v7, v7, v14, vcc
	s_andn2_b64 exec, exec, s[16:17]
	s_cbranch_execnz .LBB106_23
; %bb.24:                               ;   in Loop: Header=BB106_21 Depth=1
	s_or_b64 exec, exec, s[16:17]
	s_branch .LBB106_20
.LBB106_25:
	v_mov_b32_e32 v2, 0
                                        ; implicit-def: $vgpr3
                                        ; implicit-def: $vgpr1
.LBB106_26:
	v_cmp_gt_i32_e32 vcc, s9, v0
	s_and_saveexec_b64 s[0:1], vcc
	s_cbranch_execz .LBB106_29
; %bb.27:
	s_load_dword s7, s[4:5], 0x38
	s_load_dwordx2 s[0:1], s[4:5], 0x20
	s_load_dword s8, s[4:5], 0x4c
	s_waitcnt lgkmcnt(0)
	v_div_scale_f32 v4, s[2:3], v2, v2, s7
	v_rcp_f32_e32 v5, v4
	v_div_scale_f32 v6, vcc, s7, v2, s7
	s_ashr_i32 s2, s6, 31
	v_fma_f32 v7, -v4, v5, 1.0
	v_fmac_f32_e32 v5, v7, v5
	v_mul_f32_e32 v7, v6, v5
	v_fma_f32 v8, -v4, v7, v6
	v_fmac_f32_e32 v7, v8, v5
	v_fma_f32 v4, -v4, v7, v6
	s_mul_i32 s1, s6, s1
	s_mul_hi_u32 s3, s6, s0
	v_div_fmas_f32 v4, v4, v5, v7
	s_add_i32 s1, s3, s1
	s_mul_i32 s2, s2, s0
	v_div_fixup_f32 v2, v4, v2, s7
	s_add_i32 s4, s1, s2
	v_mul_f32_e32 v2, v2, v3
	s_mul_i32 s2, s6, s0
	s_and_b32 s3, s8, 0xffff
	s_mov_b64 s[0:1], 0
	v_mov_b32_e32 v3, s4
	v_mov_b32_e32 v4, s13
	;; [unrolled: 1-line block ×3, first 2 shown]
.LBB106_28:                             ; =>This Inner Loop Header: Depth=1
	v_ashrrev_i32_e32 v7, 31, v0
	v_add_co_u32_e32 v6, vcc, s2, v0
	v_addc_co_u32_e32 v7, vcc, v3, v7, vcc
	v_add_u32_e32 v0, s3, v0
	v_cmp_le_i32_e32 vcc, s9, v0
	v_lshlrev_b64 v[6:7], 2, v[6:7]
	s_or_b64 s[0:1], vcc, s[0:1]
	v_add_co_u32_e32 v8, vcc, s12, v6
	v_addc_co_u32_e32 v9, vcc, v4, v7, vcc
	v_add_co_u32_e32 v6, vcc, s14, v6
	v_addc_co_u32_e32 v7, vcc, v5, v7, vcc
	global_store_dword v[8:9], v2, off
	global_store_dword v[6:7], v1, off
	s_andn2_b64 exec, exec, s[0:1]
	s_cbranch_execnz .LBB106_28
.LBB106_29:
	s_endpgm
	.section	.rodata,"a",@progbits
	.p2align	6, 0x0
	.amdhsa_kernel _ZN5aiter19grouped_topk_kernelIfDv2_fLi8ELb1ELb0ELb0EEEvPT_PKS2_PfPimiiiif
		.amdhsa_group_segment_fixed_size 0
		.amdhsa_private_segment_fixed_size 0
		.amdhsa_kernarg_size 320
		.amdhsa_user_sgpr_count 6
		.amdhsa_user_sgpr_private_segment_buffer 1
		.amdhsa_user_sgpr_dispatch_ptr 0
		.amdhsa_user_sgpr_queue_ptr 0
		.amdhsa_user_sgpr_kernarg_segment_ptr 1
		.amdhsa_user_sgpr_dispatch_id 0
		.amdhsa_user_sgpr_flat_scratch_init 0
		.amdhsa_user_sgpr_kernarg_preload_length 0
		.amdhsa_user_sgpr_kernarg_preload_offset 0
		.amdhsa_user_sgpr_private_segment_size 0
		.amdhsa_uses_dynamic_stack 0
		.amdhsa_system_sgpr_private_segment_wavefront_offset 0
		.amdhsa_system_sgpr_workgroup_id_x 1
		.amdhsa_system_sgpr_workgroup_id_y 0
		.amdhsa_system_sgpr_workgroup_id_z 0
		.amdhsa_system_sgpr_workgroup_info 0
		.amdhsa_system_vgpr_workitem_id 0
		.amdhsa_next_free_vgpr 19
		.amdhsa_next_free_sgpr 25
		.amdhsa_accum_offset 20
		.amdhsa_reserve_vcc 1
		.amdhsa_reserve_flat_scratch 0
		.amdhsa_float_round_mode_32 0
		.amdhsa_float_round_mode_16_64 0
		.amdhsa_float_denorm_mode_32 3
		.amdhsa_float_denorm_mode_16_64 3
		.amdhsa_dx10_clamp 1
		.amdhsa_ieee_mode 1
		.amdhsa_fp16_overflow 0
		.amdhsa_tg_split 0
		.amdhsa_exception_fp_ieee_invalid_op 0
		.amdhsa_exception_fp_denorm_src 0
		.amdhsa_exception_fp_ieee_div_zero 0
		.amdhsa_exception_fp_ieee_overflow 0
		.amdhsa_exception_fp_ieee_underflow 0
		.amdhsa_exception_fp_ieee_inexact 0
		.amdhsa_exception_int_div_zero 0
	.end_amdhsa_kernel
	.section	.text._ZN5aiter19grouped_topk_kernelIfDv2_fLi8ELb1ELb0ELb0EEEvPT_PKS2_PfPimiiiif,"axG",@progbits,_ZN5aiter19grouped_topk_kernelIfDv2_fLi8ELb1ELb0ELb0EEEvPT_PKS2_PfPimiiiif,comdat
.Lfunc_end106:
	.size	_ZN5aiter19grouped_topk_kernelIfDv2_fLi8ELb1ELb0ELb0EEEvPT_PKS2_PfPimiiiif, .Lfunc_end106-_ZN5aiter19grouped_topk_kernelIfDv2_fLi8ELb1ELb0ELb0EEEvPT_PKS2_PfPimiiiif
                                        ; -- End function
	.section	.AMDGPU.csdata,"",@progbits
; Kernel info:
; codeLenInByte = 2024
; NumSgprs: 29
; NumVgprs: 19
; NumAgprs: 0
; TotalNumVgprs: 19
; ScratchSize: 0
; MemoryBound: 0
; FloatMode: 240
; IeeeMode: 1
; LDSByteSize: 0 bytes/workgroup (compile time only)
; SGPRBlocks: 3
; VGPRBlocks: 2
; NumSGPRsForWavesPerEU: 29
; NumVGPRsForWavesPerEU: 19
; AccumOffset: 20
; Occupancy: 8
; WaveLimiterHint : 0
; COMPUTE_PGM_RSRC2:SCRATCH_EN: 0
; COMPUTE_PGM_RSRC2:USER_SGPR: 6
; COMPUTE_PGM_RSRC2:TRAP_HANDLER: 0
; COMPUTE_PGM_RSRC2:TGID_X_EN: 1
; COMPUTE_PGM_RSRC2:TGID_Y_EN: 0
; COMPUTE_PGM_RSRC2:TGID_Z_EN: 0
; COMPUTE_PGM_RSRC2:TIDIG_COMP_CNT: 0
; COMPUTE_PGM_RSRC3_GFX90A:ACCUM_OFFSET: 4
; COMPUTE_PGM_RSRC3_GFX90A:TG_SPLIT: 0
	.section	.text._ZN5aiter19grouped_topk_kernelIN3c104HalfEDv2_fLi8ELb1ELb0ELb0EEEvPT_PKS4_PfPimiiiif,"axG",@progbits,_ZN5aiter19grouped_topk_kernelIN3c104HalfEDv2_fLi8ELb1ELb0ELb0EEEvPT_PKS4_PfPimiiiif,comdat
	.protected	_ZN5aiter19grouped_topk_kernelIN3c104HalfEDv2_fLi8ELb1ELb0ELb0EEEvPT_PKS4_PfPimiiiif ; -- Begin function _ZN5aiter19grouped_topk_kernelIN3c104HalfEDv2_fLi8ELb1ELb0ELb0EEEvPT_PKS4_PfPimiiiif
	.globl	_ZN5aiter19grouped_topk_kernelIN3c104HalfEDv2_fLi8ELb1ELb0ELb0EEEvPT_PKS4_PfPimiiiif
	.p2align	8
	.type	_ZN5aiter19grouped_topk_kernelIN3c104HalfEDv2_fLi8ELb1ELb0ELb0EEEvPT_PKS4_PfPimiiiif,@function
_ZN5aiter19grouped_topk_kernelIN3c104HalfEDv2_fLi8ELb1ELb0ELb0EEEvPT_PKS4_PfPimiiiif: ; @_ZN5aiter19grouped_topk_kernelIN3c104HalfEDv2_fLi8ELb1ELb0ELb0EEEvPT_PKS4_PfPimiiiif
; %bb.0:
	s_load_dwordx4 s[8:11], s[4:5], 0x28
	s_load_dwordx4 s[12:15], s[4:5], 0x10
	v_lshl_add_u32 v1, v0, 3, 0
	s_waitcnt lgkmcnt(0)
	s_lshr_b32 s0, s8, 31
	s_add_i32 s0, s8, s0
	s_ashr_i32 s7, s0, 1
	v_cmp_gt_i32_e64 s[0:1], s7, v0
	s_and_saveexec_b64 s[16:17], s[0:1]
	s_cbranch_execz .LBB107_3
; %bb.1:
	s_load_dword s11, s[4:5], 0x4c
	s_load_dwordx2 s[2:3], s[4:5], 0x0
	s_mul_i32 s18, s6, s8
	s_ashr_i32 s19, s18, 31
	s_lshl_b64 s[18:19], s[18:19], 1
	s_waitcnt lgkmcnt(0)
	s_and_b32 s11, s11, 0xffff
	s_add_u32 s2, s2, s18
	v_lshlrev_b32_e32 v2, 2, v0
	s_addc_u32 s3, s3, s19
	s_mov_b32 s26, 0
	v_mov_b32_e32 v3, s3
	v_add_co_u32_e32 v2, vcc, s2, v2
	v_addc_co_u32_e32 v3, vcc, 0, v3, vcc
	s_lshl_b32 s20, s11, 2
	v_lshl_add_u32 v4, v0, 3, 0
	s_lshl_b32 s21, s11, 3
	s_mov_b64 s[18:19], 0
	s_mov_b32 s22, 0x3fb8aa3b
	s_mov_b32 s23, 0x32a5705f
	;; [unrolled: 1-line block ×4, first 2 shown]
	v_mov_b32_e32 v5, 0x7f800000
	v_mov_b32_e32 v6, s26
	;; [unrolled: 1-line block ×3, first 2 shown]
.LBB107_2:                              ; =>This Inner Loop Header: Depth=1
	global_load_dword v8, v[2:3], off
	v_add_co_u32_e32 v2, vcc, s20, v2
	v_add_u32_e32 v7, s11, v7
	v_addc_co_u32_e32 v3, vcc, v3, v6, vcc
	v_cmp_le_i32_e32 vcc, s7, v7
	s_or_b64 s[18:19], vcc, s[18:19]
	s_waitcnt vmcnt(0)
	v_cvt_f32_f16_e64 v9, -v8
	v_cvt_f32_f16_sdwa v10, -v8 dst_sel:DWORD dst_unused:UNUSED_PAD src0_sel:WORD_1
	v_mul_f32_e32 v11, 0x3fb8aa3b, v9
	v_mul_f32_e32 v12, 0x3fb8aa3b, v10
	v_rndne_f32_e32 v13, v11
	v_fma_mix_f32 v14, -v8, s22, -v11 op_sel_hi:[1,0,0]
	v_rndne_f32_e32 v15, v12
	v_fma_mix_f32 v16, -v8, s22, -v12 op_sel:[1,0,0] op_sel_hi:[1,0,0]
	v_sub_f32_e32 v11, v11, v13
	v_fma_mix_f32 v14, -v8, s23, v14 op_sel_hi:[1,0,0]
	v_sub_f32_e32 v12, v12, v15
	v_fma_mix_f32 v8, -v8, s23, v16 op_sel:[1,0,0] op_sel_hi:[1,0,0]
	v_add_f32_e32 v11, v11, v14
	v_add_f32_e32 v8, v12, v8
	v_cvt_i32_f32_e32 v13, v13
	v_cvt_i32_f32_e32 v15, v15
	v_exp_f32_e32 v11, v11
	v_exp_f32_e32 v8, v8
	v_cmp_ngt_f32_e32 vcc, s24, v10
	v_cmp_ngt_f32_e64 s[2:3], s24, v9
	v_ldexp_f32 v11, v11, v13
	v_ldexp_f32 v8, v8, v15
	v_cndmask_b32_e64 v11, 0, v11, s[2:3]
	v_cndmask_b32_e32 v12, 0, v8, vcc
	v_cmp_nlt_f32_e32 vcc, s25, v10
	v_cmp_nlt_f32_e64 s[2:3], s25, v9
	v_cndmask_b32_e64 v8, v5, v11, s[2:3]
	v_cndmask_b32_e32 v9, v5, v12, vcc
	v_pk_add_f32 v[8:9], v[8:9], 1.0 op_sel_hi:[1,0]
	v_div_scale_f32 v10, s[2:3], v9, v9, 1.0
	v_div_scale_f32 v12, s[2:3], v8, v8, 1.0
	v_rcp_f32_e32 v14, v10
	v_rcp_f32_e32 v15, v12
	v_div_scale_f32 v11, vcc, 1.0, v9, 1.0
	v_fma_f32 v16, -v10, v14, 1.0
	v_fma_f32 v17, -v12, v15, 1.0
	v_fmac_f32_e32 v14, v16, v14
	v_div_scale_f32 v13, s[2:3], 1.0, v8, 1.0
	v_fmac_f32_e32 v15, v17, v15
	v_mul_f32_e32 v16, v11, v14
	v_mul_f32_e32 v17, v13, v15
	v_fma_f32 v18, -v10, v16, v11
	v_fma_f32 v19, -v12, v17, v13
	v_fmac_f32_e32 v16, v18, v14
	v_fmac_f32_e32 v17, v19, v15
	v_fma_f32 v10, -v10, v16, v11
	v_fma_f32 v11, -v12, v17, v13
	v_div_fmas_f32 v10, v10, v14, v16
	s_mov_b64 vcc, s[2:3]
	v_div_fixup_f32 v9, v10, v9, 1.0
	v_div_fmas_f32 v10, v11, v15, v17
	v_div_fixup_f32 v8, v10, v8, 1.0
	ds_write_b64 v4, v[8:9]
	v_add_u32_e32 v4, s21, v4
	s_andn2_b64 exec, exec, s[18:19]
	s_cbranch_execnz .LBB107_2
.LBB107_3:
	s_or_b64 exec, exec, s[16:17]
	s_ashr_i32 s2, s8, 31
	s_lshr_b32 s2, s2, 29
	s_add_i32 s2, s8, s2
	s_ashr_i32 s11, s2, 3
	s_lshl_b32 s2, s8, 2
	s_add_i32 s22, s2, 0
	v_cmp_gt_u32_e32 vcc, 8, v0
	s_waitcnt lgkmcnt(0)
	s_barrier
	s_and_saveexec_b64 s[16:17], vcc
	s_cbranch_execz .LBB107_10
; %bb.4:
	s_load_dword s2, s[4:5], 0x4c
	v_mul_lo_u32 v2, v0, s11
	v_lshl_add_u32 v2, v2, 2, 0
	s_mov_b64 s[18:19], 0
	s_waitcnt lgkmcnt(0)
	s_and_b32 s23, s2, 0xffff
	s_cmp_gt_i32 s8, 7
	s_cselect_b64 s[2:3], -1, 0
	s_mul_i32 s8, s11, s23
	v_cndmask_b32_e64 v3, 0, 1, s[2:3]
	s_lshl_b32 s8, s8, 2
	v_cmp_ne_u32_e64 s[2:3], 1, v3
	v_mov_b32_e32 v3, v0
	s_branch .LBB107_6
.LBB107_5:                              ;   in Loop: Header=BB107_6 Depth=1
	v_lshl_add_u32 v5, v3, 2, s22
	v_add_u32_e32 v3, s23, v3
	v_cmp_lt_u32_e32 vcc, 7, v3
	s_or_b64 s[18:19], vcc, s[18:19]
	v_add_u32_e32 v2, s8, v2
	ds_write_b32 v5, v4
	s_andn2_b64 exec, exec, s[18:19]
	s_cbranch_execz .LBB107_10
.LBB107_6:                              ; =>This Loop Header: Depth=1
                                        ;     Child Loop BB107_8 Depth 2
	s_and_b64 vcc, exec, s[2:3]
	v_mov_b32_e32 v4, 0xff800000
	s_cbranch_vccnz .LBB107_5
; %bb.7:                                ;   in Loop: Header=BB107_6 Depth=1
	v_mul_lo_u32 v5, v3, s11
	v_add_u32_e32 v6, s11, v5
	s_mov_b64 s[20:21], 0
	v_mov_b32_e32 v4, 0xff800000
	v_mov_b32_e32 v7, v2
.LBB107_8:                              ;   Parent Loop BB107_6 Depth=1
                                        ; =>  This Inner Loop Header: Depth=2
	ds_read_b32 v8, v7
	v_add_u32_e32 v5, 1, v5
	v_cmp_ge_i32_e32 vcc, v5, v6
	s_or_b64 s[20:21], vcc, s[20:21]
	v_add_u32_e32 v7, 4, v7
	s_waitcnt lgkmcnt(0)
	v_cmp_gt_f32_e32 vcc, v8, v4
	v_cndmask_b32_e32 v4, v4, v8, vcc
	s_andn2_b64 exec, exec, s[20:21]
	s_cbranch_execnz .LBB107_8
; %bb.9:                                ;   in Loop: Header=BB107_6 Depth=1
	s_or_b64 exec, exec, s[20:21]
	s_branch .LBB107_5
.LBB107_10:
	s_or_b64 exec, exec, s[16:17]
	s_cmp_lt_i32 s10, 1
	s_waitcnt lgkmcnt(0)
	s_barrier
	s_cbranch_scc1 .LBB107_13
; %bb.11:
	v_mov_b32_e32 v2, s22
	s_mov_b32 s2, 0xff800000
	v_mov_b32_e32 v3, 0xff800000
.LBB107_12:                             ; =>This Inner Loop Header: Depth=1
	ds_read2_b32 v[4:5], v2 offset1:1
	ds_read2_b32 v[6:7], v2 offset0:2 offset1:3
	ds_read2_b32 v[8:9], v2 offset0:4 offset1:5
	;; [unrolled: 1-line block ×3, first 2 shown]
	s_waitcnt lgkmcnt(3)
	v_cmp_nlg_f32_e32 vcc, s2, v4
	v_cndmask_b32_e64 v12, 0, 1, vcc
	v_cmp_lg_f32_e32 vcc, s2, v4
	v_cndmask_b32_e32 v4, v3, v4, vcc
	v_readfirstlane_b32 s3, v12
	v_cmp_gt_f32_e32 vcc, v5, v4
	s_lshl_b32 s3, s3, 3
	v_cndmask_b32_e32 v4, v4, v5, vcc
	s_and_b64 s[16:17], vcc, exec
	s_waitcnt lgkmcnt(2)
	v_cmp_gt_f32_e32 vcc, v6, v4
	v_cndmask_b32_e32 v4, v4, v6, vcc
	s_cselect_b32 s3, 1, s3
	s_and_b64 s[16:17], vcc, exec
	v_cmp_gt_f32_e32 vcc, v7, v4
	v_cndmask_b32_e32 v4, v4, v7, vcc
	s_cselect_b32 s3, 2, s3
	s_and_b64 s[16:17], vcc, exec
	s_waitcnt lgkmcnt(1)
	v_cmp_gt_f32_e32 vcc, v8, v4
	v_cndmask_b32_e32 v4, v4, v8, vcc
	s_cselect_b32 s3, 3, s3
	s_and_b64 s[16:17], vcc, exec
	v_cmp_gt_f32_e32 vcc, v9, v4
	v_cndmask_b32_e32 v4, v4, v9, vcc
	s_cselect_b32 s3, 4, s3
	s_and_b64 s[16:17], vcc, exec
	s_waitcnt lgkmcnt(0)
	v_cmp_gt_f32_e32 vcc, v10, v4
	v_cndmask_b32_e32 v4, v4, v10, vcc
	s_cselect_b32 s3, 5, s3
	s_and_b64 s[16:17], vcc, exec
	v_cmp_ngt_f32_e32 vcc, v11, v4
	s_cselect_b32 s3, 6, s3
	s_and_b64 s[16:17], vcc, exec
	s_cselect_b32 s3, s3, 7
	s_lshl_b32 s3, s3, 2
	s_add_i32 s3, s22, s3
	s_add_i32 s10, s10, -1
	v_mov_b32_e32 v4, s3
	s_cmp_lg_u32 s10, 0
	ds_write_b32 v4, v3
	s_cbranch_scc1 .LBB107_12
.LBB107_13:
	v_lshlrev_b32_e32 v4, 1, v0
	s_and_saveexec_b64 s[2:3], s[0:1]
	s_cbranch_execz .LBB107_18
; %bb.14:
	s_abs_i32 s8, s11
	v_cvt_f32_u32_e32 v2, s8
	s_load_dword s16, s[4:5], 0x4c
	s_sub_i32 s17, 0, s8
	s_ashr_i32 s18, s11, 31
	v_rcp_iflag_f32_e32 v2, v2
	v_lshlrev_b32_e32 v5, 1, v0
	s_waitcnt lgkmcnt(0)
	s_and_b32 s19, s16, 0xffff
	v_lshl_add_u32 v6, v0, 3, 0
	v_mul_f32_e32 v2, 0x4f7ffffe, v2
	v_cvt_u32_f32_e32 v2, v2
	s_mov_b64 s[10:11], 0
	s_lshl_b32 s20, s19, 1
	s_lshl_b32 s21, s19, 3
	v_mul_lo_u32 v3, s17, v2
	v_mul_hi_u32 v3, v2, v3
	v_add_u32_e32 v7, v2, v3
	s_mov_b32 s23, 0xff800000
	v_mov_b32_e32 v2, 0xff800000
	v_mov_b32_e32 v8, v0
	s_branch .LBB107_16
.LBB107_15:                             ;   in Loop: Header=BB107_16 Depth=1
	s_or_b64 exec, exec, s[16:17]
	v_add_u32_e32 v8, s19, v8
	v_cmp_le_i32_e32 vcc, s7, v8
	v_add_u32_e32 v5, s20, v5
	s_or_b64 s[10:11], vcc, s[10:11]
	v_add_u32_e32 v6, s21, v6
	s_andn2_b64 exec, exec, s[10:11]
	s_cbranch_execz .LBB107_18
.LBB107_16:                             ; =>This Inner Loop Header: Depth=1
	v_mul_hi_u32 v3, v5, v7
	v_mul_lo_u32 v9, v3, s8
	v_sub_u32_e32 v9, v5, v9
	v_add_u32_e32 v10, 1, v3
	v_cmp_le_u32_e32 vcc, s8, v9
	v_cndmask_b32_e32 v3, v3, v10, vcc
	v_subrev_u32_e32 v10, s8, v9
	v_cndmask_b32_e32 v9, v9, v10, vcc
	v_add_u32_e32 v10, 1, v3
	v_cmp_le_u32_e32 vcc, s8, v9
	v_cndmask_b32_e32 v3, v3, v10, vcc
	v_xor_b32_e32 v3, s18, v3
	v_subrev_u32_e32 v3, s18, v3
	v_lshl_add_u32 v3, v3, 2, s22
	ds_read_b32 v3, v3
	s_waitcnt lgkmcnt(0)
	v_cmp_neq_f32_e32 vcc, s23, v3
	s_and_saveexec_b64 s[16:17], vcc
	s_cbranch_execz .LBB107_15
; %bb.17:                               ;   in Loop: Header=BB107_16 Depth=1
	v_mov_b32_e32 v3, v2
	ds_write_b64 v6, v[2:3]
	s_branch .LBB107_15
.LBB107_18:
	s_or_b64 exec, exec, s[2:3]
	s_cmp_lt_i32 s9, 1
	s_waitcnt lgkmcnt(0)
	s_barrier
	s_cbranch_scc1 .LBB107_25
; %bb.19:
	s_add_u32 s2, s4, 64
	s_addc_u32 s3, s5, 0
	s_mov_b32 s8, 0
	v_mov_b32_e32 v3, 0
	v_mov_b32_e32 v6, 0xff800000
                                        ; implicit-def: $vgpr5
                                        ; implicit-def: $vgpr2
	s_branch .LBB107_21
.LBB107_20:                             ;   in Loop: Header=BB107_21 Depth=1
	s_or_b64 exec, exec, s[10:11]
	v_mov_b32_dpp v10, v8 quad_perm:[1,0,3,2] row_mask:0xf bank_mask:0xf
	v_cmp_lt_f32_e32 vcc, v8, v10
	v_cndmask_b32_e32 v8, v8, v10, vcc
	v_mov_b32_dpp v9, v7 quad_perm:[1,0,3,2] row_mask:0xf bank_mask:0xf
	v_cndmask_b32_e32 v7, v7, v9, vcc
	v_mov_b32_dpp v10, v8 quad_perm:[2,3,0,1] row_mask:0xf bank_mask:0xf
	v_cmp_gt_f32_e32 vcc, v10, v8
	v_cndmask_b32_e32 v8, v8, v10, vcc
	v_mov_b32_dpp v9, v7 quad_perm:[2,3,0,1] row_mask:0xf bank_mask:0xf
	v_cndmask_b32_e32 v7, v7, v9, vcc
	v_mov_b32_dpp v10, v8 row_half_mirror row_mask:0xf bank_mask:0xf
	v_cmp_gt_f32_e32 vcc, v10, v8
	v_cndmask_b32_e32 v8, v8, v10, vcc
	v_mov_b32_dpp v9, v7 row_half_mirror row_mask:0xf bank_mask:0xf
	v_cndmask_b32_e32 v7, v7, v9, vcc
	v_mov_b32_dpp v10, v8 row_mirror row_mask:0xf bank_mask:0xf
	v_cmp_gt_f32_e32 vcc, v10, v8
	v_cndmask_b32_e32 v8, v8, v10, vcc
	v_mov_b32_dpp v9, v7 row_mirror row_mask:0xf bank_mask:0xf
	v_cndmask_b32_e32 v7, v7, v9, vcc
	v_mov_b32_dpp v10, v8 row_bcast:15 row_mask:0xf bank_mask:0xf
	v_cmp_gt_f32_e32 vcc, v10, v8
	v_mov_b32_dpp v9, v7 row_bcast:15 row_mask:0xf bank_mask:0xf
	v_cndmask_b32_e32 v8, v8, v10, vcc
	v_cndmask_b32_e32 v7, v7, v9, vcc
	s_nop 0
	v_mov_b32_dpp v10, v8 row_bcast:31 row_mask:0xf bank_mask:0xf
	v_mov_b32_dpp v9, v7 row_bcast:31 row_mask:0xf bank_mask:0xf
	v_cmp_gt_f32_e32 vcc, v10, v8
	v_cndmask_b32_e32 v7, v7, v9, vcc
	v_readlane_b32 s11, v7, 63
	s_lshl_b32 s16, s11, 2
	s_add_i32 s16, s16, 0
	v_cndmask_b32_e32 v8, v8, v10, vcc
	v_mov_b32_e32 v7, s16
	v_readlane_b32 s10, v8, 63
	ds_write_b32 v7, v6
	v_mov_b32_e32 v7, s11
	v_cmp_eq_u32_e32 vcc, s8, v0
	v_cndmask_b32_e32 v2, v2, v7, vcc
	v_mov_b32_e32 v7, s10
	s_add_i32 s8, s8, 1
	v_cndmask_b32_e32 v5, v5, v7, vcc
	s_cmp_eq_u32 s8, s9
	v_add_f32_e32 v3, s10, v3
	s_cbranch_scc1 .LBB107_26
.LBB107_21:                             ; =>This Loop Header: Depth=1
                                        ;     Child Loop BB107_23 Depth 2
	v_mov_b32_e32 v7, s8
	v_mov_b32_e32 v8, 0xff800000
	s_and_saveexec_b64 s[10:11], s[0:1]
	s_cbranch_execz .LBB107_20
; %bb.22:                               ;   in Loop: Header=BB107_21 Depth=1
	s_load_dword s18, s[2:3], 0xc
	s_mov_b64 s[16:17], 0
	v_mov_b32_e32 v7, s8
	v_mov_b32_e32 v8, 0xff800000
	;; [unrolled: 1-line block ×3, first 2 shown]
	s_waitcnt lgkmcnt(0)
	s_and_b32 s18, s18, 0xffff
	s_lshl_b32 s19, s18, 1
	s_lshl_b32 s20, s18, 3
	v_mov_b32_e32 v10, v4
	v_mov_b32_e32 v11, v0
.LBB107_23:                             ;   Parent Loop BB107_21 Depth=1
                                        ; =>  This Inner Loop Header: Depth=2
	ds_read_b64 v[12:13], v9
	v_add_u32_e32 v11, s18, v11
	v_cmp_le_i32_e32 vcc, s7, v11
	s_or_b64 s[16:17], vcc, s[16:17]
	v_add_u32_e32 v14, 1, v10
	s_waitcnt lgkmcnt(0)
	v_cmp_gt_f32_e32 vcc, v12, v8
	v_cndmask_b32_e32 v8, v8, v12, vcc
	v_cndmask_b32_e32 v7, v7, v10, vcc
	v_cmp_gt_f32_e32 vcc, v13, v8
	v_add_u32_e32 v9, s20, v9
	v_cndmask_b32_e32 v8, v8, v13, vcc
	v_add_u32_e32 v10, s19, v10
	v_cndmask_b32_e32 v7, v7, v14, vcc
	s_andn2_b64 exec, exec, s[16:17]
	s_cbranch_execnz .LBB107_23
; %bb.24:                               ;   in Loop: Header=BB107_21 Depth=1
	s_or_b64 exec, exec, s[16:17]
	s_branch .LBB107_20
.LBB107_25:
	v_mov_b32_e32 v3, 0
                                        ; implicit-def: $vgpr5
                                        ; implicit-def: $vgpr2
.LBB107_26:
	v_cmp_gt_i32_e32 vcc, s9, v0
	s_and_saveexec_b64 s[0:1], vcc
	s_cbranch_execz .LBB107_29
; %bb.27:
	s_load_dword s7, s[4:5], 0x38
	s_load_dwordx2 s[0:1], s[4:5], 0x20
	s_load_dword s8, s[4:5], 0x4c
	s_waitcnt lgkmcnt(0)
	v_div_scale_f32 v1, s[2:3], v3, v3, s7
	v_rcp_f32_e32 v4, v1
	v_div_scale_f32 v6, vcc, s7, v3, s7
	s_ashr_i32 s2, s6, 31
	v_fma_f32 v7, -v1, v4, 1.0
	v_fmac_f32_e32 v4, v7, v4
	v_mul_f32_e32 v7, v6, v4
	v_fma_f32 v8, -v1, v7, v6
	v_fmac_f32_e32 v7, v8, v4
	v_fma_f32 v1, -v1, v7, v6
	s_mul_i32 s1, s6, s1
	s_mul_hi_u32 s3, s6, s0
	v_div_fmas_f32 v1, v1, v4, v7
	s_add_i32 s1, s3, s1
	s_mul_i32 s2, s2, s0
	v_div_fixup_f32 v1, v1, v3, s7
	s_add_i32 s4, s1, s2
	v_mul_f32_e32 v1, v1, v5
	s_mul_i32 s2, s6, s0
	s_and_b32 s3, s8, 0xffff
	s_mov_b64 s[0:1], 0
	v_mov_b32_e32 v3, s4
	v_mov_b32_e32 v4, s13
	;; [unrolled: 1-line block ×3, first 2 shown]
.LBB107_28:                             ; =>This Inner Loop Header: Depth=1
	v_ashrrev_i32_e32 v7, 31, v0
	v_add_co_u32_e32 v6, vcc, s2, v0
	v_addc_co_u32_e32 v7, vcc, v3, v7, vcc
	v_add_u32_e32 v0, s3, v0
	v_cmp_le_i32_e32 vcc, s9, v0
	v_lshlrev_b64 v[6:7], 2, v[6:7]
	s_or_b64 s[0:1], vcc, s[0:1]
	v_add_co_u32_e32 v8, vcc, s12, v6
	v_addc_co_u32_e32 v9, vcc, v4, v7, vcc
	v_add_co_u32_e32 v6, vcc, s14, v6
	v_addc_co_u32_e32 v7, vcc, v5, v7, vcc
	global_store_dword v[8:9], v1, off
	global_store_dword v[6:7], v2, off
	s_andn2_b64 exec, exec, s[0:1]
	s_cbranch_execnz .LBB107_28
.LBB107_29:
	s_endpgm
	.section	.rodata,"a",@progbits
	.p2align	6, 0x0
	.amdhsa_kernel _ZN5aiter19grouped_topk_kernelIN3c104HalfEDv2_fLi8ELb1ELb0ELb0EEEvPT_PKS4_PfPimiiiif
		.amdhsa_group_segment_fixed_size 0
		.amdhsa_private_segment_fixed_size 0
		.amdhsa_kernarg_size 320
		.amdhsa_user_sgpr_count 6
		.amdhsa_user_sgpr_private_segment_buffer 1
		.amdhsa_user_sgpr_dispatch_ptr 0
		.amdhsa_user_sgpr_queue_ptr 0
		.amdhsa_user_sgpr_kernarg_segment_ptr 1
		.amdhsa_user_sgpr_dispatch_id 0
		.amdhsa_user_sgpr_flat_scratch_init 0
		.amdhsa_user_sgpr_kernarg_preload_length 0
		.amdhsa_user_sgpr_kernarg_preload_offset 0
		.amdhsa_user_sgpr_private_segment_size 0
		.amdhsa_uses_dynamic_stack 0
		.amdhsa_system_sgpr_private_segment_wavefront_offset 0
		.amdhsa_system_sgpr_workgroup_id_x 1
		.amdhsa_system_sgpr_workgroup_id_y 0
		.amdhsa_system_sgpr_workgroup_id_z 0
		.amdhsa_system_sgpr_workgroup_info 0
		.amdhsa_system_vgpr_workitem_id 0
		.amdhsa_next_free_vgpr 20
		.amdhsa_next_free_sgpr 27
		.amdhsa_accum_offset 20
		.amdhsa_reserve_vcc 1
		.amdhsa_reserve_flat_scratch 0
		.amdhsa_float_round_mode_32 0
		.amdhsa_float_round_mode_16_64 0
		.amdhsa_float_denorm_mode_32 3
		.amdhsa_float_denorm_mode_16_64 3
		.amdhsa_dx10_clamp 1
		.amdhsa_ieee_mode 1
		.amdhsa_fp16_overflow 0
		.amdhsa_tg_split 0
		.amdhsa_exception_fp_ieee_invalid_op 0
		.amdhsa_exception_fp_denorm_src 0
		.amdhsa_exception_fp_ieee_div_zero 0
		.amdhsa_exception_fp_ieee_overflow 0
		.amdhsa_exception_fp_ieee_underflow 0
		.amdhsa_exception_fp_ieee_inexact 0
		.amdhsa_exception_int_div_zero 0
	.end_amdhsa_kernel
	.section	.text._ZN5aiter19grouped_topk_kernelIN3c104HalfEDv2_fLi8ELb1ELb0ELb0EEEvPT_PKS4_PfPimiiiif,"axG",@progbits,_ZN5aiter19grouped_topk_kernelIN3c104HalfEDv2_fLi8ELb1ELb0ELb0EEEvPT_PKS4_PfPimiiiif,comdat
.Lfunc_end107:
	.size	_ZN5aiter19grouped_topk_kernelIN3c104HalfEDv2_fLi8ELb1ELb0ELb0EEEvPT_PKS4_PfPimiiiif, .Lfunc_end107-_ZN5aiter19grouped_topk_kernelIN3c104HalfEDv2_fLi8ELb1ELb0ELb0EEEvPT_PKS4_PfPimiiiif
                                        ; -- End function
	.section	.AMDGPU.csdata,"",@progbits
; Kernel info:
; codeLenInByte = 2056
; NumSgprs: 31
; NumVgprs: 20
; NumAgprs: 0
; TotalNumVgprs: 20
; ScratchSize: 0
; MemoryBound: 0
; FloatMode: 240
; IeeeMode: 1
; LDSByteSize: 0 bytes/workgroup (compile time only)
; SGPRBlocks: 3
; VGPRBlocks: 2
; NumSGPRsForWavesPerEU: 31
; NumVGPRsForWavesPerEU: 20
; AccumOffset: 20
; Occupancy: 8
; WaveLimiterHint : 0
; COMPUTE_PGM_RSRC2:SCRATCH_EN: 0
; COMPUTE_PGM_RSRC2:USER_SGPR: 6
; COMPUTE_PGM_RSRC2:TRAP_HANDLER: 0
; COMPUTE_PGM_RSRC2:TGID_X_EN: 1
; COMPUTE_PGM_RSRC2:TGID_Y_EN: 0
; COMPUTE_PGM_RSRC2:TGID_Z_EN: 0
; COMPUTE_PGM_RSRC2:TIDIG_COMP_CNT: 0
; COMPUTE_PGM_RSRC3_GFX90A:ACCUM_OFFSET: 4
; COMPUTE_PGM_RSRC3_GFX90A:TG_SPLIT: 0
	.section	.text._ZN5aiter19grouped_topk_kernelIN3c108BFloat16EDv2_fLi8ELb1ELb0ELb0EEEvPT_PKS4_PfPimiiiif,"axG",@progbits,_ZN5aiter19grouped_topk_kernelIN3c108BFloat16EDv2_fLi8ELb1ELb0ELb0EEEvPT_PKS4_PfPimiiiif,comdat
	.protected	_ZN5aiter19grouped_topk_kernelIN3c108BFloat16EDv2_fLi8ELb1ELb0ELb0EEEvPT_PKS4_PfPimiiiif ; -- Begin function _ZN5aiter19grouped_topk_kernelIN3c108BFloat16EDv2_fLi8ELb1ELb0ELb0EEEvPT_PKS4_PfPimiiiif
	.globl	_ZN5aiter19grouped_topk_kernelIN3c108BFloat16EDv2_fLi8ELb1ELb0ELb0EEEvPT_PKS4_PfPimiiiif
	.p2align	8
	.type	_ZN5aiter19grouped_topk_kernelIN3c108BFloat16EDv2_fLi8ELb1ELb0ELb0EEEvPT_PKS4_PfPimiiiif,@function
_ZN5aiter19grouped_topk_kernelIN3c108BFloat16EDv2_fLi8ELb1ELb0ELb0EEEvPT_PKS4_PfPimiiiif: ; @_ZN5aiter19grouped_topk_kernelIN3c108BFloat16EDv2_fLi8ELb1ELb0ELb0EEEvPT_PKS4_PfPimiiiif
; %bb.0:
	s_load_dwordx4 s[8:11], s[4:5], 0x28
	s_load_dwordx4 s[12:15], s[4:5], 0x10
	v_lshl_add_u32 v1, v0, 3, 0
	s_waitcnt lgkmcnt(0)
	s_lshr_b32 s0, s8, 31
	s_add_i32 s0, s8, s0
	s_ashr_i32 s7, s0, 1
	v_cmp_gt_i32_e64 s[0:1], s7, v0
	s_and_saveexec_b64 s[16:17], s[0:1]
	s_cbranch_execz .LBB108_3
; %bb.1:
	s_load_dword s11, s[4:5], 0x4c
	s_load_dwordx2 s[2:3], s[4:5], 0x0
	s_mul_i32 s18, s6, s8
	s_ashr_i32 s19, s18, 31
	s_lshl_b64 s[18:19], s[18:19], 1
	s_waitcnt lgkmcnt(0)
	s_and_b32 s11, s11, 0xffff
	s_add_u32 s2, s2, s18
	v_lshlrev_b32_e32 v2, 2, v0
	s_addc_u32 s3, s3, s19
	s_mov_b32 s25, 0
	v_mov_b32_e32 v3, s3
	v_add_co_u32_e32 v2, vcc, s2, v2
	v_addc_co_u32_e32 v3, vcc, 0, v3, vcc
	s_lshl_b32 s20, s11, 2
	v_lshl_add_u32 v4, v0, 3, 0
	s_lshl_b32 s21, s11, 3
	s_mov_b64 s[18:19], 0
	s_mov_b32 s22, 0xbfb8aa3b
	s_mov_b32 s23, 0x42ce8ed0
	;; [unrolled: 1-line block ×3, first 2 shown]
	v_mov_b32_e32 v5, 0x7f800000
	v_mov_b32_e32 v6, s25
	;; [unrolled: 1-line block ×3, first 2 shown]
.LBB108_2:                              ; =>This Inner Loop Header: Depth=1
	global_load_dword v8, v[2:3], off
	v_add_co_u32_e32 v2, vcc, s20, v2
	v_add_u32_e32 v7, s11, v7
	v_addc_co_u32_e32 v3, vcc, v3, v6, vcc
	v_cmp_le_i32_e32 vcc, s7, v7
	s_or_b64 s[18:19], vcc, s[18:19]
	s_waitcnt vmcnt(0)
	v_cvt_f32_u32_sdwa v9, v8 dst_sel:DWORD dst_unused:UNUSED_PAD src0_sel:WORD_1
	v_cvt_f32_u32_sdwa v8, v8 dst_sel:DWORD dst_unused:UNUSED_PAD src0_sel:WORD_0
	v_mul_f32_e32 v10, 0xbfb8aa3b, v9
	v_mul_f32_e32 v11, 0xbfb8aa3b, v8
	v_fma_f32 v12, v9, s22, -v10
	v_rndne_f32_e32 v13, v10
	v_fma_f32 v14, v8, s22, -v11
	v_rndne_f32_e32 v15, v11
	v_fmac_f32_e32 v12, 0xb2a5705f, v9
	v_sub_f32_e32 v10, v10, v13
	v_fmac_f32_e32 v14, 0xb2a5705f, v8
	v_sub_f32_e32 v11, v11, v15
	v_add_f32_e32 v10, v10, v12
	v_add_f32_e32 v11, v11, v14
	v_cvt_i32_f32_e32 v13, v13
	v_cvt_i32_f32_e32 v15, v15
	v_exp_f32_e32 v10, v10
	v_exp_f32_e32 v11, v11
	v_cmp_nlt_f32_e32 vcc, s23, v8
	v_cmp_nlt_f32_e64 s[2:3], s23, v9
	v_ldexp_f32 v10, v10, v13
	v_ldexp_f32 v11, v11, v15
	v_cndmask_b32_e64 v10, 0, v10, s[2:3]
	v_cndmask_b32_e32 v11, 0, v11, vcc
	v_cmp_ngt_f32_e32 vcc, s24, v8
	v_cmp_ngt_f32_e64 s[2:3], s24, v9
	v_cndmask_b32_e64 v9, v5, v10, s[2:3]
	v_cndmask_b32_e32 v8, v5, v11, vcc
	v_pk_add_f32 v[8:9], v[8:9], 1.0 op_sel_hi:[1,0]
	v_div_scale_f32 v10, s[2:3], v9, v9, 1.0
	v_div_scale_f32 v12, s[2:3], v8, v8, 1.0
	v_rcp_f32_e32 v14, v10
	v_rcp_f32_e32 v15, v12
	v_div_scale_f32 v11, vcc, 1.0, v9, 1.0
	v_fma_f32 v16, -v10, v14, 1.0
	v_fma_f32 v17, -v12, v15, 1.0
	v_fmac_f32_e32 v14, v16, v14
	v_div_scale_f32 v13, s[2:3], 1.0, v8, 1.0
	v_fmac_f32_e32 v15, v17, v15
	v_mul_f32_e32 v16, v11, v14
	v_mul_f32_e32 v17, v13, v15
	v_fma_f32 v18, -v10, v16, v11
	v_fma_f32 v19, -v12, v17, v13
	v_fmac_f32_e32 v16, v18, v14
	v_fmac_f32_e32 v17, v19, v15
	v_fma_f32 v10, -v10, v16, v11
	v_fma_f32 v11, -v12, v17, v13
	v_div_fmas_f32 v10, v10, v14, v16
	s_mov_b64 vcc, s[2:3]
	v_div_fixup_f32 v9, v10, v9, 1.0
	v_div_fmas_f32 v10, v11, v15, v17
	v_div_fixup_f32 v8, v10, v8, 1.0
	ds_write_b64 v4, v[8:9]
	v_add_u32_e32 v4, s21, v4
	s_andn2_b64 exec, exec, s[18:19]
	s_cbranch_execnz .LBB108_2
.LBB108_3:
	s_or_b64 exec, exec, s[16:17]
	s_ashr_i32 s2, s8, 31
	s_lshr_b32 s2, s2, 29
	s_add_i32 s2, s8, s2
	s_ashr_i32 s11, s2, 3
	s_lshl_b32 s2, s8, 2
	s_add_i32 s22, s2, 0
	v_cmp_gt_u32_e32 vcc, 8, v0
	s_waitcnt lgkmcnt(0)
	s_barrier
	s_and_saveexec_b64 s[16:17], vcc
	s_cbranch_execz .LBB108_10
; %bb.4:
	s_load_dword s2, s[4:5], 0x4c
	v_mul_lo_u32 v2, v0, s11
	v_lshl_add_u32 v2, v2, 2, 0
	s_mov_b64 s[18:19], 0
	s_waitcnt lgkmcnt(0)
	s_and_b32 s23, s2, 0xffff
	s_cmp_gt_i32 s8, 7
	s_cselect_b64 s[2:3], -1, 0
	s_mul_i32 s8, s11, s23
	v_cndmask_b32_e64 v3, 0, 1, s[2:3]
	s_lshl_b32 s8, s8, 2
	v_cmp_ne_u32_e64 s[2:3], 1, v3
	v_mov_b32_e32 v3, v0
	s_branch .LBB108_6
.LBB108_5:                              ;   in Loop: Header=BB108_6 Depth=1
	v_lshl_add_u32 v5, v3, 2, s22
	v_add_u32_e32 v3, s23, v3
	v_cmp_lt_u32_e32 vcc, 7, v3
	s_or_b64 s[18:19], vcc, s[18:19]
	v_add_u32_e32 v2, s8, v2
	ds_write_b32 v5, v4
	s_andn2_b64 exec, exec, s[18:19]
	s_cbranch_execz .LBB108_10
.LBB108_6:                              ; =>This Loop Header: Depth=1
                                        ;     Child Loop BB108_8 Depth 2
	s_and_b64 vcc, exec, s[2:3]
	v_mov_b32_e32 v4, 0xff800000
	s_cbranch_vccnz .LBB108_5
; %bb.7:                                ;   in Loop: Header=BB108_6 Depth=1
	v_mul_lo_u32 v5, v3, s11
	v_add_u32_e32 v6, s11, v5
	s_mov_b64 s[20:21], 0
	v_mov_b32_e32 v4, 0xff800000
	v_mov_b32_e32 v7, v2
.LBB108_8:                              ;   Parent Loop BB108_6 Depth=1
                                        ; =>  This Inner Loop Header: Depth=2
	ds_read_b32 v8, v7
	v_add_u32_e32 v5, 1, v5
	v_cmp_ge_i32_e32 vcc, v5, v6
	s_or_b64 s[20:21], vcc, s[20:21]
	v_add_u32_e32 v7, 4, v7
	s_waitcnt lgkmcnt(0)
	v_cmp_gt_f32_e32 vcc, v8, v4
	v_cndmask_b32_e32 v4, v4, v8, vcc
	s_andn2_b64 exec, exec, s[20:21]
	s_cbranch_execnz .LBB108_8
; %bb.9:                                ;   in Loop: Header=BB108_6 Depth=1
	s_or_b64 exec, exec, s[20:21]
	s_branch .LBB108_5
.LBB108_10:
	s_or_b64 exec, exec, s[16:17]
	s_cmp_lt_i32 s10, 1
	s_waitcnt lgkmcnt(0)
	s_barrier
	s_cbranch_scc1 .LBB108_13
; %bb.11:
	v_mov_b32_e32 v2, s22
	s_mov_b32 s2, 0xff800000
	v_mov_b32_e32 v3, 0xff800000
.LBB108_12:                             ; =>This Inner Loop Header: Depth=1
	ds_read2_b32 v[4:5], v2 offset1:1
	ds_read2_b32 v[6:7], v2 offset0:2 offset1:3
	ds_read2_b32 v[8:9], v2 offset0:4 offset1:5
	;; [unrolled: 1-line block ×3, first 2 shown]
	s_waitcnt lgkmcnt(3)
	v_cmp_nlg_f32_e32 vcc, s2, v4
	v_cndmask_b32_e64 v12, 0, 1, vcc
	v_cmp_lg_f32_e32 vcc, s2, v4
	v_cndmask_b32_e32 v4, v3, v4, vcc
	v_readfirstlane_b32 s3, v12
	v_cmp_gt_f32_e32 vcc, v5, v4
	s_lshl_b32 s3, s3, 3
	v_cndmask_b32_e32 v4, v4, v5, vcc
	s_and_b64 s[16:17], vcc, exec
	s_waitcnt lgkmcnt(2)
	v_cmp_gt_f32_e32 vcc, v6, v4
	v_cndmask_b32_e32 v4, v4, v6, vcc
	s_cselect_b32 s3, 1, s3
	s_and_b64 s[16:17], vcc, exec
	v_cmp_gt_f32_e32 vcc, v7, v4
	v_cndmask_b32_e32 v4, v4, v7, vcc
	s_cselect_b32 s3, 2, s3
	s_and_b64 s[16:17], vcc, exec
	s_waitcnt lgkmcnt(1)
	v_cmp_gt_f32_e32 vcc, v8, v4
	v_cndmask_b32_e32 v4, v4, v8, vcc
	s_cselect_b32 s3, 3, s3
	s_and_b64 s[16:17], vcc, exec
	v_cmp_gt_f32_e32 vcc, v9, v4
	v_cndmask_b32_e32 v4, v4, v9, vcc
	s_cselect_b32 s3, 4, s3
	s_and_b64 s[16:17], vcc, exec
	s_waitcnt lgkmcnt(0)
	v_cmp_gt_f32_e32 vcc, v10, v4
	v_cndmask_b32_e32 v4, v4, v10, vcc
	s_cselect_b32 s3, 5, s3
	s_and_b64 s[16:17], vcc, exec
	v_cmp_ngt_f32_e32 vcc, v11, v4
	s_cselect_b32 s3, 6, s3
	s_and_b64 s[16:17], vcc, exec
	s_cselect_b32 s3, s3, 7
	s_lshl_b32 s3, s3, 2
	s_add_i32 s3, s22, s3
	s_add_i32 s10, s10, -1
	v_mov_b32_e32 v4, s3
	s_cmp_lg_u32 s10, 0
	ds_write_b32 v4, v3
	s_cbranch_scc1 .LBB108_12
.LBB108_13:
	v_lshlrev_b32_e32 v4, 1, v0
	s_and_saveexec_b64 s[2:3], s[0:1]
	s_cbranch_execz .LBB108_18
; %bb.14:
	s_abs_i32 s8, s11
	v_cvt_f32_u32_e32 v2, s8
	s_load_dword s16, s[4:5], 0x4c
	s_sub_i32 s17, 0, s8
	s_ashr_i32 s18, s11, 31
	v_rcp_iflag_f32_e32 v2, v2
	v_lshlrev_b32_e32 v5, 1, v0
	s_waitcnt lgkmcnt(0)
	s_and_b32 s19, s16, 0xffff
	v_lshl_add_u32 v6, v0, 3, 0
	v_mul_f32_e32 v2, 0x4f7ffffe, v2
	v_cvt_u32_f32_e32 v2, v2
	s_mov_b64 s[10:11], 0
	s_lshl_b32 s20, s19, 1
	s_lshl_b32 s21, s19, 3
	v_mul_lo_u32 v3, s17, v2
	v_mul_hi_u32 v3, v2, v3
	v_add_u32_e32 v7, v2, v3
	s_mov_b32 s23, 0xff800000
	v_mov_b32_e32 v2, 0xff800000
	v_mov_b32_e32 v8, v0
	s_branch .LBB108_16
.LBB108_15:                             ;   in Loop: Header=BB108_16 Depth=1
	s_or_b64 exec, exec, s[16:17]
	v_add_u32_e32 v8, s19, v8
	v_cmp_le_i32_e32 vcc, s7, v8
	v_add_u32_e32 v5, s20, v5
	s_or_b64 s[10:11], vcc, s[10:11]
	v_add_u32_e32 v6, s21, v6
	s_andn2_b64 exec, exec, s[10:11]
	s_cbranch_execz .LBB108_18
.LBB108_16:                             ; =>This Inner Loop Header: Depth=1
	v_mul_hi_u32 v3, v5, v7
	v_mul_lo_u32 v9, v3, s8
	v_sub_u32_e32 v9, v5, v9
	v_add_u32_e32 v10, 1, v3
	v_cmp_le_u32_e32 vcc, s8, v9
	v_cndmask_b32_e32 v3, v3, v10, vcc
	v_subrev_u32_e32 v10, s8, v9
	v_cndmask_b32_e32 v9, v9, v10, vcc
	v_add_u32_e32 v10, 1, v3
	v_cmp_le_u32_e32 vcc, s8, v9
	v_cndmask_b32_e32 v3, v3, v10, vcc
	v_xor_b32_e32 v3, s18, v3
	v_subrev_u32_e32 v3, s18, v3
	v_lshl_add_u32 v3, v3, 2, s22
	ds_read_b32 v3, v3
	s_waitcnt lgkmcnt(0)
	v_cmp_neq_f32_e32 vcc, s23, v3
	s_and_saveexec_b64 s[16:17], vcc
	s_cbranch_execz .LBB108_15
; %bb.17:                               ;   in Loop: Header=BB108_16 Depth=1
	v_mov_b32_e32 v3, v2
	ds_write_b64 v6, v[2:3]
	s_branch .LBB108_15
.LBB108_18:
	s_or_b64 exec, exec, s[2:3]
	s_cmp_lt_i32 s9, 1
	s_waitcnt lgkmcnt(0)
	s_barrier
	s_cbranch_scc1 .LBB108_25
; %bb.19:
	s_add_u32 s2, s4, 64
	s_addc_u32 s3, s5, 0
	s_mov_b32 s8, 0
	v_mov_b32_e32 v3, 0
	v_mov_b32_e32 v6, 0xff800000
                                        ; implicit-def: $vgpr5
                                        ; implicit-def: $vgpr2
	s_branch .LBB108_21
.LBB108_20:                             ;   in Loop: Header=BB108_21 Depth=1
	s_or_b64 exec, exec, s[10:11]
	v_mov_b32_dpp v10, v8 quad_perm:[1,0,3,2] row_mask:0xf bank_mask:0xf
	v_cmp_lt_f32_e32 vcc, v8, v10
	v_cndmask_b32_e32 v8, v8, v10, vcc
	v_mov_b32_dpp v9, v7 quad_perm:[1,0,3,2] row_mask:0xf bank_mask:0xf
	v_cndmask_b32_e32 v7, v7, v9, vcc
	v_mov_b32_dpp v10, v8 quad_perm:[2,3,0,1] row_mask:0xf bank_mask:0xf
	v_cmp_gt_f32_e32 vcc, v10, v8
	v_cndmask_b32_e32 v8, v8, v10, vcc
	v_mov_b32_dpp v9, v7 quad_perm:[2,3,0,1] row_mask:0xf bank_mask:0xf
	v_cndmask_b32_e32 v7, v7, v9, vcc
	v_mov_b32_dpp v10, v8 row_half_mirror row_mask:0xf bank_mask:0xf
	v_cmp_gt_f32_e32 vcc, v10, v8
	v_cndmask_b32_e32 v8, v8, v10, vcc
	v_mov_b32_dpp v9, v7 row_half_mirror row_mask:0xf bank_mask:0xf
	v_cndmask_b32_e32 v7, v7, v9, vcc
	v_mov_b32_dpp v10, v8 row_mirror row_mask:0xf bank_mask:0xf
	v_cmp_gt_f32_e32 vcc, v10, v8
	v_cndmask_b32_e32 v8, v8, v10, vcc
	v_mov_b32_dpp v9, v7 row_mirror row_mask:0xf bank_mask:0xf
	v_cndmask_b32_e32 v7, v7, v9, vcc
	v_mov_b32_dpp v10, v8 row_bcast:15 row_mask:0xf bank_mask:0xf
	v_cmp_gt_f32_e32 vcc, v10, v8
	v_mov_b32_dpp v9, v7 row_bcast:15 row_mask:0xf bank_mask:0xf
	v_cndmask_b32_e32 v8, v8, v10, vcc
	v_cndmask_b32_e32 v7, v7, v9, vcc
	s_nop 0
	v_mov_b32_dpp v10, v8 row_bcast:31 row_mask:0xf bank_mask:0xf
	v_mov_b32_dpp v9, v7 row_bcast:31 row_mask:0xf bank_mask:0xf
	v_cmp_gt_f32_e32 vcc, v10, v8
	v_cndmask_b32_e32 v7, v7, v9, vcc
	v_readlane_b32 s11, v7, 63
	s_lshl_b32 s16, s11, 2
	s_add_i32 s16, s16, 0
	v_cndmask_b32_e32 v8, v8, v10, vcc
	v_mov_b32_e32 v7, s16
	v_readlane_b32 s10, v8, 63
	ds_write_b32 v7, v6
	v_mov_b32_e32 v7, s11
	v_cmp_eq_u32_e32 vcc, s8, v0
	v_cndmask_b32_e32 v2, v2, v7, vcc
	v_mov_b32_e32 v7, s10
	s_add_i32 s8, s8, 1
	v_cndmask_b32_e32 v5, v5, v7, vcc
	s_cmp_eq_u32 s8, s9
	v_add_f32_e32 v3, s10, v3
	s_cbranch_scc1 .LBB108_26
.LBB108_21:                             ; =>This Loop Header: Depth=1
                                        ;     Child Loop BB108_23 Depth 2
	v_mov_b32_e32 v7, s8
	v_mov_b32_e32 v8, 0xff800000
	s_and_saveexec_b64 s[10:11], s[0:1]
	s_cbranch_execz .LBB108_20
; %bb.22:                               ;   in Loop: Header=BB108_21 Depth=1
	s_load_dword s18, s[2:3], 0xc
	s_mov_b64 s[16:17], 0
	v_mov_b32_e32 v7, s8
	v_mov_b32_e32 v8, 0xff800000
	;; [unrolled: 1-line block ×3, first 2 shown]
	s_waitcnt lgkmcnt(0)
	s_and_b32 s18, s18, 0xffff
	s_lshl_b32 s19, s18, 1
	s_lshl_b32 s20, s18, 3
	v_mov_b32_e32 v10, v4
	v_mov_b32_e32 v11, v0
.LBB108_23:                             ;   Parent Loop BB108_21 Depth=1
                                        ; =>  This Inner Loop Header: Depth=2
	ds_read_b64 v[12:13], v9
	v_add_u32_e32 v11, s18, v11
	v_cmp_le_i32_e32 vcc, s7, v11
	s_or_b64 s[16:17], vcc, s[16:17]
	v_add_u32_e32 v14, 1, v10
	s_waitcnt lgkmcnt(0)
	v_cmp_gt_f32_e32 vcc, v12, v8
	v_cndmask_b32_e32 v8, v8, v12, vcc
	v_cndmask_b32_e32 v7, v7, v10, vcc
	v_cmp_gt_f32_e32 vcc, v13, v8
	v_add_u32_e32 v9, s20, v9
	v_cndmask_b32_e32 v8, v8, v13, vcc
	v_add_u32_e32 v10, s19, v10
	v_cndmask_b32_e32 v7, v7, v14, vcc
	s_andn2_b64 exec, exec, s[16:17]
	s_cbranch_execnz .LBB108_23
; %bb.24:                               ;   in Loop: Header=BB108_21 Depth=1
	s_or_b64 exec, exec, s[16:17]
	s_branch .LBB108_20
.LBB108_25:
	v_mov_b32_e32 v3, 0
                                        ; implicit-def: $vgpr5
                                        ; implicit-def: $vgpr2
.LBB108_26:
	v_cmp_gt_i32_e32 vcc, s9, v0
	s_and_saveexec_b64 s[0:1], vcc
	s_cbranch_execz .LBB108_29
; %bb.27:
	s_load_dword s7, s[4:5], 0x38
	s_load_dwordx2 s[0:1], s[4:5], 0x20
	s_load_dword s8, s[4:5], 0x4c
	s_waitcnt lgkmcnt(0)
	v_div_scale_f32 v1, s[2:3], v3, v3, s7
	v_rcp_f32_e32 v4, v1
	v_div_scale_f32 v6, vcc, s7, v3, s7
	s_ashr_i32 s2, s6, 31
	v_fma_f32 v7, -v1, v4, 1.0
	v_fmac_f32_e32 v4, v7, v4
	v_mul_f32_e32 v7, v6, v4
	v_fma_f32 v8, -v1, v7, v6
	v_fmac_f32_e32 v7, v8, v4
	v_fma_f32 v1, -v1, v7, v6
	s_mul_i32 s1, s6, s1
	s_mul_hi_u32 s3, s6, s0
	v_div_fmas_f32 v1, v1, v4, v7
	s_add_i32 s1, s3, s1
	s_mul_i32 s2, s2, s0
	v_div_fixup_f32 v1, v1, v3, s7
	s_add_i32 s4, s1, s2
	v_mul_f32_e32 v1, v1, v5
	s_mul_i32 s2, s6, s0
	s_and_b32 s3, s8, 0xffff
	s_mov_b64 s[0:1], 0
	v_mov_b32_e32 v3, s4
	v_mov_b32_e32 v4, s13
	v_mov_b32_e32 v5, s15
.LBB108_28:                             ; =>This Inner Loop Header: Depth=1
	v_ashrrev_i32_e32 v7, 31, v0
	v_add_co_u32_e32 v6, vcc, s2, v0
	v_addc_co_u32_e32 v7, vcc, v3, v7, vcc
	v_add_u32_e32 v0, s3, v0
	v_cmp_le_i32_e32 vcc, s9, v0
	v_lshlrev_b64 v[6:7], 2, v[6:7]
	s_or_b64 s[0:1], vcc, s[0:1]
	v_add_co_u32_e32 v8, vcc, s12, v6
	v_addc_co_u32_e32 v9, vcc, v4, v7, vcc
	v_add_co_u32_e32 v6, vcc, s14, v6
	v_addc_co_u32_e32 v7, vcc, v5, v7, vcc
	global_store_dword v[8:9], v1, off
	global_store_dword v[6:7], v2, off
	s_andn2_b64 exec, exec, s[0:1]
	s_cbranch_execnz .LBB108_28
.LBB108_29:
	s_endpgm
	.section	.rodata,"a",@progbits
	.p2align	6, 0x0
	.amdhsa_kernel _ZN5aiter19grouped_topk_kernelIN3c108BFloat16EDv2_fLi8ELb1ELb0ELb0EEEvPT_PKS4_PfPimiiiif
		.amdhsa_group_segment_fixed_size 0
		.amdhsa_private_segment_fixed_size 0
		.amdhsa_kernarg_size 320
		.amdhsa_user_sgpr_count 6
		.amdhsa_user_sgpr_private_segment_buffer 1
		.amdhsa_user_sgpr_dispatch_ptr 0
		.amdhsa_user_sgpr_queue_ptr 0
		.amdhsa_user_sgpr_kernarg_segment_ptr 1
		.amdhsa_user_sgpr_dispatch_id 0
		.amdhsa_user_sgpr_flat_scratch_init 0
		.amdhsa_user_sgpr_kernarg_preload_length 0
		.amdhsa_user_sgpr_kernarg_preload_offset 0
		.amdhsa_user_sgpr_private_segment_size 0
		.amdhsa_uses_dynamic_stack 0
		.amdhsa_system_sgpr_private_segment_wavefront_offset 0
		.amdhsa_system_sgpr_workgroup_id_x 1
		.amdhsa_system_sgpr_workgroup_id_y 0
		.amdhsa_system_sgpr_workgroup_id_z 0
		.amdhsa_system_sgpr_workgroup_info 0
		.amdhsa_system_vgpr_workitem_id 0
		.amdhsa_next_free_vgpr 20
		.amdhsa_next_free_sgpr 26
		.amdhsa_accum_offset 20
		.amdhsa_reserve_vcc 1
		.amdhsa_reserve_flat_scratch 0
		.amdhsa_float_round_mode_32 0
		.amdhsa_float_round_mode_16_64 0
		.amdhsa_float_denorm_mode_32 3
		.amdhsa_float_denorm_mode_16_64 3
		.amdhsa_dx10_clamp 1
		.amdhsa_ieee_mode 1
		.amdhsa_fp16_overflow 0
		.amdhsa_tg_split 0
		.amdhsa_exception_fp_ieee_invalid_op 0
		.amdhsa_exception_fp_denorm_src 0
		.amdhsa_exception_fp_ieee_div_zero 0
		.amdhsa_exception_fp_ieee_overflow 0
		.amdhsa_exception_fp_ieee_underflow 0
		.amdhsa_exception_fp_ieee_inexact 0
		.amdhsa_exception_int_div_zero 0
	.end_amdhsa_kernel
	.section	.text._ZN5aiter19grouped_topk_kernelIN3c108BFloat16EDv2_fLi8ELb1ELb0ELb0EEEvPT_PKS4_PfPimiiiif,"axG",@progbits,_ZN5aiter19grouped_topk_kernelIN3c108BFloat16EDv2_fLi8ELb1ELb0ELb0EEEvPT_PKS4_PfPimiiiif,comdat
.Lfunc_end108:
	.size	_ZN5aiter19grouped_topk_kernelIN3c108BFloat16EDv2_fLi8ELb1ELb0ELb0EEEvPT_PKS4_PfPimiiiif, .Lfunc_end108-_ZN5aiter19grouped_topk_kernelIN3c108BFloat16EDv2_fLi8ELb1ELb0ELb0EEEvPT_PKS4_PfPimiiiif
                                        ; -- End function
	.section	.AMDGPU.csdata,"",@progbits
; Kernel info:
; codeLenInByte = 2048
; NumSgprs: 30
; NumVgprs: 20
; NumAgprs: 0
; TotalNumVgprs: 20
; ScratchSize: 0
; MemoryBound: 0
; FloatMode: 240
; IeeeMode: 1
; LDSByteSize: 0 bytes/workgroup (compile time only)
; SGPRBlocks: 3
; VGPRBlocks: 2
; NumSGPRsForWavesPerEU: 30
; NumVGPRsForWavesPerEU: 20
; AccumOffset: 20
; Occupancy: 8
; WaveLimiterHint : 0
; COMPUTE_PGM_RSRC2:SCRATCH_EN: 0
; COMPUTE_PGM_RSRC2:USER_SGPR: 6
; COMPUTE_PGM_RSRC2:TRAP_HANDLER: 0
; COMPUTE_PGM_RSRC2:TGID_X_EN: 1
; COMPUTE_PGM_RSRC2:TGID_Y_EN: 0
; COMPUTE_PGM_RSRC2:TGID_Z_EN: 0
; COMPUTE_PGM_RSRC2:TIDIG_COMP_CNT: 0
; COMPUTE_PGM_RSRC3_GFX90A:ACCUM_OFFSET: 4
; COMPUTE_PGM_RSRC3_GFX90A:TG_SPLIT: 0
	.section	.text._ZN5aiter28grouped_topk_opt_sort_kernelIfDv2_fLi8ELb0ELb1ELb0EEEvPT_PKS2_PfPimiiiif,"axG",@progbits,_ZN5aiter28grouped_topk_opt_sort_kernelIfDv2_fLi8ELb0ELb1ELb0EEEvPT_PKS2_PfPimiiiif,comdat
	.protected	_ZN5aiter28grouped_topk_opt_sort_kernelIfDv2_fLi8ELb0ELb1ELb0EEEvPT_PKS2_PfPimiiiif ; -- Begin function _ZN5aiter28grouped_topk_opt_sort_kernelIfDv2_fLi8ELb0ELb1ELb0EEEvPT_PKS2_PfPimiiiif
	.globl	_ZN5aiter28grouped_topk_opt_sort_kernelIfDv2_fLi8ELb0ELb1ELb0EEEvPT_PKS2_PfPimiiiif
	.p2align	8
	.type	_ZN5aiter28grouped_topk_opt_sort_kernelIfDv2_fLi8ELb0ELb1ELb0EEEvPT_PKS2_PfPimiiiif,@function
_ZN5aiter28grouped_topk_opt_sort_kernelIfDv2_fLi8ELb0ELb1ELb0EEEvPT_PKS2_PfPimiiiif: ; @_ZN5aiter28grouped_topk_opt_sort_kernelIfDv2_fLi8ELb0ELb1ELb0EEEvPT_PKS2_PfPimiiiif
; %bb.0:
	s_load_dwordx4 s[16:19], s[4:5], 0x28
	s_load_dwordx4 s[12:15], s[4:5], 0x0
	v_lshlrev_b32_e32 v13, 3, v0
	v_bfe_u32 v12, v0, 1, 1
	v_and_b32_e32 v11, 1, v0
	s_waitcnt lgkmcnt(0)
	s_lshl_b32 s1, s16, 2
	s_mul_i32 s0, s6, s16
	s_add_i32 s7, s1, 0
	s_ashr_i32 s1, s0, 31
	s_lshl_b64 s[0:1], s[0:1], 2
	s_add_u32 s0, s12, s0
	s_addc_u32 s1, s13, s1
	global_load_dwordx2 v[6:7], v13, s[0:1]
	global_load_dwordx2 v[8:9], v13, s[14:15]
	s_mov_b32 s0, 0x652b82fe
	s_mov_b32 s1, 0xbff71547
	v_mov_b32_e32 v2, 0xff800000
	v_mov_b32_e32 v3, 0x7f800000
	v_bfe_u32 v4, v0, 2, 1
	v_cmp_eq_u32_e32 vcc, v11, v12
	v_cndmask_b32_e32 v15, v2, v3, vcc
	v_cmp_eq_u32_e32 vcc, v12, v4
	s_mov_b32 s2, 0xc2fc0000
	v_cndmask_b32_e32 v16, v2, v3, vcc
	v_cmp_eq_u32_e32 vcc, v11, v4
	v_mov_b32_e32 v10, 0x42800000
	v_cndmask_b32_e32 v17, v2, v3, vcc
	v_mov_b32_e32 v14, 0x1f800000
	v_and_b32_e32 v20, 4, v0
	s_mov_b32 s3, 0xff800000
	v_mbcnt_lo_u32_b32 v1, -1, 0
	v_mbcnt_hi_u32_b32 v1, -1, v1
	v_and_b32_e32 v5, 64, v1
	s_waitcnt vmcnt(1)
	v_cvt_f64_f32_e32 v[18:19], v6
	v_cvt_f64_f32_e32 v[6:7], v7
	v_mul_f64 v[18:19], v[18:19], s[0:1]
	v_mul_f64 v[6:7], v[6:7], s[0:1]
	v_cvt_f32_f64_e32 v18, v[18:19]
	v_cvt_f32_f64_e32 v6, v[6:7]
	v_cmp_gt_f32_e32 vcc, s2, v18
	v_cmp_gt_f32_e64 s[0:1], s2, v6
	v_cndmask_b32_e32 v7, 0, v10, vcc
	v_cndmask_b32_e64 v10, 0, v10, s[0:1]
	v_add_f32_e32 v7, v18, v7
	v_add_f32_e32 v6, v6, v10
	v_exp_f32_e32 v7, v7
	v_exp_f32_e32 v6, v6
	v_cndmask_b32_e32 v10, 1.0, v14, vcc
	v_cndmask_b32_e64 v14, 1.0, v14, s[0:1]
	v_fma_f32 v7, v7, v10, 1.0
	v_fma_f32 v10, v6, v14, 1.0
	v_rcp_f32_e32 v6, v7
	v_rcp_f32_e32 v7, v10
	v_cmp_eq_u32_e32 vcc, 0, v20
	v_cndmask_b32_e32 v14, v2, v3, vcc
	v_and_or_b32 v10, v13, 56, v5
	s_waitcnt vmcnt(0)
	v_pk_add_f32 v[6:7], v[8:9], v[6:7]
	v_cmp_o_f32_e32 vcc, v7, v7
	v_cndmask_b32_e32 v7, v2, v7, vcc
	v_cmp_o_f32_e32 vcc, v6, v6
	v_cndmask_b32_e32 v6, v2, v6, vcc
	v_med3_f32 v8, v7, v6, s3
	v_max_f32_e32 v9, v7, v6
	v_lshlrev_b32_e32 v10, 2, v10
	v_mov_b32_dpp v19, v8 quad_perm:[1,0,3,2] row_mask:0xf bank_mask:0xf bound_ctrl:1
	v_max_f32_e32 v19, v19, v19
	v_mov_b32_dpp v18, v9 quad_perm:[1,0,3,2] row_mask:0xf bank_mask:0xf bound_ctrl:1
	v_max_f32_e32 v8, v19, v8
	v_med3_f32 v8, v18, v9, v8
	v_max_f32_e32 v20, v18, v18
	v_max_f32_e32 v19, v20, v9
	v_mov_b32_dpp v18, v8 quad_perm:[2,3,0,1] row_mask:0xf bank_mask:0xf bound_ctrl:1
	v_max_f32_e32 v18, v18, v18
	v_mov_b32_dpp v9, v19 quad_perm:[2,3,0,1] row_mask:0xf bank_mask:0xf bound_ctrl:1
	v_max_f32_e32 v8, v18, v8
	v_max_f32_e32 v20, v9, v9
	v_med3_f32 v8, v9, v19, v8
	v_max_f32_e32 v20, v20, v19
	v_cmp_eq_u32_e32 vcc, 0, v12
	v_mov_b32_dpp v19, v8 row_half_mirror row_mask:0xf bank_mask:0xf bound_ctrl:1
	v_mov_b32_dpp v18, v20 row_half_mirror row_mask:0xf bank_mask:0xf bound_ctrl:1
	v_max_f32_e32 v19, v19, v19
	v_max_f32_e32 v9, v18, v18
	;; [unrolled: 1-line block ×4, first 2 shown]
	v_med3_f32 v8, v18, v20, v8
	v_add_f32_e32 v8, v9, v8
	ds_bpermute_b32 v18, v10, v8
	v_cndmask_b32_e32 v8, v2, v3, vcc
	v_cmp_eq_u32_e32 vcc, 0, v11
	v_cndmask_b32_e32 v9, v2, v3, vcc
	v_lshlrev_b32_e32 v10, 2, v5
	s_waitcnt lgkmcnt(0)
	v_mov_b32_dpp v19, v18 quad_perm:[1,0,3,2] row_mask:0xf bank_mask:0xf bound_ctrl:1
	v_med3_f32 v19, v18, v19, v15
	v_add_u32_e32 v13, 0, v13
	ds_write_b64 v13, v[6:7]
	v_mov_b32_dpp v20, v19 quad_perm:[2,3,0,1] row_mask:0xf bank_mask:0xf bound_ctrl:1
	v_med3_f32 v19, v19, v20, v16
	s_nop 1
	v_mov_b32_dpp v20, v19 quad_perm:[1,0,3,2] row_mask:0xf bank_mask:0xf bound_ctrl:1
	v_med3_f32 v19, v19, v20, v17
	s_nop 1
	v_mov_b32_dpp v20, v19 row_shl:4 row_mask:0xf bank_mask:0x5 bound_ctrl:1
	s_nop 1
	v_mov_b32_dpp v20, v19 row_shr:4 row_mask:0xf bank_mask:0xa bound_ctrl:1
	v_med3_f32 v14, v19, v20, v14
	s_nop 1
	v_mov_b32_dpp v19, v14 quad_perm:[2,3,0,1] row_mask:0xf bank_mask:0xf bound_ctrl:1
	v_med3_f32 v14, v14, v19, v8
	s_nop 1
	v_mov_b32_dpp v19, v14 quad_perm:[1,0,3,2] row_mask:0xf bank_mask:0xf bound_ctrl:1
	v_med3_f32 v14, v14, v19, v9
	ds_bpermute_b32 v14, v10, v14 offset:12
	v_bfe_i32 v19, v1, 3, 1
	s_waitcnt lgkmcnt(0)
	v_cmp_gt_f32_e32 vcc, v18, v14
	v_cndmask_b32_e64 v6, 0, 1, vcc
	v_cmp_eq_f32_e64 s[0:1], v18, v14
	v_cndmask_b32_e64 v7, 0, 1, s[0:1]
	v_mov_b32_dpp v6, v6 row_shr:1 row_mask:0xf bank_mask:0xf bound_ctrl:1
	v_addc_co_u32_e64 v13, s[8:9], 0, v6, vcc
	v_mov_b32_dpp v7, v7 row_shr:1 row_mask:0xf bank_mask:0xf bound_ctrl:1
	s_nop 0
	v_mov_b32_dpp v13, v13 row_shr:2 row_mask:0xf bank_mask:0xf bound_ctrl:1
	v_addc_co_u32_e32 v6, vcc, v13, v6, vcc
	v_cmp_ge_f32_e64 s[2:3], v18, v14
	v_addc_co_u32_e64 v14, s[8:9], 0, v7, s[0:1]
	v_add_u32_dpp v6, v6, v6 row_shr:4 row_mask:0xf bank_mask:0xf bound_ctrl:1
	s_nop 0
	v_mov_b32_dpp v14, v14 row_shr:2 row_mask:0xf bank_mask:0xf bound_ctrl:1
	v_addc_co_u32_e64 v7, vcc, v14, v7, s[0:1]
	v_add_u32_dpp v6, v6, v6 row_shr:8 row_mask:0xf bank_mask:0xf bound_ctrl:1
	s_nop 0
	v_add_u32_dpp v7, v7, v7 row_shr:4 row_mask:0xf bank_mask:0xf bound_ctrl:1
	v_and_b32_dpp v13, v6, v19 row_newbcast:7 row_mask:0xf bank_mask:0xf bound_ctrl:1
	v_sub_u32_e32 v6, v6, v13
	v_add_u32_dpp v7, v7, v7 row_shr:8 row_mask:0xf bank_mask:0xf bound_ctrl:1
	v_readlane_b32 s8, v6, 7
	s_nop 0
	v_and_b32_dpp v14, v7, v19 row_newbcast:7 row_mask:0xf bank_mask:0xf bound_ctrl:1
	v_add_u32_e32 v7, s8, v7
	v_sub_u32_e32 v7, v7, v14
	v_cndmask_b32_e64 v6, v6, v7, s[0:1]
	v_cmp_ge_i32_e32 vcc, s18, v6
	s_and_b64 s[0:1], s[2:3], vcc
	v_cmp_gt_u32_e32 vcc, 8, v0
	s_and_b64 s[2:3], vcc, s[0:1]
	s_and_saveexec_b64 s[0:1], s[2:3]
	s_cbranch_execz .LBB109_2
; %bb.1:
	v_lshl_add_u32 v6, v6, 2, s7
	ds_write_b32 v6, v0 offset:28
.LBB109_2:
	s_or_b64 exec, exec, s[0:1]
	v_lshrrev_b32_e32 v6, 3, v0
	v_and_b32_e32 v6, 0x7c, v6
	v_add_u32_e32 v6, s7, v6
	s_waitcnt lgkmcnt(0)
	s_barrier
	ds_read_b32 v6, v6 offset:32
	v_add_u32_e32 v7, 64, v0
	v_and_b32_e32 v18, 31, v0
	v_lshrrev_b32_e32 v7, 3, v7
	v_and_b32_e32 v7, 0xfc, v7
	s_waitcnt lgkmcnt(0)
	v_lshl_or_b32 v13, v6, 5, v18
	v_add_u32_e32 v7, s7, v7
	v_lshl_add_u32 v6, v13, 2, 0
	ds_read_b32 v7, v7 offset:32
	ds_read_b32 v14, v6
	v_bfe_u32 v21, v0, 3, 1
	v_cmp_eq_u32_e32 vcc, v4, v21
	v_cndmask_b32_e32 v22, v2, v3, vcc
	v_cmp_eq_u32_e32 vcc, v12, v21
	s_waitcnt lgkmcnt(0)
	v_mov_b32_dpp v19, v14 quad_perm:[1,0,3,2] row_mask:0xf bank_mask:0xf bound_ctrl:1
	v_med3_f32 v19, v14, v19, v15
	v_cndmask_b32_e32 v23, v2, v3, vcc
	v_cmp_eq_u32_e32 vcc, v11, v21
	v_mov_b32_dpp v20, v19 quad_perm:[2,3,0,1] row_mask:0xf bank_mask:0xf bound_ctrl:1
	v_med3_f32 v19, v19, v20, v16
	v_cndmask_b32_e32 v24, v2, v3, vcc
	v_bfe_u32 v25, v0, 4, 1
	v_mov_b32_dpp v20, v19 quad_perm:[1,0,3,2] row_mask:0xf bank_mask:0xf bound_ctrl:1
	v_med3_f32 v19, v19, v20, v17
	v_cmp_eq_u32_e32 vcc, v21, v25
	v_cndmask_b32_e32 v26, v2, v3, vcc
	v_mov_b32_dpp v20, v19 row_shl:4 row_mask:0xf bank_mask:0x5 bound_ctrl:1
	v_lshl_or_b32 v6, v7, 5, v18
	v_lshl_add_u32 v7, v6, 2, 0
	v_mov_b32_dpp v20, v19 row_shr:4 row_mask:0xf bank_mask:0xa bound_ctrl:1
	v_med3_f32 v19, v19, v20, v22
	v_cmp_eq_u32_e32 vcc, v4, v25
	ds_read_b32 v7, v7
	v_mov_b32_dpp v20, v19 quad_perm:[2,3,0,1] row_mask:0xf bank_mask:0xf bound_ctrl:1
	v_med3_f32 v19, v19, v20, v23
	v_cndmask_b32_e32 v27, v2, v3, vcc
	v_cmp_eq_u32_e32 vcc, v12, v25
	v_mov_b32_dpp v20, v19 quad_perm:[1,0,3,2] row_mask:0xf bank_mask:0xf bound_ctrl:1
	v_med3_f32 v19, v19, v20, v24
	v_cndmask_b32_e32 v12, v2, v3, vcc
	v_cmp_eq_u32_e32 vcc, v11, v25
	v_mov_b32_dpp v20, v19 row_shl:8 row_mask:0xf bank_mask:0x3 bound_ctrl:1
	v_cndmask_b32_e32 v11, v2, v3, vcc
	v_cmp_gt_u32_e32 vcc, 32, v0
	v_mov_b32_dpp v20, v19 row_shr:8 row_mask:0xf bank_mask:0xc bound_ctrl:1
	v_med3_f32 v19, v19, v20, v26
	v_cmp_lt_u32_e64 s[2:3], 15, v1
	s_lshl_b32 s8, s17, 2
	v_mov_b32_dpp v20, v19 row_shl:4 row_mask:0xf bank_mask:0x5 bound_ctrl:1
	s_add_i32 s12, s7, s8
	s_add_i32 s13, s7, 64
	v_mov_b32_dpp v20, v19 row_shr:4 row_mask:0xf bank_mask:0xa bound_ctrl:1
	v_med3_f32 v19, v19, v20, v27
	s_add_i32 s16, s12, 64
	s_nop 0
	v_mov_b32_dpp v20, v19 quad_perm:[2,3,0,1] row_mask:0xf bank_mask:0xf bound_ctrl:1
	v_med3_f32 v19, v19, v20, v12
	s_nop 1
	v_mov_b32_dpp v20, v19 quad_perm:[1,0,3,2] row_mask:0xf bank_mask:0xf bound_ctrl:1
	v_med3_f32 v19, v19, v20, v11
	s_waitcnt lgkmcnt(0)
	v_mov_b32_dpp v20, v7 quad_perm:[1,0,3,2] row_mask:0xf bank_mask:0xf bound_ctrl:1
	v_med3_f32 v15, v7, v20, v15
	s_nop 1
	v_mov_b32_dpp v20, v15 quad_perm:[2,3,0,1] row_mask:0xf bank_mask:0xf bound_ctrl:1
	v_med3_f32 v15, v15, v20, v16
	s_nop 1
	;; [unrolled: 3-line block ×3, first 2 shown]
	v_mov_b32_dpp v16, v15 row_shl:4 row_mask:0xf bank_mask:0x5 bound_ctrl:1
	s_nop 1
	v_mov_b32_dpp v16, v15 row_shr:4 row_mask:0xf bank_mask:0xa bound_ctrl:1
	v_med3_f32 v15, v15, v16, v22
	s_nop 1
	v_mov_b32_dpp v16, v15 quad_perm:[2,3,0,1] row_mask:0xf bank_mask:0xf bound_ctrl:1
	v_med3_f32 v15, v15, v16, v23
	s_nop 1
	v_mov_b32_dpp v16, v15 quad_perm:[1,0,3,2] row_mask:0xf bank_mask:0xf bound_ctrl:1
	v_med3_f32 v15, v15, v16, v24
	s_nop 1
	v_mov_b32_dpp v16, v15 row_shl:8 row_mask:0xf bank_mask:0x3 bound_ctrl:1
	s_nop 1
	v_mov_b32_dpp v16, v15 row_shr:8 row_mask:0xf bank_mask:0xc bound_ctrl:1
	v_med3_f32 v15, v15, v16, v26
	s_nop 1
	v_mov_b32_dpp v16, v15 row_shl:4 row_mask:0xf bank_mask:0x5 bound_ctrl:1
	s_nop 1
	v_mov_b32_dpp v16, v15 row_shr:4 row_mask:0xf bank_mask:0xa bound_ctrl:1
	v_med3_f32 v15, v15, v16, v27
	s_nop 1
	v_mov_b32_dpp v16, v15 quad_perm:[2,3,0,1] row_mask:0xf bank_mask:0xf bound_ctrl:1
	v_med3_f32 v15, v15, v16, v12
	s_nop 1
	v_mov_b32_dpp v16, v15 quad_perm:[1,0,3,2] row_mask:0xf bank_mask:0xf bound_ctrl:1
	v_med3_f32 v15, v15, v16, v11
	v_lshlrev_b32_e32 v16, 1, v0
	v_bfi_b32 v17, 48, v16, v18
	v_or_b32_e32 v17, v5, v17
	v_lshlrev_b32_e32 v17, 2, v17
	ds_bpermute_b32 v19, v17, v19
	ds_bpermute_b32 v15, v17, v15
	v_xor_b32_e32 v16, v18, v16
	v_and_b32_e32 v16, 48, v16
	s_waitcnt lgkmcnt(0)
	v_cndmask_b32_e32 v15, v15, v19, vcc
	s_nop 1
	v_mov_b32_dpp v17, v15 row_shl:8 row_mask:0xf bank_mask:0x3 bound_ctrl:1
	v_cmp_eq_u32_e32 vcc, 0, v21
	s_nop 0
	v_mov_b32_dpp v17, v15 row_shr:8 row_mask:0xf bank_mask:0xc bound_ctrl:1
	v_med3_f32 v15, v15, v17, v26
	s_nop 1
	v_mov_b32_dpp v17, v15 row_shl:4 row_mask:0xf bank_mask:0x5 bound_ctrl:1
	s_nop 1
	v_mov_b32_dpp v17, v15 row_shr:4 row_mask:0xf bank_mask:0xa bound_ctrl:1
	v_med3_f32 v15, v15, v17, v27
	s_nop 1
	v_mov_b32_dpp v17, v15 quad_perm:[2,3,0,1] row_mask:0xf bank_mask:0xf bound_ctrl:1
	v_med3_f32 v15, v15, v17, v12
	s_nop 1
	v_mov_b32_dpp v17, v15 quad_perm:[1,0,3,2] row_mask:0xf bank_mask:0xf bound_ctrl:1
	v_med3_f32 v15, v15, v17, v11
	v_and_b32_e32 v17, 63, v0
	v_xor_b32_e32 v16, v16, v17
	v_or_b32_e32 v5, v5, v16
	v_lshlrev_b32_e32 v5, 2, v5
	ds_bpermute_b32 v15, v5, v15
	s_waitcnt lgkmcnt(0)
	s_nop 0
	v_mov_b32_dpp v16, v15 row_shl:8 row_mask:0xf bank_mask:0x3 bound_ctrl:1
	s_nop 1
	v_mov_b32_dpp v16, v15 row_shr:8 row_mask:0xf bank_mask:0xc bound_ctrl:1
	v_med3_f32 v15, v15, v16, v26
	s_nop 1
	v_mov_b32_dpp v16, v15 row_shl:4 row_mask:0xf bank_mask:0x5 bound_ctrl:1
	s_nop 1
	v_mov_b32_dpp v16, v15 row_shr:4 row_mask:0xf bank_mask:0xa bound_ctrl:1
	v_med3_f32 v15, v15, v16, v27
	s_nop 1
	v_mov_b32_dpp v16, v15 quad_perm:[2,3,0,1] row_mask:0xf bank_mask:0xf bound_ctrl:1
	v_med3_f32 v12, v15, v16, v12
	s_nop 1
	v_mov_b32_dpp v15, v12 quad_perm:[1,0,3,2] row_mask:0xf bank_mask:0xf bound_ctrl:1
	v_med3_f32 v11, v12, v15, v11
	ds_bpermute_b32 v5, v5, v11
	v_cndmask_b32_e32 v12, v2, v3, vcc
	v_cmp_eq_u32_e32 vcc, 0, v4
	v_cndmask_b32_e32 v2, v2, v3, vcc
	s_waitcnt lgkmcnt(0)
	v_mov_b32_dpp v11, v5 row_shl:8 row_mask:0xf bank_mask:0x3 bound_ctrl:1
	s_nop 1
	v_mov_b32_dpp v11, v5 row_shr:8 row_mask:0xf bank_mask:0xc bound_ctrl:1
	v_med3_f32 v5, v5, v11, v12
	s_nop 1
	v_mov_b32_dpp v11, v5 row_shl:4 row_mask:0xf bank_mask:0x5 bound_ctrl:1
	s_nop 1
	v_mov_b32_dpp v11, v5 row_shr:4 row_mask:0xf bank_mask:0xa bound_ctrl:1
	v_med3_f32 v2, v5, v11, v2
	s_nop 1
	v_mov_b32_dpp v3, v2 quad_perm:[2,3,0,1] row_mask:0xf bank_mask:0xf bound_ctrl:1
	v_med3_f32 v2, v2, v3, v8
	s_nop 1
	v_mov_b32_dpp v3, v2 quad_perm:[1,0,3,2] row_mask:0xf bank_mask:0xf bound_ctrl:1
	v_med3_f32 v2, v2, v3, v9
	ds_bpermute_b32 v2, v10, v2 offset:28
	v_lshlrev_b32_e32 v3, 2, v1
	v_and_b32_e32 v3, 0xc0, v3
	v_add_u32_e32 v4, -4, v3
	v_add_u32_e32 v9, 0xffffffbc, v3
	s_waitcnt lgkmcnt(0)
	v_cmp_gt_f32_e32 vcc, v14, v2
	v_cndmask_b32_e64 v5, 0, 1, vcc
	v_cmp_eq_f32_e64 s[8:9], v14, v2
	s_nop 0
	v_mov_b32_dpp v5, v5 row_shr:1 row_mask:0xf bank_mask:0xf bound_ctrl:1
	v_addc_co_u32_e64 v8, s[0:1], 0, v5, vcc
	s_nop 1
	v_mov_b32_dpp v8, v8 row_shr:2 row_mask:0xf bank_mask:0xf bound_ctrl:1
	v_addc_co_u32_e32 v5, vcc, v8, v5, vcc
	v_cmp_gt_f32_e32 vcc, v7, v2
	s_nop 0
	v_add_u32_dpp v5, v5, v5 row_shr:4 row_mask:0xf bank_mask:0xf bound_ctrl:1
	s_nop 1
	v_add_u32_dpp v5, v5, v5 row_shr:8 row_mask:0xf bank_mask:0xf bound_ctrl:1
	ds_bpermute_b32 v8, v4, v5
	s_waitcnt lgkmcnt(0)
	v_cndmask_b32_e64 v3, 0, v8, s[2:3]
	v_cndmask_b32_e64 v8, 0, 1, vcc
	v_add_u32_e32 v3, v3, v5
	ds_bpermute_b32 v5, v9, v3
	v_mov_b32_dpp v8, v8 row_shr:1 row_mask:0xf bank_mask:0xf bound_ctrl:1
	v_addc_co_u32_e64 v10, s[0:1], 0, v8, vcc
	s_nop 1
	v_mov_b32_dpp v10, v10 row_shr:2 row_mask:0xf bank_mask:0xf bound_ctrl:1
	v_addc_co_u32_e32 v8, vcc, v10, v8, vcc
	v_cmp_lt_u32_e32 vcc, 31, v1
	s_nop 0
	v_add_u32_dpp v8, v8, v8 row_shr:4 row_mask:0xf bank_mask:0xf bound_ctrl:1
	s_waitcnt lgkmcnt(0)
	v_cndmask_b32_e32 v1, 0, v5, vcc
	v_add_u32_e32 v12, v3, v1
	v_add_u32_dpp v8, v8, v8 row_shr:8 row_mask:0xf bank_mask:0xf bound_ctrl:1
	ds_bpermute_b32 v10, v4, v8
	s_waitcnt lgkmcnt(0)
	v_cndmask_b32_e64 v5, 0, v10, s[2:3]
	v_cndmask_b32_e64 v10, 0, 1, s[8:9]
	v_add_u32_e32 v5, v5, v8
	ds_bpermute_b32 v8, v9, v5
	v_mov_b32_dpp v10, v10 row_shr:1 row_mask:0xf bank_mask:0xf bound_ctrl:1
	v_addc_co_u32_e64 v11, s[0:1], 0, v10, s[8:9]
	s_waitcnt lgkmcnt(0)
	v_cndmask_b32_e32 v1, 0, v8, vcc
	v_mov_b32_dpp v11, v11 row_shr:2 row_mask:0xf bank_mask:0xf bound_ctrl:1
	v_addc_co_u32_e64 v10, s[0:1], v11, v10, s[8:9]
	v_readlane_b32 s0, v12, 63
	s_nop 0
	v_add_u32_dpp v10, v10, v10 row_shr:4 row_mask:0xf bank_mask:0xf bound_ctrl:1
	v_add3_u32 v1, v5, s0, v1
	v_cmp_eq_f32_e64 s[0:1], v7, v2
	v_add_u32_dpp v10, v10, v10 row_shr:8 row_mask:0xf bank_mask:0xf bound_ctrl:1
	ds_bpermute_b32 v11, v4, v10
	v_cndmask_b32_e64 v8, 0, 1, s[0:1]
	s_waitcnt lgkmcnt(0)
	v_cndmask_b32_e64 v3, 0, v11, s[2:3]
	v_mov_b32_dpp v8, v8 row_shr:1 row_mask:0xf bank_mask:0xf bound_ctrl:1
	v_add_u32_e32 v3, v3, v10
	v_addc_co_u32_e64 v10, s[10:11], 0, v8, s[0:1]
	ds_bpermute_b32 v5, v9, v3
	s_nop 0
	v_mov_b32_dpp v10, v10 row_shr:2 row_mask:0xf bank_mask:0xf bound_ctrl:1
	v_addc_co_u32_e64 v8, s[10:11], v10, v8, s[0:1]
	v_readlane_b32 s10, v1, 63
	s_nop 0
	v_add_u32_dpp v8, v8, v8 row_shr:4 row_mask:0xf bank_mask:0xf bound_ctrl:1
	s_waitcnt lgkmcnt(0)
	v_cndmask_b32_e32 v5, 0, v5, vcc
	v_add3_u32 v5, v3, s10, v5
	v_add_u32_dpp v8, v8, v8 row_shr:8 row_mask:0xf bank_mask:0xf bound_ctrl:1
	ds_bpermute_b32 v4, v4, v8
	v_readlane_b32 s10, v5, 63
	v_cndmask_b32_e64 v5, v12, v5, s[8:9]
	v_cmp_ge_i32_e64 s[8:9], s17, v5
	s_waitcnt lgkmcnt(0)
	v_cndmask_b32_e64 v3, 0, v4, s[2:3]
	v_add_u32_e32 v3, v3, v8
	ds_bpermute_b32 v4, v9, v3
	v_cmp_ge_f32_e64 s[2:3], v14, v2
	s_and_b64 s[8:9], s[2:3], s[8:9]
	s_and_saveexec_b64 s[2:3], s[8:9]
	s_cbranch_execz .LBB109_4
; %bb.3:
	v_lshl_add_u32 v5, v5, 2, -4
	v_add_u32_e32 v8, s16, v5
	v_add_u32_e32 v5, s13, v5
	ds_write_b32 v5, v13
	ds_write_b32 v8, v14
.LBB109_4:
	s_or_b64 exec, exec, s[2:3]
	s_waitcnt lgkmcnt(0)
	v_cndmask_b32_e32 v4, 0, v4, vcc
	v_add3_u32 v3, v3, s10, v4
	v_cndmask_b32_e64 v1, v1, v3, s[0:1]
	v_cmp_ge_f32_e32 vcc, v7, v2
	v_cmp_ge_i32_e64 s[0:1], s17, v1
	s_and_b64 s[2:3], vcc, s[0:1]
	s_and_saveexec_b64 s[0:1], s[2:3]
	s_cbranch_execz .LBB109_6
; %bb.5:
	v_lshl_add_u32 v1, v1, 2, -4
	v_add_u32_e32 v2, s16, v1
	v_add_u32_e32 v1, s13, v1
	ds_write_b32 v1, v6
	ds_write_b32 v2, v7
.LBB109_6:
	s_or_b64 exec, exec, s[0:1]
	v_cmp_gt_u32_e32 vcc, s17, v0
	s_waitcnt lgkmcnt(0)
	s_barrier
	s_and_saveexec_b64 s[0:1], vcc
	s_cbranch_execz .LBB109_8
; %bb.7:
	v_lshlrev_b32_e32 v4, 2, v0
	v_add_u32_e32 v0, s7, v4
	ds_read_b32 v0, v0 offset:64
	v_mov_b32_e32 v5, s15
	s_load_dwordx2 s[8:9], s[4:5], 0x20
	s_load_dwordx4 s[0:3], s[4:5], 0x10
	s_ashr_i32 s4, s6, 31
	s_waitcnt lgkmcnt(0)
	v_ashrrev_i32_e32 v1, 31, v0
	v_lshlrev_b64 v[2:3], 2, v[0:1]
	v_add_co_u32_e32 v2, vcc, s14, v2
	v_addc_co_u32_e32 v3, vcc, v5, v3, vcc
	global_load_dword v1, v[2:3], off
	v_add_u32_e32 v2, s12, v4
	s_mul_i32 s5, s6, s9
	s_mul_hi_u32 s7, s6, s8
	ds_read_b32 v2, v2 offset:64
	s_mul_i32 s9, s4, s8
	s_add_i32 s5, s7, s5
	s_mul_i32 s4, s6, s8
	s_add_i32 s5, s5, s9
	s_lshl_b64 s[4:5], s[4:5], 2
	s_add_u32 s0, s0, s4
	s_addc_u32 s1, s1, s5
	s_add_u32 s2, s2, s4
	s_addc_u32 s3, s3, s5
	s_waitcnt vmcnt(0) lgkmcnt(0)
	v_sub_f32_e32 v1, v2, v1
	global_store_dword v4, v1, s[0:1]
	global_store_dword v4, v0, s[2:3]
.LBB109_8:
	s_endpgm
	.section	.rodata,"a",@progbits
	.p2align	6, 0x0
	.amdhsa_kernel _ZN5aiter28grouped_topk_opt_sort_kernelIfDv2_fLi8ELb0ELb1ELb0EEEvPT_PKS2_PfPimiiiif
		.amdhsa_group_segment_fixed_size 0
		.amdhsa_private_segment_fixed_size 0
		.amdhsa_kernarg_size 60
		.amdhsa_user_sgpr_count 6
		.amdhsa_user_sgpr_private_segment_buffer 1
		.amdhsa_user_sgpr_dispatch_ptr 0
		.amdhsa_user_sgpr_queue_ptr 0
		.amdhsa_user_sgpr_kernarg_segment_ptr 1
		.amdhsa_user_sgpr_dispatch_id 0
		.amdhsa_user_sgpr_flat_scratch_init 0
		.amdhsa_user_sgpr_kernarg_preload_length 0
		.amdhsa_user_sgpr_kernarg_preload_offset 0
		.amdhsa_user_sgpr_private_segment_size 0
		.amdhsa_uses_dynamic_stack 0
		.amdhsa_system_sgpr_private_segment_wavefront_offset 0
		.amdhsa_system_sgpr_workgroup_id_x 1
		.amdhsa_system_sgpr_workgroup_id_y 0
		.amdhsa_system_sgpr_workgroup_id_z 0
		.amdhsa_system_sgpr_workgroup_info 0
		.amdhsa_system_vgpr_workitem_id 0
		.amdhsa_next_free_vgpr 28
		.amdhsa_next_free_sgpr 20
		.amdhsa_accum_offset 28
		.amdhsa_reserve_vcc 1
		.amdhsa_reserve_flat_scratch 0
		.amdhsa_float_round_mode_32 0
		.amdhsa_float_round_mode_16_64 0
		.amdhsa_float_denorm_mode_32 3
		.amdhsa_float_denorm_mode_16_64 3
		.amdhsa_dx10_clamp 1
		.amdhsa_ieee_mode 1
		.amdhsa_fp16_overflow 0
		.amdhsa_tg_split 0
		.amdhsa_exception_fp_ieee_invalid_op 0
		.amdhsa_exception_fp_denorm_src 0
		.amdhsa_exception_fp_ieee_div_zero 0
		.amdhsa_exception_fp_ieee_overflow 0
		.amdhsa_exception_fp_ieee_underflow 0
		.amdhsa_exception_fp_ieee_inexact 0
		.amdhsa_exception_int_div_zero 0
	.end_amdhsa_kernel
	.section	.text._ZN5aiter28grouped_topk_opt_sort_kernelIfDv2_fLi8ELb0ELb1ELb0EEEvPT_PKS2_PfPimiiiif,"axG",@progbits,_ZN5aiter28grouped_topk_opt_sort_kernelIfDv2_fLi8ELb0ELb1ELb0EEEvPT_PKS2_PfPimiiiif,comdat
.Lfunc_end109:
	.size	_ZN5aiter28grouped_topk_opt_sort_kernelIfDv2_fLi8ELb0ELb1ELb0EEEvPT_PKS2_PfPimiiiif, .Lfunc_end109-_ZN5aiter28grouped_topk_opt_sort_kernelIfDv2_fLi8ELb0ELb1ELb0EEEvPT_PKS2_PfPimiiiif
                                        ; -- End function
	.section	.AMDGPU.csdata,"",@progbits
; Kernel info:
; codeLenInByte = 2824
; NumSgprs: 24
; NumVgprs: 28
; NumAgprs: 0
; TotalNumVgprs: 28
; ScratchSize: 0
; MemoryBound: 0
; FloatMode: 240
; IeeeMode: 1
; LDSByteSize: 0 bytes/workgroup (compile time only)
; SGPRBlocks: 2
; VGPRBlocks: 3
; NumSGPRsForWavesPerEU: 24
; NumVGPRsForWavesPerEU: 28
; AccumOffset: 28
; Occupancy: 8
; WaveLimiterHint : 0
; COMPUTE_PGM_RSRC2:SCRATCH_EN: 0
; COMPUTE_PGM_RSRC2:USER_SGPR: 6
; COMPUTE_PGM_RSRC2:TRAP_HANDLER: 0
; COMPUTE_PGM_RSRC2:TGID_X_EN: 1
; COMPUTE_PGM_RSRC2:TGID_Y_EN: 0
; COMPUTE_PGM_RSRC2:TGID_Z_EN: 0
; COMPUTE_PGM_RSRC2:TIDIG_COMP_CNT: 0
; COMPUTE_PGM_RSRC3_GFX90A:ACCUM_OFFSET: 6
; COMPUTE_PGM_RSRC3_GFX90A:TG_SPLIT: 0
	.section	.text._ZN5aiter28grouped_topk_opt_sort_kernelIN3c104HalfEDv2_fLi8ELb0ELb1ELb0EEEvPT_PKS4_PfPimiiiif,"axG",@progbits,_ZN5aiter28grouped_topk_opt_sort_kernelIN3c104HalfEDv2_fLi8ELb0ELb1ELb0EEEvPT_PKS4_PfPimiiiif,comdat
	.protected	_ZN5aiter28grouped_topk_opt_sort_kernelIN3c104HalfEDv2_fLi8ELb0ELb1ELb0EEEvPT_PKS4_PfPimiiiif ; -- Begin function _ZN5aiter28grouped_topk_opt_sort_kernelIN3c104HalfEDv2_fLi8ELb0ELb1ELb0EEEvPT_PKS4_PfPimiiiif
	.globl	_ZN5aiter28grouped_topk_opt_sort_kernelIN3c104HalfEDv2_fLi8ELb0ELb1ELb0EEEvPT_PKS4_PfPimiiiif
	.p2align	8
	.type	_ZN5aiter28grouped_topk_opt_sort_kernelIN3c104HalfEDv2_fLi8ELb0ELb1ELb0EEEvPT_PKS4_PfPimiiiif,@function
_ZN5aiter28grouped_topk_opt_sort_kernelIN3c104HalfEDv2_fLi8ELb0ELb1ELb0EEEvPT_PKS4_PfPimiiiif: ; @_ZN5aiter28grouped_topk_opt_sort_kernelIN3c104HalfEDv2_fLi8ELb0ELb1ELb0EEEvPT_PKS4_PfPimiiiif
; %bb.0:
	s_load_dwordx4 s[16:19], s[4:5], 0x28
	s_load_dwordx4 s[12:15], s[4:5], 0x0
	v_lshlrev_b32_e32 v1, 2, v0
	v_bfe_u32 v12, v0, 1, 1
	v_and_b32_e32 v9, 1, v0
	s_waitcnt lgkmcnt(0)
	s_lshl_b32 s1, s16, 2
	s_mul_i32 s0, s6, s16
	s_add_i32 s7, s1, 0
	s_ashr_i32 s1, s0, 31
	s_lshl_b64 s[0:1], s[0:1], 1
	s_add_u32 s0, s12, s0
	s_addc_u32 s1, s13, s1
	global_load_dword v7, v1, s[0:1]
	global_load_dword v8, v1, s[14:15]
	s_mov_b32 s0, 0x652b82fe
	s_mov_b32 s1, 0xbff71547
	v_mov_b32_e32 v2, 0xff800000
	v_mov_b32_e32 v4, 0x7f800000
	v_bfe_u32 v5, v0, 2, 1
	v_cmp_eq_u32_e32 vcc, v9, v12
	v_cndmask_b32_e32 v16, v2, v4, vcc
	v_cmp_eq_u32_e32 vcc, v12, v5
	s_mov_b32 s2, 0xc2fc0000
	v_cndmask_b32_e32 v17, v2, v4, vcc
	v_cmp_eq_u32_e32 vcc, v9, v5
	v_mov_b32_e32 v13, 0x42800000
	v_cndmask_b32_e32 v18, v2, v4, vcc
	v_mov_b32_e32 v19, 0x1f800000
	v_and_b32_e32 v23, 4, v0
	s_mov_b32 s3, 0xff800000
	v_mbcnt_lo_u32_b32 v3, -1, 0
	v_mbcnt_hi_u32_b32 v3, -1, v3
	v_lshlrev_b32_e32 v22, 3, v0
	v_and_b32_e32 v6, 64, v3
	s_waitcnt vmcnt(1)
	v_cvt_f32_f16_e32 v14, v7
	v_cvt_f32_f16_sdwa v7, v7 dst_sel:DWORD dst_unused:UNUSED_PAD src0_sel:WORD_1
	s_waitcnt vmcnt(0)
	v_cvt_f32_f16_e32 v10, v8
	v_cvt_f32_f16_sdwa v11, v8 dst_sel:DWORD dst_unused:UNUSED_PAD src0_sel:WORD_1
	v_cvt_f64_f32_e32 v[14:15], v14
	v_cvt_f64_f32_e32 v[20:21], v7
	v_mul_f64 v[14:15], v[14:15], s[0:1]
	v_mul_f64 v[20:21], v[20:21], s[0:1]
	v_cvt_f32_f64_e32 v7, v[14:15]
	v_cvt_f32_f64_e32 v8, v[20:21]
	v_cmp_gt_f32_e32 vcc, s2, v7
	v_cmp_gt_f32_e64 s[0:1], s2, v8
	v_cndmask_b32_e32 v14, 0, v13, vcc
	v_cndmask_b32_e64 v13, 0, v13, s[0:1]
	v_add_f32_e32 v7, v7, v14
	v_add_f32_e32 v8, v8, v13
	v_exp_f32_e32 v7, v7
	v_exp_f32_e32 v8, v8
	v_cndmask_b32_e32 v13, 1.0, v19, vcc
	v_cndmask_b32_e64 v14, 1.0, v19, s[0:1]
	v_fma_f32 v7, v7, v13, 1.0
	v_fma_f32 v8, v8, v14, 1.0
	v_rcp_f32_e32 v14, v7
	v_rcp_f32_e32 v15, v8
	v_cmp_eq_u32_e32 vcc, 0, v23
	v_cndmask_b32_e32 v7, v2, v4, vcc
	v_and_or_b32 v8, v22, 56, v6
	v_pk_add_f32 v[10:11], v[14:15], v[10:11]
	v_cmp_o_f32_e32 vcc, v11, v11
	v_cndmask_b32_e32 v15, v2, v11, vcc
	v_cmp_o_f32_e32 vcc, v10, v10
	v_cndmask_b32_e32 v14, v2, v10, vcc
	v_med3_f32 v10, v15, v14, s3
	v_max_f32_e32 v11, v15, v14
	v_lshlrev_b32_e32 v8, 2, v8
	v_mov_b32_dpp v19, v10 quad_perm:[1,0,3,2] row_mask:0xf bank_mask:0xf bound_ctrl:1
	v_max_f32_e32 v19, v19, v19
	v_mov_b32_dpp v13, v11 quad_perm:[1,0,3,2] row_mask:0xf bank_mask:0xf bound_ctrl:1
	v_max_f32_e32 v10, v19, v10
	v_med3_f32 v10, v13, v11, v10
	v_max_f32_e32 v20, v13, v13
	v_max_f32_e32 v19, v20, v11
	v_mov_b32_dpp v13, v10 quad_perm:[2,3,0,1] row_mask:0xf bank_mask:0xf bound_ctrl:1
	v_max_f32_e32 v13, v13, v13
	v_mov_b32_dpp v11, v19 quad_perm:[2,3,0,1] row_mask:0xf bank_mask:0xf bound_ctrl:1
	v_max_f32_e32 v10, v13, v10
	v_max_f32_e32 v20, v11, v11
	v_med3_f32 v10, v11, v19, v10
	v_max_f32_e32 v20, v20, v19
	v_cmp_eq_u32_e32 vcc, 0, v12
	v_mov_b32_dpp v19, v10 row_half_mirror row_mask:0xf bank_mask:0xf bound_ctrl:1
	v_mov_b32_dpp v13, v20 row_half_mirror row_mask:0xf bank_mask:0xf bound_ctrl:1
	v_max_f32_e32 v19, v19, v19
	v_max_f32_e32 v11, v13, v13
	;; [unrolled: 1-line block ×4, first 2 shown]
	v_med3_f32 v10, v13, v20, v10
	v_add_f32_e32 v10, v11, v10
	ds_bpermute_b32 v8, v8, v10
	v_cndmask_b32_e32 v10, v2, v4, vcc
	v_cmp_eq_u32_e32 vcc, 0, v9
	v_cndmask_b32_e32 v11, v2, v4, vcc
	v_lshlrev_b32_e32 v13, 2, v6
	s_waitcnt lgkmcnt(0)
	v_mov_b32_dpp v19, v8 quad_perm:[1,0,3,2] row_mask:0xf bank_mask:0xf bound_ctrl:1
	v_med3_f32 v19, v8, v19, v16
	s_nop 1
	v_mov_b32_dpp v20, v19 quad_perm:[2,3,0,1] row_mask:0xf bank_mask:0xf bound_ctrl:1
	v_med3_f32 v19, v19, v20, v17
	s_nop 1
	;; [unrolled: 3-line block ×3, first 2 shown]
	v_mov_b32_dpp v20, v19 row_shl:4 row_mask:0xf bank_mask:0x5 bound_ctrl:1
	s_nop 1
	v_mov_b32_dpp v20, v19 row_shr:4 row_mask:0xf bank_mask:0xa bound_ctrl:1
	v_med3_f32 v7, v19, v20, v7
	v_bfe_i32 v20, v3, 3, 1
	s_nop 0
	v_mov_b32_dpp v19, v7 quad_perm:[2,3,0,1] row_mask:0xf bank_mask:0xf bound_ctrl:1
	v_med3_f32 v7, v7, v19, v10
	s_nop 1
	v_mov_b32_dpp v19, v7 quad_perm:[1,0,3,2] row_mask:0xf bank_mask:0xf bound_ctrl:1
	v_med3_f32 v7, v7, v19, v11
	ds_bpermute_b32 v7, v13, v7 offset:12
	v_add_u32_e32 v19, 0, v22
	ds_write_b64 v19, v[14:15]
	s_waitcnt lgkmcnt(1)
	v_cmp_gt_f32_e32 vcc, v8, v7
	v_cndmask_b32_e64 v14, 0, 1, vcc
	v_cmp_eq_f32_e64 s[0:1], v8, v7
	v_cmp_ge_f32_e64 s[2:3], v8, v7
	v_mov_b32_dpp v7, v14 row_shr:1 row_mask:0xf bank_mask:0xf bound_ctrl:1
	v_addc_co_u32_e64 v14, s[8:9], 0, v7, vcc
	v_cndmask_b32_e64 v15, 0, 1, s[0:1]
	s_nop 0
	v_mov_b32_dpp v14, v14 row_shr:2 row_mask:0xf bank_mask:0xf bound_ctrl:1
	v_addc_co_u32_e32 v7, vcc, v14, v7, vcc
	v_mov_b32_dpp v8, v15 row_shr:1 row_mask:0xf bank_mask:0xf bound_ctrl:1
	v_addc_co_u32_e64 v15, s[8:9], 0, v8, s[0:1]
	v_add_u32_dpp v7, v7, v7 row_shr:4 row_mask:0xf bank_mask:0xf bound_ctrl:1
	s_nop 0
	v_mov_b32_dpp v15, v15 row_shr:2 row_mask:0xf bank_mask:0xf bound_ctrl:1
	v_addc_co_u32_e64 v8, vcc, v15, v8, s[0:1]
	v_add_u32_dpp v7, v7, v7 row_shr:8 row_mask:0xf bank_mask:0xf bound_ctrl:1
	s_nop 0
	v_add_u32_dpp v8, v8, v8 row_shr:4 row_mask:0xf bank_mask:0xf bound_ctrl:1
	v_and_b32_dpp v14, v7, v20 row_newbcast:7 row_mask:0xf bank_mask:0xf bound_ctrl:1
	v_sub_u32_e32 v7, v7, v14
	v_add_u32_dpp v8, v8, v8 row_shr:8 row_mask:0xf bank_mask:0xf bound_ctrl:1
	v_readlane_b32 s8, v7, 7
	s_nop 0
	v_and_b32_dpp v15, v8, v20 row_newbcast:7 row_mask:0xf bank_mask:0xf bound_ctrl:1
	v_add_u32_e32 v8, s8, v8
	v_sub_u32_e32 v8, v8, v15
	v_cndmask_b32_e64 v7, v7, v8, s[0:1]
	v_cmp_ge_i32_e32 vcc, s18, v7
	s_and_b64 s[0:1], s[2:3], vcc
	v_cmp_gt_u32_e32 vcc, 8, v0
	s_and_b64 s[2:3], vcc, s[0:1]
	s_and_saveexec_b64 s[0:1], s[2:3]
	s_cbranch_execz .LBB110_2
; %bb.1:
	v_lshl_add_u32 v7, v7, 2, s7
	ds_write_b32 v7, v0 offset:28
.LBB110_2:
	s_or_b64 exec, exec, s[0:1]
	v_lshrrev_b32_e32 v7, 3, v0
	v_and_b32_e32 v7, 0x7c, v7
	v_add_u32_e32 v7, s7, v7
	s_waitcnt lgkmcnt(0)
	s_barrier
	ds_read_b32 v7, v7 offset:32
	v_add_u32_e32 v8, 64, v0
	v_and_b32_e32 v19, 31, v0
	v_lshrrev_b32_e32 v8, 3, v8
	v_and_b32_e32 v8, 0xfc, v8
	s_waitcnt lgkmcnt(0)
	v_lshl_or_b32 v14, v7, 5, v19
	v_add_u32_e32 v8, s7, v8
	v_lshl_add_u32 v7, v14, 2, 0
	ds_read_b32 v8, v8 offset:32
	ds_read_b32 v15, v7
	v_bfe_u32 v22, v0, 3, 1
	v_cmp_eq_u32_e32 vcc, v5, v22
	v_cndmask_b32_e32 v23, v2, v4, vcc
	v_cmp_eq_u32_e32 vcc, v12, v22
	s_waitcnt lgkmcnt(0)
	v_mov_b32_dpp v20, v15 quad_perm:[1,0,3,2] row_mask:0xf bank_mask:0xf bound_ctrl:1
	v_med3_f32 v20, v15, v20, v16
	v_cndmask_b32_e32 v24, v2, v4, vcc
	v_cmp_eq_u32_e32 vcc, v9, v22
	v_mov_b32_dpp v21, v20 quad_perm:[2,3,0,1] row_mask:0xf bank_mask:0xf bound_ctrl:1
	v_med3_f32 v20, v20, v21, v17
	v_cndmask_b32_e32 v25, v2, v4, vcc
	v_bfe_u32 v26, v0, 4, 1
	v_mov_b32_dpp v21, v20 quad_perm:[1,0,3,2] row_mask:0xf bank_mask:0xf bound_ctrl:1
	v_med3_f32 v20, v20, v21, v18
	v_cmp_eq_u32_e32 vcc, v22, v26
	v_cndmask_b32_e32 v27, v2, v4, vcc
	v_mov_b32_dpp v21, v20 row_shl:4 row_mask:0xf bank_mask:0x5 bound_ctrl:1
	v_lshl_or_b32 v7, v8, 5, v19
	v_lshl_add_u32 v8, v7, 2, 0
	v_mov_b32_dpp v21, v20 row_shr:4 row_mask:0xf bank_mask:0xa bound_ctrl:1
	v_med3_f32 v20, v20, v21, v23
	v_cmp_eq_u32_e32 vcc, v5, v26
	ds_read_b32 v8, v8
	v_mov_b32_dpp v21, v20 quad_perm:[2,3,0,1] row_mask:0xf bank_mask:0xf bound_ctrl:1
	v_med3_f32 v20, v20, v21, v24
	v_cndmask_b32_e32 v28, v2, v4, vcc
	v_cmp_eq_u32_e32 vcc, v12, v26
	v_mov_b32_dpp v21, v20 quad_perm:[1,0,3,2] row_mask:0xf bank_mask:0xf bound_ctrl:1
	v_med3_f32 v20, v20, v21, v25
	v_cndmask_b32_e32 v12, v2, v4, vcc
	v_cmp_eq_u32_e32 vcc, v9, v26
	v_mov_b32_dpp v21, v20 row_shl:8 row_mask:0xf bank_mask:0x3 bound_ctrl:1
	v_cndmask_b32_e32 v9, v2, v4, vcc
	v_cmp_gt_u32_e32 vcc, 32, v0
	v_mov_b32_dpp v21, v20 row_shr:8 row_mask:0xf bank_mask:0xc bound_ctrl:1
	v_med3_f32 v20, v20, v21, v27
	v_cmp_lt_u32_e64 s[2:3], 15, v3
	s_lshl_b32 s8, s17, 2
	v_mov_b32_dpp v21, v20 row_shl:4 row_mask:0xf bank_mask:0x5 bound_ctrl:1
	s_add_i32 s12, s7, s8
	s_add_i32 s13, s7, 64
	v_mov_b32_dpp v21, v20 row_shr:4 row_mask:0xf bank_mask:0xa bound_ctrl:1
	v_med3_f32 v20, v20, v21, v28
	s_add_i32 s16, s12, 64
	s_nop 0
	v_mov_b32_dpp v21, v20 quad_perm:[2,3,0,1] row_mask:0xf bank_mask:0xf bound_ctrl:1
	v_med3_f32 v20, v20, v21, v12
	s_nop 1
	v_mov_b32_dpp v21, v20 quad_perm:[1,0,3,2] row_mask:0xf bank_mask:0xf bound_ctrl:1
	v_med3_f32 v20, v20, v21, v9
	s_waitcnt lgkmcnt(0)
	v_mov_b32_dpp v21, v8 quad_perm:[1,0,3,2] row_mask:0xf bank_mask:0xf bound_ctrl:1
	v_med3_f32 v16, v8, v21, v16
	s_nop 1
	v_mov_b32_dpp v21, v16 quad_perm:[2,3,0,1] row_mask:0xf bank_mask:0xf bound_ctrl:1
	v_med3_f32 v16, v16, v21, v17
	s_nop 1
	;; [unrolled: 3-line block ×3, first 2 shown]
	v_mov_b32_dpp v17, v16 row_shl:4 row_mask:0xf bank_mask:0x5 bound_ctrl:1
	s_nop 1
	v_mov_b32_dpp v17, v16 row_shr:4 row_mask:0xf bank_mask:0xa bound_ctrl:1
	v_med3_f32 v16, v16, v17, v23
	s_nop 1
	v_mov_b32_dpp v17, v16 quad_perm:[2,3,0,1] row_mask:0xf bank_mask:0xf bound_ctrl:1
	v_med3_f32 v16, v16, v17, v24
	s_nop 1
	v_mov_b32_dpp v17, v16 quad_perm:[1,0,3,2] row_mask:0xf bank_mask:0xf bound_ctrl:1
	v_med3_f32 v16, v16, v17, v25
	s_nop 1
	v_mov_b32_dpp v17, v16 row_shl:8 row_mask:0xf bank_mask:0x3 bound_ctrl:1
	s_nop 1
	v_mov_b32_dpp v17, v16 row_shr:8 row_mask:0xf bank_mask:0xc bound_ctrl:1
	v_med3_f32 v16, v16, v17, v27
	s_nop 1
	v_mov_b32_dpp v17, v16 row_shl:4 row_mask:0xf bank_mask:0x5 bound_ctrl:1
	s_nop 1
	v_mov_b32_dpp v17, v16 row_shr:4 row_mask:0xf bank_mask:0xa bound_ctrl:1
	v_med3_f32 v16, v16, v17, v28
	s_nop 1
	v_mov_b32_dpp v17, v16 quad_perm:[2,3,0,1] row_mask:0xf bank_mask:0xf bound_ctrl:1
	v_med3_f32 v16, v16, v17, v12
	s_nop 1
	v_mov_b32_dpp v17, v16 quad_perm:[1,0,3,2] row_mask:0xf bank_mask:0xf bound_ctrl:1
	v_med3_f32 v16, v16, v17, v9
	v_lshlrev_b32_e32 v17, 1, v0
	v_bfi_b32 v18, 48, v17, v19
	v_or_b32_e32 v18, v6, v18
	v_lshlrev_b32_e32 v18, 2, v18
	ds_bpermute_b32 v20, v18, v20
	ds_bpermute_b32 v16, v18, v16
	v_xor_b32_e32 v17, v19, v17
	v_and_b32_e32 v17, 48, v17
	s_waitcnt lgkmcnt(0)
	v_cndmask_b32_e32 v16, v16, v20, vcc
	s_nop 1
	v_mov_b32_dpp v18, v16 row_shl:8 row_mask:0xf bank_mask:0x3 bound_ctrl:1
	v_cmp_eq_u32_e32 vcc, 0, v22
	s_nop 0
	v_mov_b32_dpp v18, v16 row_shr:8 row_mask:0xf bank_mask:0xc bound_ctrl:1
	v_med3_f32 v16, v16, v18, v27
	s_nop 1
	v_mov_b32_dpp v18, v16 row_shl:4 row_mask:0xf bank_mask:0x5 bound_ctrl:1
	s_nop 1
	v_mov_b32_dpp v18, v16 row_shr:4 row_mask:0xf bank_mask:0xa bound_ctrl:1
	v_med3_f32 v16, v16, v18, v28
	s_nop 1
	v_mov_b32_dpp v18, v16 quad_perm:[2,3,0,1] row_mask:0xf bank_mask:0xf bound_ctrl:1
	v_med3_f32 v16, v16, v18, v12
	s_nop 1
	v_mov_b32_dpp v18, v16 quad_perm:[1,0,3,2] row_mask:0xf bank_mask:0xf bound_ctrl:1
	v_med3_f32 v16, v16, v18, v9
	v_and_b32_e32 v18, 63, v0
	v_xor_b32_e32 v17, v17, v18
	v_or_b32_e32 v6, v6, v17
	v_lshlrev_b32_e32 v6, 2, v6
	ds_bpermute_b32 v16, v6, v16
	s_waitcnt lgkmcnt(0)
	s_nop 0
	v_mov_b32_dpp v17, v16 row_shl:8 row_mask:0xf bank_mask:0x3 bound_ctrl:1
	s_nop 1
	v_mov_b32_dpp v17, v16 row_shr:8 row_mask:0xf bank_mask:0xc bound_ctrl:1
	v_med3_f32 v16, v16, v17, v27
	s_nop 1
	v_mov_b32_dpp v17, v16 row_shl:4 row_mask:0xf bank_mask:0x5 bound_ctrl:1
	s_nop 1
	v_mov_b32_dpp v17, v16 row_shr:4 row_mask:0xf bank_mask:0xa bound_ctrl:1
	v_med3_f32 v16, v16, v17, v28
	s_nop 1
	v_mov_b32_dpp v17, v16 quad_perm:[2,3,0,1] row_mask:0xf bank_mask:0xf bound_ctrl:1
	v_med3_f32 v12, v16, v17, v12
	s_nop 1
	v_mov_b32_dpp v16, v12 quad_perm:[1,0,3,2] row_mask:0xf bank_mask:0xf bound_ctrl:1
	v_med3_f32 v9, v12, v16, v9
	ds_bpermute_b32 v6, v6, v9
	v_cndmask_b32_e32 v12, v2, v4, vcc
	v_cmp_eq_u32_e32 vcc, 0, v5
	v_cndmask_b32_e32 v2, v2, v4, vcc
	s_waitcnt lgkmcnt(0)
	v_mov_b32_dpp v9, v6 row_shl:8 row_mask:0xf bank_mask:0x3 bound_ctrl:1
	s_nop 1
	v_mov_b32_dpp v9, v6 row_shr:8 row_mask:0xf bank_mask:0xc bound_ctrl:1
	v_med3_f32 v6, v6, v9, v12
	s_nop 1
	v_mov_b32_dpp v9, v6 row_shl:4 row_mask:0xf bank_mask:0x5 bound_ctrl:1
	s_nop 1
	v_mov_b32_dpp v9, v6 row_shr:4 row_mask:0xf bank_mask:0xa bound_ctrl:1
	v_med3_f32 v2, v6, v9, v2
	s_nop 1
	v_mov_b32_dpp v4, v2 quad_perm:[2,3,0,1] row_mask:0xf bank_mask:0xf bound_ctrl:1
	v_med3_f32 v2, v2, v4, v10
	s_nop 1
	v_mov_b32_dpp v4, v2 quad_perm:[1,0,3,2] row_mask:0xf bank_mask:0xf bound_ctrl:1
	v_med3_f32 v2, v2, v4, v11
	ds_bpermute_b32 v2, v13, v2 offset:28
	v_lshlrev_b32_e32 v4, 2, v3
	v_and_b32_e32 v4, 0xc0, v4
	v_add_u32_e32 v5, -4, v4
	v_add_u32_e32 v10, 0xffffffbc, v4
	s_waitcnt lgkmcnt(0)
	v_cmp_gt_f32_e32 vcc, v15, v2
	v_cndmask_b32_e64 v6, 0, 1, vcc
	v_cmp_eq_f32_e64 s[8:9], v15, v2
	s_nop 0
	v_mov_b32_dpp v6, v6 row_shr:1 row_mask:0xf bank_mask:0xf bound_ctrl:1
	v_addc_co_u32_e64 v9, s[0:1], 0, v6, vcc
	s_nop 1
	v_mov_b32_dpp v9, v9 row_shr:2 row_mask:0xf bank_mask:0xf bound_ctrl:1
	v_addc_co_u32_e32 v6, vcc, v9, v6, vcc
	v_cmp_gt_f32_e32 vcc, v8, v2
	s_nop 0
	v_add_u32_dpp v6, v6, v6 row_shr:4 row_mask:0xf bank_mask:0xf bound_ctrl:1
	s_nop 1
	v_add_u32_dpp v6, v6, v6 row_shr:8 row_mask:0xf bank_mask:0xf bound_ctrl:1
	ds_bpermute_b32 v9, v5, v6
	s_waitcnt lgkmcnt(0)
	v_cndmask_b32_e64 v4, 0, v9, s[2:3]
	v_cndmask_b32_e64 v9, 0, 1, vcc
	v_add_u32_e32 v4, v4, v6
	ds_bpermute_b32 v6, v10, v4
	v_mov_b32_dpp v9, v9 row_shr:1 row_mask:0xf bank_mask:0xf bound_ctrl:1
	v_addc_co_u32_e64 v11, s[0:1], 0, v9, vcc
	s_nop 1
	v_mov_b32_dpp v11, v11 row_shr:2 row_mask:0xf bank_mask:0xf bound_ctrl:1
	v_addc_co_u32_e32 v9, vcc, v11, v9, vcc
	v_cmp_lt_u32_e32 vcc, 31, v3
	s_nop 0
	v_add_u32_dpp v9, v9, v9 row_shr:4 row_mask:0xf bank_mask:0xf bound_ctrl:1
	s_waitcnt lgkmcnt(0)
	v_cndmask_b32_e32 v3, 0, v6, vcc
	v_add_u32_e32 v13, v4, v3
	v_add_u32_dpp v9, v9, v9 row_shr:8 row_mask:0xf bank_mask:0xf bound_ctrl:1
	ds_bpermute_b32 v11, v5, v9
	s_waitcnt lgkmcnt(0)
	v_cndmask_b32_e64 v6, 0, v11, s[2:3]
	v_cndmask_b32_e64 v11, 0, 1, s[8:9]
	v_add_u32_e32 v6, v6, v9
	ds_bpermute_b32 v9, v10, v6
	v_mov_b32_dpp v11, v11 row_shr:1 row_mask:0xf bank_mask:0xf bound_ctrl:1
	v_addc_co_u32_e64 v12, s[0:1], 0, v11, s[8:9]
	s_waitcnt lgkmcnt(0)
	v_cndmask_b32_e32 v3, 0, v9, vcc
	v_mov_b32_dpp v12, v12 row_shr:2 row_mask:0xf bank_mask:0xf bound_ctrl:1
	v_addc_co_u32_e64 v11, s[0:1], v12, v11, s[8:9]
	v_readlane_b32 s0, v13, 63
	s_nop 0
	v_add_u32_dpp v11, v11, v11 row_shr:4 row_mask:0xf bank_mask:0xf bound_ctrl:1
	v_add3_u32 v3, v6, s0, v3
	v_cmp_eq_f32_e64 s[0:1], v8, v2
	v_add_u32_dpp v11, v11, v11 row_shr:8 row_mask:0xf bank_mask:0xf bound_ctrl:1
	ds_bpermute_b32 v12, v5, v11
	v_cndmask_b32_e64 v9, 0, 1, s[0:1]
	s_waitcnt lgkmcnt(0)
	v_cndmask_b32_e64 v4, 0, v12, s[2:3]
	v_mov_b32_dpp v9, v9 row_shr:1 row_mask:0xf bank_mask:0xf bound_ctrl:1
	v_add_u32_e32 v4, v4, v11
	v_addc_co_u32_e64 v11, s[10:11], 0, v9, s[0:1]
	ds_bpermute_b32 v6, v10, v4
	s_nop 0
	v_mov_b32_dpp v11, v11 row_shr:2 row_mask:0xf bank_mask:0xf bound_ctrl:1
	v_addc_co_u32_e64 v9, s[10:11], v11, v9, s[0:1]
	v_readlane_b32 s10, v3, 63
	s_nop 0
	v_add_u32_dpp v9, v9, v9 row_shr:4 row_mask:0xf bank_mask:0xf bound_ctrl:1
	s_waitcnt lgkmcnt(0)
	v_cndmask_b32_e32 v6, 0, v6, vcc
	v_add3_u32 v6, v4, s10, v6
	v_add_u32_dpp v9, v9, v9 row_shr:8 row_mask:0xf bank_mask:0xf bound_ctrl:1
	ds_bpermute_b32 v5, v5, v9
	v_readlane_b32 s10, v6, 63
	v_cndmask_b32_e64 v6, v13, v6, s[8:9]
	v_cmp_ge_i32_e64 s[8:9], s17, v6
	s_waitcnt lgkmcnt(0)
	v_cndmask_b32_e64 v4, 0, v5, s[2:3]
	v_add_u32_e32 v4, v4, v9
	ds_bpermute_b32 v5, v10, v4
	v_cmp_ge_f32_e64 s[2:3], v15, v2
	s_and_b64 s[8:9], s[2:3], s[8:9]
	s_and_saveexec_b64 s[2:3], s[8:9]
	s_cbranch_execz .LBB110_4
; %bb.3:
	v_lshl_add_u32 v6, v6, 2, -4
	v_add_u32_e32 v9, s16, v6
	v_add_u32_e32 v6, s13, v6
	ds_write_b32 v6, v14
	ds_write_b32 v9, v15
.LBB110_4:
	s_or_b64 exec, exec, s[2:3]
	s_waitcnt lgkmcnt(0)
	v_cndmask_b32_e32 v5, 0, v5, vcc
	v_add3_u32 v4, v4, s10, v5
	v_cndmask_b32_e64 v3, v3, v4, s[0:1]
	v_cmp_ge_f32_e32 vcc, v8, v2
	v_cmp_ge_i32_e64 s[0:1], s17, v3
	s_and_b64 s[2:3], vcc, s[0:1]
	s_and_saveexec_b64 s[0:1], s[2:3]
	s_cbranch_execz .LBB110_6
; %bb.5:
	v_lshl_add_u32 v2, v3, 2, -4
	v_add_u32_e32 v3, s16, v2
	v_add_u32_e32 v2, s13, v2
	ds_write_b32 v2, v7
	ds_write_b32 v3, v8
.LBB110_6:
	s_or_b64 exec, exec, s[0:1]
	v_cmp_gt_u32_e32 vcc, s17, v0
	s_waitcnt lgkmcnt(0)
	s_barrier
	s_and_saveexec_b64 s[0:1], vcc
	s_cbranch_execz .LBB110_8
; %bb.7:
	v_add_u32_e32 v0, s7, v1
	ds_read_b32 v2, v0 offset:64
	v_mov_b32_e32 v0, s15
	s_load_dwordx2 s[8:9], s[4:5], 0x20
	s_load_dwordx4 s[0:3], s[4:5], 0x10
	s_ashr_i32 s4, s6, 31
	s_waitcnt lgkmcnt(0)
	v_ashrrev_i32_e32 v3, 31, v2
	v_lshlrev_b64 v[4:5], 1, v[2:3]
	v_add_co_u32_e32 v4, vcc, s14, v4
	v_addc_co_u32_e32 v5, vcc, v0, v5, vcc
	global_load_ushort v0, v[4:5], off
	v_add_u32_e32 v3, s12, v1
	s_mul_i32 s5, s6, s9
	s_mul_hi_u32 s7, s6, s8
	ds_read_b32 v3, v3 offset:64
	s_mul_i32 s9, s4, s8
	s_add_i32 s5, s7, s5
	s_mul_i32 s4, s6, s8
	s_add_i32 s5, s5, s9
	s_lshl_b64 s[4:5], s[4:5], 2
	s_add_u32 s0, s0, s4
	s_addc_u32 s1, s1, s5
	s_add_u32 s2, s2, s4
	s_addc_u32 s3, s3, s5
	s_waitcnt vmcnt(0)
	v_cvt_f32_f16_e32 v0, v0
	s_waitcnt lgkmcnt(0)
	v_sub_f32_e32 v0, v3, v0
	global_store_dword v1, v0, s[0:1]
	global_store_dword v1, v2, s[2:3]
.LBB110_8:
	s_endpgm
	.section	.rodata,"a",@progbits
	.p2align	6, 0x0
	.amdhsa_kernel _ZN5aiter28grouped_topk_opt_sort_kernelIN3c104HalfEDv2_fLi8ELb0ELb1ELb0EEEvPT_PKS4_PfPimiiiif
		.amdhsa_group_segment_fixed_size 0
		.amdhsa_private_segment_fixed_size 0
		.amdhsa_kernarg_size 60
		.amdhsa_user_sgpr_count 6
		.amdhsa_user_sgpr_private_segment_buffer 1
		.amdhsa_user_sgpr_dispatch_ptr 0
		.amdhsa_user_sgpr_queue_ptr 0
		.amdhsa_user_sgpr_kernarg_segment_ptr 1
		.amdhsa_user_sgpr_dispatch_id 0
		.amdhsa_user_sgpr_flat_scratch_init 0
		.amdhsa_user_sgpr_kernarg_preload_length 0
		.amdhsa_user_sgpr_kernarg_preload_offset 0
		.amdhsa_user_sgpr_private_segment_size 0
		.amdhsa_uses_dynamic_stack 0
		.amdhsa_system_sgpr_private_segment_wavefront_offset 0
		.amdhsa_system_sgpr_workgroup_id_x 1
		.amdhsa_system_sgpr_workgroup_id_y 0
		.amdhsa_system_sgpr_workgroup_id_z 0
		.amdhsa_system_sgpr_workgroup_info 0
		.amdhsa_system_vgpr_workitem_id 0
		.amdhsa_next_free_vgpr 29
		.amdhsa_next_free_sgpr 20
		.amdhsa_accum_offset 32
		.amdhsa_reserve_vcc 1
		.amdhsa_reserve_flat_scratch 0
		.amdhsa_float_round_mode_32 0
		.amdhsa_float_round_mode_16_64 0
		.amdhsa_float_denorm_mode_32 3
		.amdhsa_float_denorm_mode_16_64 3
		.amdhsa_dx10_clamp 1
		.amdhsa_ieee_mode 1
		.amdhsa_fp16_overflow 0
		.amdhsa_tg_split 0
		.amdhsa_exception_fp_ieee_invalid_op 0
		.amdhsa_exception_fp_denorm_src 0
		.amdhsa_exception_fp_ieee_div_zero 0
		.amdhsa_exception_fp_ieee_overflow 0
		.amdhsa_exception_fp_ieee_underflow 0
		.amdhsa_exception_fp_ieee_inexact 0
		.amdhsa_exception_int_div_zero 0
	.end_amdhsa_kernel
	.section	.text._ZN5aiter28grouped_topk_opt_sort_kernelIN3c104HalfEDv2_fLi8ELb0ELb1ELb0EEEvPT_PKS4_PfPimiiiif,"axG",@progbits,_ZN5aiter28grouped_topk_opt_sort_kernelIN3c104HalfEDv2_fLi8ELb0ELb1ELb0EEEvPT_PKS4_PfPimiiiif,comdat
.Lfunc_end110:
	.size	_ZN5aiter28grouped_topk_opt_sort_kernelIN3c104HalfEDv2_fLi8ELb0ELb1ELb0EEEvPT_PKS4_PfPimiiiif, .Lfunc_end110-_ZN5aiter28grouped_topk_opt_sort_kernelIN3c104HalfEDv2_fLi8ELb0ELb1ELb0EEEvPT_PKS4_PfPimiiiif
                                        ; -- End function
	.section	.AMDGPU.csdata,"",@progbits
; Kernel info:
; codeLenInByte = 2860
; NumSgprs: 24
; NumVgprs: 29
; NumAgprs: 0
; TotalNumVgprs: 29
; ScratchSize: 0
; MemoryBound: 0
; FloatMode: 240
; IeeeMode: 1
; LDSByteSize: 0 bytes/workgroup (compile time only)
; SGPRBlocks: 2
; VGPRBlocks: 3
; NumSGPRsForWavesPerEU: 24
; NumVGPRsForWavesPerEU: 29
; AccumOffset: 32
; Occupancy: 8
; WaveLimiterHint : 0
; COMPUTE_PGM_RSRC2:SCRATCH_EN: 0
; COMPUTE_PGM_RSRC2:USER_SGPR: 6
; COMPUTE_PGM_RSRC2:TRAP_HANDLER: 0
; COMPUTE_PGM_RSRC2:TGID_X_EN: 1
; COMPUTE_PGM_RSRC2:TGID_Y_EN: 0
; COMPUTE_PGM_RSRC2:TGID_Z_EN: 0
; COMPUTE_PGM_RSRC2:TIDIG_COMP_CNT: 0
; COMPUTE_PGM_RSRC3_GFX90A:ACCUM_OFFSET: 7
; COMPUTE_PGM_RSRC3_GFX90A:TG_SPLIT: 0
	.section	.text._ZN5aiter28grouped_topk_opt_sort_kernelIN3c108BFloat16EDv2_fLi8ELb0ELb1ELb0EEEvPT_PKS4_PfPimiiiif,"axG",@progbits,_ZN5aiter28grouped_topk_opt_sort_kernelIN3c108BFloat16EDv2_fLi8ELb0ELb1ELb0EEEvPT_PKS4_PfPimiiiif,comdat
	.protected	_ZN5aiter28grouped_topk_opt_sort_kernelIN3c108BFloat16EDv2_fLi8ELb0ELb1ELb0EEEvPT_PKS4_PfPimiiiif ; -- Begin function _ZN5aiter28grouped_topk_opt_sort_kernelIN3c108BFloat16EDv2_fLi8ELb0ELb1ELb0EEEvPT_PKS4_PfPimiiiif
	.globl	_ZN5aiter28grouped_topk_opt_sort_kernelIN3c108BFloat16EDv2_fLi8ELb0ELb1ELb0EEEvPT_PKS4_PfPimiiiif
	.p2align	8
	.type	_ZN5aiter28grouped_topk_opt_sort_kernelIN3c108BFloat16EDv2_fLi8ELb0ELb1ELb0EEEvPT_PKS4_PfPimiiiif,@function
_ZN5aiter28grouped_topk_opt_sort_kernelIN3c108BFloat16EDv2_fLi8ELb0ELb1ELb0EEEvPT_PKS4_PfPimiiiif: ; @_ZN5aiter28grouped_topk_opt_sort_kernelIN3c108BFloat16EDv2_fLi8ELb0ELb1ELb0EEEvPT_PKS4_PfPimiiiif
; %bb.0:
	s_load_dwordx4 s[16:19], s[4:5], 0x28
	s_load_dwordx4 s[12:15], s[4:5], 0x0
	v_lshlrev_b32_e32 v1, 2, v0
	v_bfe_u32 v12, v0, 1, 1
	v_and_b32_e32 v9, 1, v0
	s_waitcnt lgkmcnt(0)
	s_lshl_b32 s1, s16, 2
	s_mul_i32 s0, s6, s16
	s_add_i32 s7, s1, 0
	s_ashr_i32 s1, s0, 31
	s_lshl_b64 s[0:1], s[0:1], 1
	s_add_u32 s0, s12, s0
	s_addc_u32 s1, s13, s1
	global_load_dword v7, v1, s[0:1]
	global_load_dword v8, v1, s[14:15]
	s_mov_b32 s0, 0x652b82fe
	s_mov_b32 s1, 0xbff71547
	v_mov_b32_e32 v2, 0xff800000
	v_mov_b32_e32 v4, 0x7f800000
	v_bfe_u32 v5, v0, 2, 1
	v_cmp_eq_u32_e32 vcc, v9, v12
	v_cndmask_b32_e32 v16, v2, v4, vcc
	v_cmp_eq_u32_e32 vcc, v12, v5
	s_mov_b32 s2, 0xc2fc0000
	v_cndmask_b32_e32 v17, v2, v4, vcc
	v_cmp_eq_u32_e32 vcc, v9, v5
	v_mov_b32_e32 v13, 0x42800000
	v_cndmask_b32_e32 v18, v2, v4, vcc
	v_mov_b32_e32 v19, 0x1f800000
	v_and_b32_e32 v23, 4, v0
	s_mov_b32 s3, 0xff800000
	v_mbcnt_lo_u32_b32 v3, -1, 0
	v_mbcnt_hi_u32_b32 v3, -1, v3
	v_lshlrev_b32_e32 v22, 3, v0
	v_and_b32_e32 v6, 64, v3
	s_waitcnt vmcnt(1)
	v_and_b32_e32 v14, 0xffff, v7
	v_lshrrev_b32_e32 v7, 16, v7
	v_cvt_f64_u32_e32 v[14:15], v14
	v_cvt_f64_u32_e32 v[20:21], v7
	v_mul_f64 v[14:15], v[14:15], s[0:1]
	v_mul_f64 v[20:21], v[20:21], s[0:1]
	s_waitcnt vmcnt(0)
	v_cvt_f32_u32_sdwa v11, v8 dst_sel:DWORD dst_unused:UNUSED_PAD src0_sel:WORD_1
	v_cvt_f32_u32_sdwa v10, v8 dst_sel:DWORD dst_unused:UNUSED_PAD src0_sel:WORD_0
	v_cvt_f32_f64_e32 v7, v[14:15]
	v_cvt_f32_f64_e32 v8, v[20:21]
	v_cmp_gt_f32_e32 vcc, s2, v7
	v_cmp_gt_f32_e64 s[0:1], s2, v8
	v_cndmask_b32_e32 v14, 0, v13, vcc
	v_cndmask_b32_e64 v13, 0, v13, s[0:1]
	v_add_f32_e32 v7, v7, v14
	v_add_f32_e32 v8, v8, v13
	v_exp_f32_e32 v7, v7
	v_exp_f32_e32 v8, v8
	v_cndmask_b32_e32 v13, 1.0, v19, vcc
	v_cndmask_b32_e64 v14, 1.0, v19, s[0:1]
	v_fma_f32 v7, v7, v13, 1.0
	v_fma_f32 v8, v8, v14, 1.0
	v_rcp_f32_e32 v14, v7
	v_rcp_f32_e32 v15, v8
	v_cmp_eq_u32_e32 vcc, 0, v23
	v_cndmask_b32_e32 v7, v2, v4, vcc
	v_and_or_b32 v8, v22, 56, v6
	v_pk_add_f32 v[10:11], v[14:15], v[10:11]
	v_cmp_o_f32_e32 vcc, v11, v11
	v_cndmask_b32_e32 v15, v2, v11, vcc
	v_cmp_o_f32_e32 vcc, v10, v10
	v_cndmask_b32_e32 v14, v2, v10, vcc
	v_med3_f32 v10, v15, v14, s3
	v_max_f32_e32 v11, v15, v14
	v_lshlrev_b32_e32 v8, 2, v8
	v_mov_b32_dpp v19, v10 quad_perm:[1,0,3,2] row_mask:0xf bank_mask:0xf bound_ctrl:1
	v_max_f32_e32 v19, v19, v19
	v_mov_b32_dpp v13, v11 quad_perm:[1,0,3,2] row_mask:0xf bank_mask:0xf bound_ctrl:1
	v_max_f32_e32 v10, v19, v10
	v_med3_f32 v10, v13, v11, v10
	v_max_f32_e32 v20, v13, v13
	v_max_f32_e32 v19, v20, v11
	v_mov_b32_dpp v13, v10 quad_perm:[2,3,0,1] row_mask:0xf bank_mask:0xf bound_ctrl:1
	v_max_f32_e32 v13, v13, v13
	v_mov_b32_dpp v11, v19 quad_perm:[2,3,0,1] row_mask:0xf bank_mask:0xf bound_ctrl:1
	v_max_f32_e32 v10, v13, v10
	v_max_f32_e32 v20, v11, v11
	v_med3_f32 v10, v11, v19, v10
	v_max_f32_e32 v20, v20, v19
	v_cmp_eq_u32_e32 vcc, 0, v12
	v_mov_b32_dpp v19, v10 row_half_mirror row_mask:0xf bank_mask:0xf bound_ctrl:1
	v_mov_b32_dpp v13, v20 row_half_mirror row_mask:0xf bank_mask:0xf bound_ctrl:1
	v_max_f32_e32 v19, v19, v19
	v_max_f32_e32 v11, v13, v13
	;; [unrolled: 1-line block ×4, first 2 shown]
	v_med3_f32 v10, v13, v20, v10
	v_add_f32_e32 v10, v11, v10
	ds_bpermute_b32 v8, v8, v10
	v_cndmask_b32_e32 v10, v2, v4, vcc
	v_cmp_eq_u32_e32 vcc, 0, v9
	v_cndmask_b32_e32 v11, v2, v4, vcc
	v_lshlrev_b32_e32 v13, 2, v6
	s_waitcnt lgkmcnt(0)
	v_mov_b32_dpp v19, v8 quad_perm:[1,0,3,2] row_mask:0xf bank_mask:0xf bound_ctrl:1
	v_med3_f32 v19, v8, v19, v16
	s_nop 1
	v_mov_b32_dpp v20, v19 quad_perm:[2,3,0,1] row_mask:0xf bank_mask:0xf bound_ctrl:1
	v_med3_f32 v19, v19, v20, v17
	s_nop 1
	;; [unrolled: 3-line block ×3, first 2 shown]
	v_mov_b32_dpp v20, v19 row_shl:4 row_mask:0xf bank_mask:0x5 bound_ctrl:1
	s_nop 1
	v_mov_b32_dpp v20, v19 row_shr:4 row_mask:0xf bank_mask:0xa bound_ctrl:1
	v_med3_f32 v7, v19, v20, v7
	v_bfe_i32 v20, v3, 3, 1
	s_nop 0
	v_mov_b32_dpp v19, v7 quad_perm:[2,3,0,1] row_mask:0xf bank_mask:0xf bound_ctrl:1
	v_med3_f32 v7, v7, v19, v10
	s_nop 1
	v_mov_b32_dpp v19, v7 quad_perm:[1,0,3,2] row_mask:0xf bank_mask:0xf bound_ctrl:1
	v_med3_f32 v7, v7, v19, v11
	ds_bpermute_b32 v7, v13, v7 offset:12
	v_add_u32_e32 v19, 0, v22
	ds_write_b64 v19, v[14:15]
	s_waitcnt lgkmcnt(1)
	v_cmp_gt_f32_e32 vcc, v8, v7
	v_cndmask_b32_e64 v14, 0, 1, vcc
	v_cmp_eq_f32_e64 s[0:1], v8, v7
	v_cmp_ge_f32_e64 s[2:3], v8, v7
	v_mov_b32_dpp v7, v14 row_shr:1 row_mask:0xf bank_mask:0xf bound_ctrl:1
	v_addc_co_u32_e64 v14, s[8:9], 0, v7, vcc
	v_cndmask_b32_e64 v15, 0, 1, s[0:1]
	s_nop 0
	v_mov_b32_dpp v14, v14 row_shr:2 row_mask:0xf bank_mask:0xf bound_ctrl:1
	v_addc_co_u32_e32 v7, vcc, v14, v7, vcc
	v_mov_b32_dpp v8, v15 row_shr:1 row_mask:0xf bank_mask:0xf bound_ctrl:1
	v_addc_co_u32_e64 v15, s[8:9], 0, v8, s[0:1]
	v_add_u32_dpp v7, v7, v7 row_shr:4 row_mask:0xf bank_mask:0xf bound_ctrl:1
	s_nop 0
	v_mov_b32_dpp v15, v15 row_shr:2 row_mask:0xf bank_mask:0xf bound_ctrl:1
	v_addc_co_u32_e64 v8, vcc, v15, v8, s[0:1]
	v_add_u32_dpp v7, v7, v7 row_shr:8 row_mask:0xf bank_mask:0xf bound_ctrl:1
	s_nop 0
	v_add_u32_dpp v8, v8, v8 row_shr:4 row_mask:0xf bank_mask:0xf bound_ctrl:1
	v_and_b32_dpp v14, v7, v20 row_newbcast:7 row_mask:0xf bank_mask:0xf bound_ctrl:1
	v_sub_u32_e32 v7, v7, v14
	v_add_u32_dpp v8, v8, v8 row_shr:8 row_mask:0xf bank_mask:0xf bound_ctrl:1
	v_readlane_b32 s8, v7, 7
	s_nop 0
	v_and_b32_dpp v15, v8, v20 row_newbcast:7 row_mask:0xf bank_mask:0xf bound_ctrl:1
	v_add_u32_e32 v8, s8, v8
	v_sub_u32_e32 v8, v8, v15
	v_cndmask_b32_e64 v7, v7, v8, s[0:1]
	v_cmp_ge_i32_e32 vcc, s18, v7
	s_and_b64 s[0:1], s[2:3], vcc
	v_cmp_gt_u32_e32 vcc, 8, v0
	s_and_b64 s[2:3], vcc, s[0:1]
	s_and_saveexec_b64 s[0:1], s[2:3]
	s_cbranch_execz .LBB111_2
; %bb.1:
	v_lshl_add_u32 v7, v7, 2, s7
	ds_write_b32 v7, v0 offset:28
.LBB111_2:
	s_or_b64 exec, exec, s[0:1]
	v_lshrrev_b32_e32 v7, 3, v0
	v_and_b32_e32 v7, 0x7c, v7
	v_add_u32_e32 v7, s7, v7
	s_waitcnt lgkmcnt(0)
	s_barrier
	ds_read_b32 v7, v7 offset:32
	v_add_u32_e32 v8, 64, v0
	v_and_b32_e32 v19, 31, v0
	v_lshrrev_b32_e32 v8, 3, v8
	v_and_b32_e32 v8, 0xfc, v8
	s_waitcnt lgkmcnt(0)
	v_lshl_or_b32 v14, v7, 5, v19
	v_add_u32_e32 v8, s7, v8
	v_lshl_add_u32 v7, v14, 2, 0
	ds_read_b32 v8, v8 offset:32
	ds_read_b32 v15, v7
	v_bfe_u32 v22, v0, 3, 1
	v_cmp_eq_u32_e32 vcc, v5, v22
	v_cndmask_b32_e32 v23, v2, v4, vcc
	v_cmp_eq_u32_e32 vcc, v12, v22
	s_waitcnt lgkmcnt(0)
	v_mov_b32_dpp v20, v15 quad_perm:[1,0,3,2] row_mask:0xf bank_mask:0xf bound_ctrl:1
	v_med3_f32 v20, v15, v20, v16
	v_cndmask_b32_e32 v24, v2, v4, vcc
	v_cmp_eq_u32_e32 vcc, v9, v22
	v_mov_b32_dpp v21, v20 quad_perm:[2,3,0,1] row_mask:0xf bank_mask:0xf bound_ctrl:1
	v_med3_f32 v20, v20, v21, v17
	v_cndmask_b32_e32 v25, v2, v4, vcc
	v_bfe_u32 v26, v0, 4, 1
	v_mov_b32_dpp v21, v20 quad_perm:[1,0,3,2] row_mask:0xf bank_mask:0xf bound_ctrl:1
	v_med3_f32 v20, v20, v21, v18
	v_cmp_eq_u32_e32 vcc, v22, v26
	v_cndmask_b32_e32 v27, v2, v4, vcc
	v_mov_b32_dpp v21, v20 row_shl:4 row_mask:0xf bank_mask:0x5 bound_ctrl:1
	v_lshl_or_b32 v7, v8, 5, v19
	v_lshl_add_u32 v8, v7, 2, 0
	v_mov_b32_dpp v21, v20 row_shr:4 row_mask:0xf bank_mask:0xa bound_ctrl:1
	v_med3_f32 v20, v20, v21, v23
	v_cmp_eq_u32_e32 vcc, v5, v26
	ds_read_b32 v8, v8
	v_mov_b32_dpp v21, v20 quad_perm:[2,3,0,1] row_mask:0xf bank_mask:0xf bound_ctrl:1
	v_med3_f32 v20, v20, v21, v24
	v_cndmask_b32_e32 v28, v2, v4, vcc
	v_cmp_eq_u32_e32 vcc, v12, v26
	v_mov_b32_dpp v21, v20 quad_perm:[1,0,3,2] row_mask:0xf bank_mask:0xf bound_ctrl:1
	v_med3_f32 v20, v20, v21, v25
	v_cndmask_b32_e32 v12, v2, v4, vcc
	v_cmp_eq_u32_e32 vcc, v9, v26
	v_mov_b32_dpp v21, v20 row_shl:8 row_mask:0xf bank_mask:0x3 bound_ctrl:1
	v_cndmask_b32_e32 v9, v2, v4, vcc
	v_cmp_gt_u32_e32 vcc, 32, v0
	v_mov_b32_dpp v21, v20 row_shr:8 row_mask:0xf bank_mask:0xc bound_ctrl:1
	v_med3_f32 v20, v20, v21, v27
	v_cmp_lt_u32_e64 s[2:3], 15, v3
	s_lshl_b32 s8, s17, 2
	v_mov_b32_dpp v21, v20 row_shl:4 row_mask:0xf bank_mask:0x5 bound_ctrl:1
	s_add_i32 s12, s7, s8
	s_add_i32 s13, s7, 64
	v_mov_b32_dpp v21, v20 row_shr:4 row_mask:0xf bank_mask:0xa bound_ctrl:1
	v_med3_f32 v20, v20, v21, v28
	s_add_i32 s16, s12, 64
	s_nop 0
	v_mov_b32_dpp v21, v20 quad_perm:[2,3,0,1] row_mask:0xf bank_mask:0xf bound_ctrl:1
	v_med3_f32 v20, v20, v21, v12
	s_nop 1
	v_mov_b32_dpp v21, v20 quad_perm:[1,0,3,2] row_mask:0xf bank_mask:0xf bound_ctrl:1
	v_med3_f32 v20, v20, v21, v9
	s_waitcnt lgkmcnt(0)
	v_mov_b32_dpp v21, v8 quad_perm:[1,0,3,2] row_mask:0xf bank_mask:0xf bound_ctrl:1
	v_med3_f32 v16, v8, v21, v16
	s_nop 1
	v_mov_b32_dpp v21, v16 quad_perm:[2,3,0,1] row_mask:0xf bank_mask:0xf bound_ctrl:1
	v_med3_f32 v16, v16, v21, v17
	s_nop 1
	;; [unrolled: 3-line block ×3, first 2 shown]
	v_mov_b32_dpp v17, v16 row_shl:4 row_mask:0xf bank_mask:0x5 bound_ctrl:1
	s_nop 1
	v_mov_b32_dpp v17, v16 row_shr:4 row_mask:0xf bank_mask:0xa bound_ctrl:1
	v_med3_f32 v16, v16, v17, v23
	s_nop 1
	v_mov_b32_dpp v17, v16 quad_perm:[2,3,0,1] row_mask:0xf bank_mask:0xf bound_ctrl:1
	v_med3_f32 v16, v16, v17, v24
	s_nop 1
	v_mov_b32_dpp v17, v16 quad_perm:[1,0,3,2] row_mask:0xf bank_mask:0xf bound_ctrl:1
	v_med3_f32 v16, v16, v17, v25
	s_nop 1
	v_mov_b32_dpp v17, v16 row_shl:8 row_mask:0xf bank_mask:0x3 bound_ctrl:1
	s_nop 1
	v_mov_b32_dpp v17, v16 row_shr:8 row_mask:0xf bank_mask:0xc bound_ctrl:1
	v_med3_f32 v16, v16, v17, v27
	s_nop 1
	v_mov_b32_dpp v17, v16 row_shl:4 row_mask:0xf bank_mask:0x5 bound_ctrl:1
	s_nop 1
	v_mov_b32_dpp v17, v16 row_shr:4 row_mask:0xf bank_mask:0xa bound_ctrl:1
	v_med3_f32 v16, v16, v17, v28
	s_nop 1
	v_mov_b32_dpp v17, v16 quad_perm:[2,3,0,1] row_mask:0xf bank_mask:0xf bound_ctrl:1
	v_med3_f32 v16, v16, v17, v12
	s_nop 1
	v_mov_b32_dpp v17, v16 quad_perm:[1,0,3,2] row_mask:0xf bank_mask:0xf bound_ctrl:1
	v_med3_f32 v16, v16, v17, v9
	v_lshlrev_b32_e32 v17, 1, v0
	v_bfi_b32 v18, 48, v17, v19
	v_or_b32_e32 v18, v6, v18
	v_lshlrev_b32_e32 v18, 2, v18
	ds_bpermute_b32 v20, v18, v20
	ds_bpermute_b32 v16, v18, v16
	v_xor_b32_e32 v17, v19, v17
	v_and_b32_e32 v17, 48, v17
	s_waitcnt lgkmcnt(0)
	v_cndmask_b32_e32 v16, v16, v20, vcc
	s_nop 1
	v_mov_b32_dpp v18, v16 row_shl:8 row_mask:0xf bank_mask:0x3 bound_ctrl:1
	v_cmp_eq_u32_e32 vcc, 0, v22
	s_nop 0
	v_mov_b32_dpp v18, v16 row_shr:8 row_mask:0xf bank_mask:0xc bound_ctrl:1
	v_med3_f32 v16, v16, v18, v27
	s_nop 1
	v_mov_b32_dpp v18, v16 row_shl:4 row_mask:0xf bank_mask:0x5 bound_ctrl:1
	s_nop 1
	v_mov_b32_dpp v18, v16 row_shr:4 row_mask:0xf bank_mask:0xa bound_ctrl:1
	v_med3_f32 v16, v16, v18, v28
	s_nop 1
	v_mov_b32_dpp v18, v16 quad_perm:[2,3,0,1] row_mask:0xf bank_mask:0xf bound_ctrl:1
	v_med3_f32 v16, v16, v18, v12
	s_nop 1
	v_mov_b32_dpp v18, v16 quad_perm:[1,0,3,2] row_mask:0xf bank_mask:0xf bound_ctrl:1
	v_med3_f32 v16, v16, v18, v9
	v_and_b32_e32 v18, 63, v0
	v_xor_b32_e32 v17, v17, v18
	v_or_b32_e32 v6, v6, v17
	v_lshlrev_b32_e32 v6, 2, v6
	ds_bpermute_b32 v16, v6, v16
	s_waitcnt lgkmcnt(0)
	s_nop 0
	v_mov_b32_dpp v17, v16 row_shl:8 row_mask:0xf bank_mask:0x3 bound_ctrl:1
	s_nop 1
	v_mov_b32_dpp v17, v16 row_shr:8 row_mask:0xf bank_mask:0xc bound_ctrl:1
	v_med3_f32 v16, v16, v17, v27
	s_nop 1
	v_mov_b32_dpp v17, v16 row_shl:4 row_mask:0xf bank_mask:0x5 bound_ctrl:1
	s_nop 1
	v_mov_b32_dpp v17, v16 row_shr:4 row_mask:0xf bank_mask:0xa bound_ctrl:1
	v_med3_f32 v16, v16, v17, v28
	s_nop 1
	v_mov_b32_dpp v17, v16 quad_perm:[2,3,0,1] row_mask:0xf bank_mask:0xf bound_ctrl:1
	v_med3_f32 v12, v16, v17, v12
	s_nop 1
	v_mov_b32_dpp v16, v12 quad_perm:[1,0,3,2] row_mask:0xf bank_mask:0xf bound_ctrl:1
	v_med3_f32 v9, v12, v16, v9
	ds_bpermute_b32 v6, v6, v9
	v_cndmask_b32_e32 v12, v2, v4, vcc
	v_cmp_eq_u32_e32 vcc, 0, v5
	v_cndmask_b32_e32 v2, v2, v4, vcc
	s_waitcnt lgkmcnt(0)
	v_mov_b32_dpp v9, v6 row_shl:8 row_mask:0xf bank_mask:0x3 bound_ctrl:1
	s_nop 1
	v_mov_b32_dpp v9, v6 row_shr:8 row_mask:0xf bank_mask:0xc bound_ctrl:1
	v_med3_f32 v6, v6, v9, v12
	s_nop 1
	v_mov_b32_dpp v9, v6 row_shl:4 row_mask:0xf bank_mask:0x5 bound_ctrl:1
	s_nop 1
	v_mov_b32_dpp v9, v6 row_shr:4 row_mask:0xf bank_mask:0xa bound_ctrl:1
	v_med3_f32 v2, v6, v9, v2
	s_nop 1
	v_mov_b32_dpp v4, v2 quad_perm:[2,3,0,1] row_mask:0xf bank_mask:0xf bound_ctrl:1
	v_med3_f32 v2, v2, v4, v10
	s_nop 1
	v_mov_b32_dpp v4, v2 quad_perm:[1,0,3,2] row_mask:0xf bank_mask:0xf bound_ctrl:1
	v_med3_f32 v2, v2, v4, v11
	ds_bpermute_b32 v2, v13, v2 offset:28
	v_lshlrev_b32_e32 v4, 2, v3
	v_and_b32_e32 v4, 0xc0, v4
	v_add_u32_e32 v5, -4, v4
	v_add_u32_e32 v10, 0xffffffbc, v4
	s_waitcnt lgkmcnt(0)
	v_cmp_gt_f32_e32 vcc, v15, v2
	v_cndmask_b32_e64 v6, 0, 1, vcc
	v_cmp_eq_f32_e64 s[8:9], v15, v2
	s_nop 0
	v_mov_b32_dpp v6, v6 row_shr:1 row_mask:0xf bank_mask:0xf bound_ctrl:1
	v_addc_co_u32_e64 v9, s[0:1], 0, v6, vcc
	s_nop 1
	v_mov_b32_dpp v9, v9 row_shr:2 row_mask:0xf bank_mask:0xf bound_ctrl:1
	v_addc_co_u32_e32 v6, vcc, v9, v6, vcc
	v_cmp_gt_f32_e32 vcc, v8, v2
	s_nop 0
	v_add_u32_dpp v6, v6, v6 row_shr:4 row_mask:0xf bank_mask:0xf bound_ctrl:1
	s_nop 1
	v_add_u32_dpp v6, v6, v6 row_shr:8 row_mask:0xf bank_mask:0xf bound_ctrl:1
	ds_bpermute_b32 v9, v5, v6
	s_waitcnt lgkmcnt(0)
	v_cndmask_b32_e64 v4, 0, v9, s[2:3]
	v_cndmask_b32_e64 v9, 0, 1, vcc
	v_add_u32_e32 v4, v4, v6
	ds_bpermute_b32 v6, v10, v4
	v_mov_b32_dpp v9, v9 row_shr:1 row_mask:0xf bank_mask:0xf bound_ctrl:1
	v_addc_co_u32_e64 v11, s[0:1], 0, v9, vcc
	s_nop 1
	v_mov_b32_dpp v11, v11 row_shr:2 row_mask:0xf bank_mask:0xf bound_ctrl:1
	v_addc_co_u32_e32 v9, vcc, v11, v9, vcc
	v_cmp_lt_u32_e32 vcc, 31, v3
	s_nop 0
	v_add_u32_dpp v9, v9, v9 row_shr:4 row_mask:0xf bank_mask:0xf bound_ctrl:1
	s_waitcnt lgkmcnt(0)
	v_cndmask_b32_e32 v3, 0, v6, vcc
	v_add_u32_e32 v13, v4, v3
	v_add_u32_dpp v9, v9, v9 row_shr:8 row_mask:0xf bank_mask:0xf bound_ctrl:1
	ds_bpermute_b32 v11, v5, v9
	s_waitcnt lgkmcnt(0)
	v_cndmask_b32_e64 v6, 0, v11, s[2:3]
	v_cndmask_b32_e64 v11, 0, 1, s[8:9]
	v_add_u32_e32 v6, v6, v9
	ds_bpermute_b32 v9, v10, v6
	v_mov_b32_dpp v11, v11 row_shr:1 row_mask:0xf bank_mask:0xf bound_ctrl:1
	v_addc_co_u32_e64 v12, s[0:1], 0, v11, s[8:9]
	s_waitcnt lgkmcnt(0)
	v_cndmask_b32_e32 v3, 0, v9, vcc
	v_mov_b32_dpp v12, v12 row_shr:2 row_mask:0xf bank_mask:0xf bound_ctrl:1
	v_addc_co_u32_e64 v11, s[0:1], v12, v11, s[8:9]
	v_readlane_b32 s0, v13, 63
	s_nop 0
	v_add_u32_dpp v11, v11, v11 row_shr:4 row_mask:0xf bank_mask:0xf bound_ctrl:1
	v_add3_u32 v3, v6, s0, v3
	v_cmp_eq_f32_e64 s[0:1], v8, v2
	v_add_u32_dpp v11, v11, v11 row_shr:8 row_mask:0xf bank_mask:0xf bound_ctrl:1
	ds_bpermute_b32 v12, v5, v11
	v_cndmask_b32_e64 v9, 0, 1, s[0:1]
	s_waitcnt lgkmcnt(0)
	v_cndmask_b32_e64 v4, 0, v12, s[2:3]
	v_mov_b32_dpp v9, v9 row_shr:1 row_mask:0xf bank_mask:0xf bound_ctrl:1
	v_add_u32_e32 v4, v4, v11
	v_addc_co_u32_e64 v11, s[10:11], 0, v9, s[0:1]
	ds_bpermute_b32 v6, v10, v4
	s_nop 0
	v_mov_b32_dpp v11, v11 row_shr:2 row_mask:0xf bank_mask:0xf bound_ctrl:1
	v_addc_co_u32_e64 v9, s[10:11], v11, v9, s[0:1]
	v_readlane_b32 s10, v3, 63
	s_nop 0
	v_add_u32_dpp v9, v9, v9 row_shr:4 row_mask:0xf bank_mask:0xf bound_ctrl:1
	s_waitcnt lgkmcnt(0)
	v_cndmask_b32_e32 v6, 0, v6, vcc
	v_add3_u32 v6, v4, s10, v6
	v_add_u32_dpp v9, v9, v9 row_shr:8 row_mask:0xf bank_mask:0xf bound_ctrl:1
	ds_bpermute_b32 v5, v5, v9
	v_readlane_b32 s10, v6, 63
	v_cndmask_b32_e64 v6, v13, v6, s[8:9]
	v_cmp_ge_i32_e64 s[8:9], s17, v6
	s_waitcnt lgkmcnt(0)
	v_cndmask_b32_e64 v4, 0, v5, s[2:3]
	v_add_u32_e32 v4, v4, v9
	ds_bpermute_b32 v5, v10, v4
	v_cmp_ge_f32_e64 s[2:3], v15, v2
	s_and_b64 s[8:9], s[2:3], s[8:9]
	s_and_saveexec_b64 s[2:3], s[8:9]
	s_cbranch_execz .LBB111_4
; %bb.3:
	v_lshl_add_u32 v6, v6, 2, -4
	v_add_u32_e32 v9, s16, v6
	v_add_u32_e32 v6, s13, v6
	ds_write_b32 v6, v14
	ds_write_b32 v9, v15
.LBB111_4:
	s_or_b64 exec, exec, s[2:3]
	s_waitcnt lgkmcnt(0)
	v_cndmask_b32_e32 v5, 0, v5, vcc
	v_add3_u32 v4, v4, s10, v5
	v_cndmask_b32_e64 v3, v3, v4, s[0:1]
	v_cmp_ge_f32_e32 vcc, v8, v2
	v_cmp_ge_i32_e64 s[0:1], s17, v3
	s_and_b64 s[2:3], vcc, s[0:1]
	s_and_saveexec_b64 s[0:1], s[2:3]
	s_cbranch_execz .LBB111_6
; %bb.5:
	v_lshl_add_u32 v2, v3, 2, -4
	v_add_u32_e32 v3, s16, v2
	v_add_u32_e32 v2, s13, v2
	ds_write_b32 v2, v7
	ds_write_b32 v3, v8
.LBB111_6:
	s_or_b64 exec, exec, s[0:1]
	v_cmp_gt_u32_e32 vcc, s17, v0
	s_waitcnt lgkmcnt(0)
	s_barrier
	s_and_saveexec_b64 s[0:1], vcc
	s_cbranch_execz .LBB111_8
; %bb.7:
	v_add_u32_e32 v0, s7, v1
	ds_read_b32 v2, v0 offset:64
	v_mov_b32_e32 v0, s15
	s_load_dwordx2 s[8:9], s[4:5], 0x20
	s_load_dwordx4 s[0:3], s[4:5], 0x10
	s_ashr_i32 s4, s6, 31
	s_waitcnt lgkmcnt(0)
	v_ashrrev_i32_e32 v3, 31, v2
	v_lshlrev_b64 v[4:5], 1, v[2:3]
	v_add_co_u32_e32 v4, vcc, s14, v4
	v_addc_co_u32_e32 v5, vcc, v0, v5, vcc
	global_load_ushort v0, v[4:5], off
	v_add_u32_e32 v3, s12, v1
	s_mul_i32 s5, s6, s9
	s_mul_hi_u32 s7, s6, s8
	ds_read_b32 v3, v3 offset:64
	s_mul_i32 s9, s4, s8
	s_add_i32 s5, s7, s5
	s_mul_i32 s4, s6, s8
	s_add_i32 s5, s5, s9
	s_lshl_b64 s[4:5], s[4:5], 2
	s_add_u32 s0, s0, s4
	s_addc_u32 s1, s1, s5
	s_add_u32 s2, s2, s4
	s_addc_u32 s3, s3, s5
	s_waitcnt vmcnt(0)
	v_lshrrev_b16_e32 v4, 8, v0
	v_and_b32_e32 v0, 0xff, v0
	v_lshlrev_b32_e32 v0, 16, v0
	v_lshl_or_b32 v0, v4, 24, v0
	s_waitcnt lgkmcnt(0)
	v_sub_f32_e32 v0, v3, v0
	global_store_dword v1, v0, s[0:1]
	global_store_dword v1, v2, s[2:3]
.LBB111_8:
	s_endpgm
	.section	.rodata,"a",@progbits
	.p2align	6, 0x0
	.amdhsa_kernel _ZN5aiter28grouped_topk_opt_sort_kernelIN3c108BFloat16EDv2_fLi8ELb0ELb1ELb0EEEvPT_PKS4_PfPimiiiif
		.amdhsa_group_segment_fixed_size 0
		.amdhsa_private_segment_fixed_size 0
		.amdhsa_kernarg_size 60
		.amdhsa_user_sgpr_count 6
		.amdhsa_user_sgpr_private_segment_buffer 1
		.amdhsa_user_sgpr_dispatch_ptr 0
		.amdhsa_user_sgpr_queue_ptr 0
		.amdhsa_user_sgpr_kernarg_segment_ptr 1
		.amdhsa_user_sgpr_dispatch_id 0
		.amdhsa_user_sgpr_flat_scratch_init 0
		.amdhsa_user_sgpr_kernarg_preload_length 0
		.amdhsa_user_sgpr_kernarg_preload_offset 0
		.amdhsa_user_sgpr_private_segment_size 0
		.amdhsa_uses_dynamic_stack 0
		.amdhsa_system_sgpr_private_segment_wavefront_offset 0
		.amdhsa_system_sgpr_workgroup_id_x 1
		.amdhsa_system_sgpr_workgroup_id_y 0
		.amdhsa_system_sgpr_workgroup_id_z 0
		.amdhsa_system_sgpr_workgroup_info 0
		.amdhsa_system_vgpr_workitem_id 0
		.amdhsa_next_free_vgpr 29
		.amdhsa_next_free_sgpr 20
		.amdhsa_accum_offset 32
		.amdhsa_reserve_vcc 1
		.amdhsa_reserve_flat_scratch 0
		.amdhsa_float_round_mode_32 0
		.amdhsa_float_round_mode_16_64 0
		.amdhsa_float_denorm_mode_32 3
		.amdhsa_float_denorm_mode_16_64 3
		.amdhsa_dx10_clamp 1
		.amdhsa_ieee_mode 1
		.amdhsa_fp16_overflow 0
		.amdhsa_tg_split 0
		.amdhsa_exception_fp_ieee_invalid_op 0
		.amdhsa_exception_fp_denorm_src 0
		.amdhsa_exception_fp_ieee_div_zero 0
		.amdhsa_exception_fp_ieee_overflow 0
		.amdhsa_exception_fp_ieee_underflow 0
		.amdhsa_exception_fp_ieee_inexact 0
		.amdhsa_exception_int_div_zero 0
	.end_amdhsa_kernel
	.section	.text._ZN5aiter28grouped_topk_opt_sort_kernelIN3c108BFloat16EDv2_fLi8ELb0ELb1ELb0EEEvPT_PKS4_PfPimiiiif,"axG",@progbits,_ZN5aiter28grouped_topk_opt_sort_kernelIN3c108BFloat16EDv2_fLi8ELb0ELb1ELb0EEEvPT_PKS4_PfPimiiiif,comdat
.Lfunc_end111:
	.size	_ZN5aiter28grouped_topk_opt_sort_kernelIN3c108BFloat16EDv2_fLi8ELb0ELb1ELb0EEEvPT_PKS4_PfPimiiiif, .Lfunc_end111-_ZN5aiter28grouped_topk_opt_sort_kernelIN3c108BFloat16EDv2_fLi8ELb0ELb1ELb0EEEvPT_PKS4_PfPimiiiif
                                        ; -- End function
	.section	.AMDGPU.csdata,"",@progbits
; Kernel info:
; codeLenInByte = 2884
; NumSgprs: 24
; NumVgprs: 29
; NumAgprs: 0
; TotalNumVgprs: 29
; ScratchSize: 0
; MemoryBound: 0
; FloatMode: 240
; IeeeMode: 1
; LDSByteSize: 0 bytes/workgroup (compile time only)
; SGPRBlocks: 2
; VGPRBlocks: 3
; NumSGPRsForWavesPerEU: 24
; NumVGPRsForWavesPerEU: 29
; AccumOffset: 32
; Occupancy: 8
; WaveLimiterHint : 0
; COMPUTE_PGM_RSRC2:SCRATCH_EN: 0
; COMPUTE_PGM_RSRC2:USER_SGPR: 6
; COMPUTE_PGM_RSRC2:TRAP_HANDLER: 0
; COMPUTE_PGM_RSRC2:TGID_X_EN: 1
; COMPUTE_PGM_RSRC2:TGID_Y_EN: 0
; COMPUTE_PGM_RSRC2:TGID_Z_EN: 0
; COMPUTE_PGM_RSRC2:TIDIG_COMP_CNT: 0
; COMPUTE_PGM_RSRC3_GFX90A:ACCUM_OFFSET: 7
; COMPUTE_PGM_RSRC3_GFX90A:TG_SPLIT: 0
	.section	.text._ZN5aiter19grouped_topk_kernelIfDv2_fLi8ELb0ELb1ELb0EEEvPT_PKS2_PfPimiiiif,"axG",@progbits,_ZN5aiter19grouped_topk_kernelIfDv2_fLi8ELb0ELb1ELb0EEEvPT_PKS2_PfPimiiiif,comdat
	.protected	_ZN5aiter19grouped_topk_kernelIfDv2_fLi8ELb0ELb1ELb0EEEvPT_PKS2_PfPimiiiif ; -- Begin function _ZN5aiter19grouped_topk_kernelIfDv2_fLi8ELb0ELb1ELb0EEEvPT_PKS2_PfPimiiiif
	.globl	_ZN5aiter19grouped_topk_kernelIfDv2_fLi8ELb0ELb1ELb0EEEvPT_PKS2_PfPimiiiif
	.p2align	8
	.type	_ZN5aiter19grouped_topk_kernelIfDv2_fLi8ELb0ELb1ELb0EEEvPT_PKS2_PfPimiiiif,@function
_ZN5aiter19grouped_topk_kernelIfDv2_fLi8ELb0ELb1ELb0EEEvPT_PKS2_PfPimiiiif: ; @_ZN5aiter19grouped_topk_kernelIfDv2_fLi8ELb0ELb1ELb0EEEvPT_PKS2_PfPimiiiif
; %bb.0:
	s_load_dwordx4 s[12:15], s[4:5], 0x28
	s_load_dwordx4 s[16:19], s[4:5], 0x8
	s_load_dwordx2 s[10:11], s[4:5], 0x18
	s_waitcnt lgkmcnt(0)
	s_lshr_b32 s0, s12, 31
	s_add_i32 s0, s12, s0
	s_ashr_i32 s7, s0, 1
	v_cmp_gt_i32_e64 s[0:1], s7, v0
	s_and_saveexec_b64 s[8:9], s[0:1]
	s_cbranch_execz .LBB112_3
; %bb.1:
	s_load_dwordx2 s[2:3], s[4:5], 0x0
	s_load_dword s22, s[4:5], 0x4c
	s_mul_i32 s20, s6, s12
	s_ashr_i32 s21, s20, 31
	s_lshl_b64 s[20:21], s[20:21], 2
	s_waitcnt lgkmcnt(0)
	s_add_u32 s15, s2, s20
	s_addc_u32 s2, s3, s21
	s_and_b32 s22, s22, 0xffff
	s_mov_b32 s3, 0
	v_lshlrev_b32_e32 v2, 3, v0
	v_mov_b32_e32 v1, 0
	s_lshl_b32 s23, s22, 3
	v_add_u32_e32 v3, 0, v2
	s_mov_b64 s[20:21], 0
	v_mov_b32_e32 v4, s2
	v_mov_b32_e32 v5, s17
	s_mov_b32 s24, 0xbfb8aa3b
	s_mov_b32 s25, 0x42ce8ed0
	;; [unrolled: 1-line block ×3, first 2 shown]
	v_mov_b32_e32 v6, 0x7f800000
	v_mov_b32_e32 v7, s3
	;; [unrolled: 1-line block ×3, first 2 shown]
.LBB112_2:                              ; =>This Inner Loop Header: Depth=1
	v_add_co_u32_e32 v10, vcc, s15, v2
	v_addc_co_u32_e32 v11, vcc, v4, v1, vcc
	global_load_dwordx2 v[10:11], v[10:11], off
	v_add_co_u32_e32 v12, vcc, s16, v2
	v_addc_co_u32_e32 v13, vcc, v5, v1, vcc
	global_load_dwordx2 v[12:13], v[12:13], off
	v_add_co_u32_e32 v2, vcc, s23, v2
	v_add_u32_e32 v8, s22, v8
	v_addc_co_u32_e32 v1, vcc, v1, v7, vcc
	v_cmp_le_i32_e32 vcc, s7, v8
	s_or_b64 s[20:21], vcc, s[20:21]
	s_waitcnt vmcnt(1)
	v_mul_f32_e32 v9, 0xbfb8aa3b, v11
	v_mul_f32_e32 v14, 0xbfb8aa3b, v10
	v_fma_f32 v15, v11, s24, -v9
	v_rndne_f32_e32 v16, v9
	v_fma_f32 v17, v10, s24, -v14
	v_rndne_f32_e32 v18, v14
	v_fmac_f32_e32 v15, 0xb2a5705f, v11
	v_sub_f32_e32 v9, v9, v16
	v_fmac_f32_e32 v17, 0xb2a5705f, v10
	v_sub_f32_e32 v14, v14, v18
	v_add_f32_e32 v9, v9, v15
	v_add_f32_e32 v14, v14, v17
	v_cvt_i32_f32_e32 v16, v16
	v_cvt_i32_f32_e32 v18, v18
	v_exp_f32_e32 v9, v9
	v_exp_f32_e32 v14, v14
	v_cmp_nlt_f32_e32 vcc, s25, v10
	v_cmp_nlt_f32_e64 s[2:3], s25, v11
	v_ldexp_f32 v9, v9, v16
	v_ldexp_f32 v14, v14, v18
	v_cndmask_b32_e64 v9, 0, v9, s[2:3]
	v_cndmask_b32_e32 v14, 0, v14, vcc
	v_cmp_ngt_f32_e32 vcc, s26, v10
	v_cmp_ngt_f32_e64 s[2:3], s26, v11
	v_cndmask_b32_e64 v11, v6, v9, s[2:3]
	v_cndmask_b32_e32 v10, v6, v14, vcc
	v_pk_add_f32 v[10:11], v[10:11], 1.0 op_sel_hi:[1,0]
	v_div_scale_f32 v9, s[2:3], v11, v11, 1.0
	v_div_scale_f32 v15, s[2:3], v10, v10, 1.0
	v_rcp_f32_e32 v17, v9
	v_rcp_f32_e32 v18, v15
	v_div_scale_f32 v14, vcc, 1.0, v11, 1.0
	v_fma_f32 v19, -v9, v17, 1.0
	v_fma_f32 v20, -v15, v18, 1.0
	v_fmac_f32_e32 v17, v19, v17
	v_div_scale_f32 v16, s[2:3], 1.0, v10, 1.0
	v_fmac_f32_e32 v18, v20, v18
	v_mul_f32_e32 v19, v14, v17
	v_mul_f32_e32 v20, v16, v18
	v_fma_f32 v21, -v9, v19, v14
	v_fma_f32 v22, -v15, v20, v16
	v_fmac_f32_e32 v19, v21, v17
	v_fmac_f32_e32 v20, v22, v18
	v_fma_f32 v9, -v9, v19, v14
	v_fma_f32 v14, -v15, v20, v16
	v_div_fmas_f32 v9, v9, v17, v19
	s_mov_b64 vcc, s[2:3]
	v_div_fixup_f32 v11, v9, v11, 1.0
	v_div_fmas_f32 v9, v14, v18, v20
	v_div_fixup_f32 v10, v9, v10, 1.0
	s_waitcnt vmcnt(0)
	v_pk_add_f32 v[10:11], v[12:13], v[10:11]
	ds_write_b64 v3, v[10:11]
	v_add_u32_e32 v3, s23, v3
	s_andn2_b64 exec, exec, s[20:21]
	s_cbranch_execnz .LBB112_2
.LBB112_3:
	s_or_b64 exec, exec, s[8:9]
	s_ashr_i32 s2, s12, 31
	s_lshr_b32 s3, s2, 29
	s_add_i32 s3, s12, s3
	s_ashr_i32 s15, s3, 3
	s_lshl_b32 s3, s12, 2
	s_add_i32 s28, s3, 0
	v_cmp_gt_u32_e32 vcc, 64, v0
	s_waitcnt lgkmcnt(0)
	s_barrier
	s_and_saveexec_b64 s[20:21], vcc
	s_cbranch_execz .LBB112_12
; %bb.4:
	s_load_dword s8, s[4:5], 0x4c
	v_lshrrev_b32_e32 v2, 3, v0
	s_lshr_b32 s2, s2, 28
	v_and_b32_e32 v1, 7, v0
	s_add_i32 s2, s12, s2
	s_waitcnt lgkmcnt(0)
	s_bfe_u32 s29, s8, 0xd0003
	v_mul_lo_u32 v3, s15, v2
	s_ashr_i32 s12, s2, 4
	v_lshlrev_b32_e32 v3, 2, v3
	v_lshlrev_b32_e32 v4, 3, v1
	s_mul_i32 s8, s15, s29
	v_cmp_gt_i32_e32 vcc, s12, v1
	v_cmp_eq_u32_e64 s[2:3], 0, v1
	v_add3_u32 v3, v3, v4, 0
	s_lshl_b32 s30, s8, 2
	s_mov_b64 s[22:23], 0
	s_branch .LBB112_6
.LBB112_5:                              ;   in Loop: Header=BB112_6 Depth=1
	s_or_b64 exec, exec, s[24:25]
	v_add_u32_e32 v2, s29, v2
	v_cmp_lt_u32_e64 s[8:9], 7, v2
	s_or_b64 s[22:23], s[8:9], s[22:23]
	v_add_u32_e32 v3, s30, v3
	s_andn2_b64 exec, exec, s[22:23]
	s_cbranch_execz .LBB112_12
.LBB112_6:                              ; =>This Loop Header: Depth=1
                                        ;     Child Loop BB112_8 Depth 2
	v_mov_b32_e32 v4, 0xff800000
	v_mov_b32_e32 v7, 0xff800000
	s_and_saveexec_b64 s[24:25], vcc
	s_cbranch_execz .LBB112_10
; %bb.7:                                ;   in Loop: Header=BB112_6 Depth=1
	s_mov_b64 s[26:27], 0
	v_mov_b32_e32 v4, 0xff800000
	v_mov_b32_e32 v5, v3
	;; [unrolled: 1-line block ×4, first 2 shown]
.LBB112_8:                              ;   Parent Loop BB112_6 Depth=1
                                        ; =>  This Inner Loop Header: Depth=2
	ds_read_b64 v[8:9], v5
	v_add_u32_e32 v6, 8, v6
	v_max_f32_e32 v7, v7, v7
	v_cmp_le_i32_e64 s[8:9], s12, v6
	s_or_b64 s[26:27], s[8:9], s[26:27]
	s_waitcnt lgkmcnt(0)
	v_max_f32_e32 v11, v8, v8
	v_max_f32_e32 v7, v11, v7
	v_cmp_gt_f32_e64 s[8:9], v8, v4
	v_max_f32_e32 v10, v4, v4
	v_cndmask_b32_e64 v7, v7, v4, s[8:9]
	v_max_f32_e32 v12, v9, v9
	v_max_f32_e32 v10, v11, v10
	;; [unrolled: 1-line block ×4, first 2 shown]
	v_cmp_gt_f32_e64 s[8:9], v9, v10
	v_add_u32_e32 v5, 64, v5
	v_max_f32_e32 v4, v12, v10
	v_cndmask_b32_e64 v7, v7, v10, s[8:9]
	s_andn2_b64 exec, exec, s[26:27]
	s_cbranch_execnz .LBB112_8
; %bb.9:                                ;   in Loop: Header=BB112_6 Depth=1
	s_or_b64 exec, exec, s[26:27]
.LBB112_10:                             ;   in Loop: Header=BB112_6 Depth=1
	s_or_b64 exec, exec, s[24:25]
	v_mov_b32_dpp v5, v4 quad_perm:[1,0,3,2] row_mask:0xf bank_mask:0xf bound_ctrl:1
	v_mov_b32_dpp v6, v7 quad_perm:[1,0,3,2] row_mask:0xf bank_mask:0xf bound_ctrl:1
	v_max_f32_e32 v8, v5, v5
	v_max_f32_e32 v7, v7, v7
	;; [unrolled: 1-line block ×3, first 2 shown]
	v_cmp_lt_f32_e64 s[8:9], v4, v5
	v_cndmask_b32_e64 v5, v7, v4, s[8:9]
	v_max_f32_e32 v4, v4, v4
	v_max_f32_e32 v4, v8, v4
	;; [unrolled: 1-line block ×5, first 2 shown]
	s_nop 0
	v_mov_b32_dpp v6, v4 quad_perm:[2,3,0,1] row_mask:0xf bank_mask:0xf bound_ctrl:1
	v_max_f32_e32 v8, v6, v6
	v_mov_b32_dpp v7, v5 quad_perm:[2,3,0,1] row_mask:0xf bank_mask:0xf bound_ctrl:1
	v_max_f32_e32 v5, v8, v5
	v_cmp_lt_f32_e64 s[8:9], v4, v6
	v_cndmask_b32_e64 v5, v5, v4, s[8:9]
	v_max_f32_e32 v6, v7, v7
	v_max_f32_e32 v4, v8, v4
	;; [unrolled: 1-line block ×3, first 2 shown]
	s_nop 0
	v_mov_b32_dpp v6, v4 row_half_mirror row_mask:0xf bank_mask:0xf bound_ctrl:1
	v_mov_b32_dpp v5, v7 row_half_mirror row_mask:0xf bank_mask:0xf bound_ctrl:1
	s_and_saveexec_b64 s[24:25], s[2:3]
	s_cbranch_execz .LBB112_5
; %bb.11:                               ;   in Loop: Header=BB112_6 Depth=1
	v_max_f32_e32 v7, v7, v7
	v_max_f32_e32 v9, v6, v6
	;; [unrolled: 1-line block ×3, first 2 shown]
	v_cmp_lt_f32_e64 s[8:9], v4, v6
	v_cndmask_b32_e64 v6, v7, v4, s[8:9]
	v_max_f32_e32 v6, v6, v6
	v_max_f32_e32 v5, v5, v5
	;; [unrolled: 1-line block ×5, first 2 shown]
	v_lshl_add_u32 v8, v2, 2, s28
	v_add_f32_e32 v4, v4, v5
	ds_write_b32 v8, v4
	s_branch .LBB112_5
.LBB112_12:
	s_or_b64 exec, exec, s[20:21]
	s_cmp_lt_i32 s14, 1
	s_waitcnt lgkmcnt(0)
	s_barrier
	s_cbranch_scc1 .LBB112_15
; %bb.13:
	v_mov_b32_e32 v1, s28
	s_mov_b32 s2, 0xff800000
	v_mov_b32_e32 v2, 0xff800000
.LBB112_14:                             ; =>This Inner Loop Header: Depth=1
	ds_read2_b32 v[4:5], v1 offset1:1
	ds_read2_b32 v[6:7], v1 offset0:2 offset1:3
	ds_read2_b32 v[8:9], v1 offset0:4 offset1:5
	;; [unrolled: 1-line block ×3, first 2 shown]
	s_waitcnt lgkmcnt(3)
	v_cmp_nlg_f32_e32 vcc, s2, v4
	v_cndmask_b32_e64 v3, 0, 1, vcc
	v_cmp_lg_f32_e32 vcc, s2, v4
	v_readfirstlane_b32 s3, v3
	v_cndmask_b32_e32 v3, v2, v4, vcc
	v_cmp_gt_f32_e32 vcc, v5, v3
	s_lshl_b32 s3, s3, 3
	v_cndmask_b32_e32 v3, v3, v5, vcc
	s_and_b64 s[8:9], vcc, exec
	s_waitcnt lgkmcnt(2)
	v_cmp_gt_f32_e32 vcc, v6, v3
	v_cndmask_b32_e32 v3, v3, v6, vcc
	s_cselect_b32 s3, 1, s3
	s_and_b64 s[8:9], vcc, exec
	v_cmp_gt_f32_e32 vcc, v7, v3
	v_cndmask_b32_e32 v3, v3, v7, vcc
	s_cselect_b32 s3, 2, s3
	s_and_b64 s[8:9], vcc, exec
	s_waitcnt lgkmcnt(1)
	v_cmp_gt_f32_e32 vcc, v8, v3
	v_cndmask_b32_e32 v3, v3, v8, vcc
	s_cselect_b32 s3, 3, s3
	s_and_b64 s[8:9], vcc, exec
	v_cmp_gt_f32_e32 vcc, v9, v3
	v_cndmask_b32_e32 v3, v3, v9, vcc
	s_cselect_b32 s3, 4, s3
	s_and_b64 s[8:9], vcc, exec
	s_waitcnt lgkmcnt(0)
	v_cmp_gt_f32_e32 vcc, v10, v3
	v_cndmask_b32_e32 v3, v3, v10, vcc
	s_cselect_b32 s3, 5, s3
	s_and_b64 s[8:9], vcc, exec
	v_cmp_ngt_f32_e32 vcc, v11, v3
	s_cselect_b32 s3, 6, s3
	s_and_b64 s[8:9], vcc, exec
	s_cselect_b32 s3, s3, 7
	s_lshl_b32 s3, s3, 2
	s_add_i32 s3, s28, s3
	s_add_i32 s14, s14, -1
	v_mov_b32_e32 v3, s3
	s_cmp_lg_u32 s14, 0
	ds_write_b32 v3, v2
	s_cbranch_scc1 .LBB112_14
.LBB112_15:
	v_lshlrev_b32_e32 v1, 1, v0
	v_lshl_add_u32 v4, v0, 3, 0
	s_and_saveexec_b64 s[2:3], s[0:1]
	s_cbranch_execz .LBB112_20
; %bb.16:
	s_abs_i32 s12, s15
	v_cvt_f32_u32_e32 v2, s12
	s_load_dword s14, s[4:5], 0x4c
	s_ashr_i32 s20, s15, 31
	s_sub_i32 s15, 0, s12
	v_rcp_iflag_f32_e32 v2, v2
	v_lshlrev_b32_e32 v5, 1, v0
	s_waitcnt lgkmcnt(0)
	s_and_b32 s21, s14, 0xffff
	v_lshl_add_u32 v6, v0, 3, 0
	v_mul_f32_e32 v2, 0x4f7ffffe, v2
	v_cvt_u32_f32_e32 v2, v2
	s_mov_b64 s[8:9], 0
	s_lshl_b32 s22, s21, 1
	s_lshl_b32 s23, s21, 3
	v_mul_lo_u32 v3, s15, v2
	v_mul_hi_u32 v3, v2, v3
	v_add_u32_e32 v7, v2, v3
	s_mov_b32 s24, 0xff800000
	v_mov_b32_e32 v2, 0xff800000
	v_mov_b32_e32 v8, v0
	s_branch .LBB112_18
.LBB112_17:                             ;   in Loop: Header=BB112_18 Depth=1
	s_or_b64 exec, exec, s[14:15]
	v_add_u32_e32 v8, s21, v8
	v_cmp_le_i32_e32 vcc, s7, v8
	v_add_u32_e32 v5, s22, v5
	s_or_b64 s[8:9], vcc, s[8:9]
	v_add_u32_e32 v6, s23, v6
	s_andn2_b64 exec, exec, s[8:9]
	s_cbranch_execz .LBB112_20
.LBB112_18:                             ; =>This Inner Loop Header: Depth=1
	v_mul_hi_u32 v3, v5, v7
	v_mul_lo_u32 v9, v3, s12
	v_sub_u32_e32 v9, v5, v9
	v_add_u32_e32 v10, 1, v3
	v_cmp_le_u32_e32 vcc, s12, v9
	v_cndmask_b32_e32 v3, v3, v10, vcc
	v_subrev_u32_e32 v10, s12, v9
	v_cndmask_b32_e32 v9, v9, v10, vcc
	v_add_u32_e32 v10, 1, v3
	v_cmp_le_u32_e32 vcc, s12, v9
	v_cndmask_b32_e32 v3, v3, v10, vcc
	v_xor_b32_e32 v3, s20, v3
	v_subrev_u32_e32 v3, s20, v3
	v_lshl_add_u32 v3, v3, 2, s28
	ds_read_b32 v3, v3
	s_waitcnt lgkmcnt(0)
	v_cmp_neq_f32_e32 vcc, s24, v3
	s_and_saveexec_b64 s[14:15], vcc
	s_cbranch_execz .LBB112_17
; %bb.19:                               ;   in Loop: Header=BB112_18 Depth=1
	v_mov_b32_e32 v3, v2
	ds_write_b64 v6, v[2:3]
	s_branch .LBB112_17
.LBB112_20:
	s_or_b64 exec, exec, s[2:3]
	s_cmp_lt_i32 s13, 1
	s_waitcnt lgkmcnt(0)
	s_barrier
	s_cbranch_scc1 .LBB112_27
; %bb.21:
	s_add_u32 s2, s4, 64
	s_addc_u32 s3, s5, 0
	s_mov_b32 s12, 0
	v_mov_b32_e32 v5, 0xff800000
                                        ; implicit-def: $vgpr3
                                        ; implicit-def: $vgpr2
	s_branch .LBB112_23
.LBB112_22:                             ;   in Loop: Header=BB112_23 Depth=1
	s_or_b64 exec, exec, s[8:9]
	v_mov_b32_dpp v9, v7 quad_perm:[1,0,3,2] row_mask:0xf bank_mask:0xf
	v_cmp_lt_f32_e32 vcc, v7, v9
	v_cndmask_b32_e32 v7, v7, v9, vcc
	v_mov_b32_dpp v8, v6 quad_perm:[1,0,3,2] row_mask:0xf bank_mask:0xf
	v_cndmask_b32_e32 v6, v6, v8, vcc
	v_mov_b32_dpp v9, v7 quad_perm:[2,3,0,1] row_mask:0xf bank_mask:0xf
	v_cmp_gt_f32_e32 vcc, v9, v7
	v_cndmask_b32_e32 v7, v7, v9, vcc
	v_mov_b32_dpp v8, v6 quad_perm:[2,3,0,1] row_mask:0xf bank_mask:0xf
	v_cndmask_b32_e32 v6, v6, v8, vcc
	v_mov_b32_dpp v9, v7 row_half_mirror row_mask:0xf bank_mask:0xf
	v_cmp_gt_f32_e32 vcc, v9, v7
	v_cndmask_b32_e32 v7, v7, v9, vcc
	v_mov_b32_dpp v8, v6 row_half_mirror row_mask:0xf bank_mask:0xf
	v_cndmask_b32_e32 v6, v6, v8, vcc
	v_mov_b32_dpp v9, v7 row_mirror row_mask:0xf bank_mask:0xf
	v_cmp_gt_f32_e32 vcc, v9, v7
	v_cndmask_b32_e32 v7, v7, v9, vcc
	v_mov_b32_dpp v8, v6 row_mirror row_mask:0xf bank_mask:0xf
	v_cndmask_b32_e32 v6, v6, v8, vcc
	v_mov_b32_dpp v9, v7 row_bcast:15 row_mask:0xf bank_mask:0xf
	v_cmp_gt_f32_e32 vcc, v9, v7
	v_mov_b32_dpp v8, v6 row_bcast:15 row_mask:0xf bank_mask:0xf
	v_cndmask_b32_e32 v7, v7, v9, vcc
	v_cndmask_b32_e32 v6, v6, v8, vcc
	s_nop 0
	v_mov_b32_dpp v9, v7 row_bcast:31 row_mask:0xf bank_mask:0xf
	v_mov_b32_dpp v8, v6 row_bcast:31 row_mask:0xf bank_mask:0xf
	v_cmp_gt_f32_e32 vcc, v9, v7
	v_cndmask_b32_e32 v6, v6, v8, vcc
	v_readlane_b32 s8, v6, 63
	s_ashr_i32 s9, s8, 31
	s_lshl_b64 s[14:15], s[8:9], 2
	s_add_u32 s14, s16, s14
	s_addc_u32 s15, s17, s15
	s_load_dword s9, s[14:15], 0x0
	v_cndmask_b32_e32 v6, v7, v9, vcc
	v_readlane_b32 s14, v6, 63
	v_cmp_eq_u32_e32 vcc, s12, v0
	s_add_i32 s12, s12, 1
	s_waitcnt lgkmcnt(0)
	v_mov_b32_e32 v6, s9
	s_lshl_b32 s9, s8, 2
	s_add_i32 s9, s9, 0
	v_mov_b32_e32 v7, s9
	v_sub_f32_e32 v6, s14, v6
	ds_write_b32 v7, v5
	v_mov_b32_e32 v7, s8
	v_cndmask_b32_e32 v2, v2, v7, vcc
	s_cmp_eq_u32 s12, s13
	v_cndmask_b32_e32 v3, v3, v6, vcc
	s_cbranch_scc1 .LBB112_28
.LBB112_23:                             ; =>This Loop Header: Depth=1
                                        ;     Child Loop BB112_25 Depth 2
	v_mov_b32_e32 v6, s12
	v_mov_b32_e32 v7, 0xff800000
	s_and_saveexec_b64 s[8:9], s[0:1]
	s_cbranch_execz .LBB112_22
; %bb.24:                               ;   in Loop: Header=BB112_23 Depth=1
	s_load_dword s20, s[2:3], 0xc
	s_mov_b64 s[14:15], 0
	v_mov_b32_e32 v6, s12
	v_mov_b32_e32 v7, 0xff800000
	;; [unrolled: 1-line block ×3, first 2 shown]
	s_waitcnt lgkmcnt(0)
	s_and_b32 s20, s20, 0xffff
	s_lshl_b32 s21, s20, 1
	s_lshl_b32 s22, s20, 3
	v_mov_b32_e32 v9, v1
	v_mov_b32_e32 v10, v0
.LBB112_25:                             ;   Parent Loop BB112_23 Depth=1
                                        ; =>  This Inner Loop Header: Depth=2
	ds_read_b64 v[12:13], v8
	v_add_u32_e32 v10, s20, v10
	v_cmp_le_i32_e32 vcc, s7, v10
	s_or_b64 s[14:15], vcc, s[14:15]
	v_add_u32_e32 v11, 1, v9
	s_waitcnt lgkmcnt(0)
	v_cmp_gt_f32_e32 vcc, v12, v7
	v_cndmask_b32_e32 v7, v7, v12, vcc
	v_cndmask_b32_e32 v6, v6, v9, vcc
	v_cmp_gt_f32_e32 vcc, v13, v7
	v_add_u32_e32 v8, s22, v8
	v_cndmask_b32_e32 v7, v7, v13, vcc
	v_add_u32_e32 v9, s21, v9
	v_cndmask_b32_e32 v6, v6, v11, vcc
	s_andn2_b64 exec, exec, s[14:15]
	s_cbranch_execnz .LBB112_25
; %bb.26:                               ;   in Loop: Header=BB112_23 Depth=1
	s_or_b64 exec, exec, s[14:15]
	s_branch .LBB112_22
.LBB112_27:
                                        ; implicit-def: $vgpr3
                                        ; implicit-def: $vgpr2
.LBB112_28:
	v_cmp_gt_i32_e32 vcc, s13, v0
	s_and_saveexec_b64 s[0:1], vcc
	s_cbranch_execz .LBB112_31
; %bb.29:
	s_load_dword s2, s[4:5], 0x38
	s_load_dwordx2 s[0:1], s[4:5], 0x20
	s_ashr_i32 s3, s6, 31
	s_load_dword s4, s[4:5], 0x4c
	v_mov_b32_e32 v4, s19
	s_waitcnt lgkmcnt(0)
	v_mul_f32_e32 v1, s2, v3
	s_mul_i32 s1, s6, s1
	s_mul_hi_u32 s2, s6, s0
	s_add_i32 s1, s2, s1
	s_mul_i32 s3, s3, s0
	s_add_i32 s5, s1, s3
	s_mul_i32 s2, s6, s0
	s_and_b32 s3, s4, 0xffff
	s_mov_b64 s[0:1], 0
	v_mov_b32_e32 v3, s5
	v_mov_b32_e32 v5, s11
.LBB112_30:                             ; =>This Inner Loop Header: Depth=1
	v_ashrrev_i32_e32 v7, 31, v0
	v_add_co_u32_e32 v6, vcc, s2, v0
	v_addc_co_u32_e32 v7, vcc, v3, v7, vcc
	v_add_u32_e32 v0, s3, v0
	v_cmp_le_i32_e32 vcc, s13, v0
	v_lshlrev_b64 v[6:7], 2, v[6:7]
	s_or_b64 s[0:1], vcc, s[0:1]
	v_add_co_u32_e32 v8, vcc, s18, v6
	v_addc_co_u32_e32 v9, vcc, v4, v7, vcc
	v_add_co_u32_e32 v6, vcc, s10, v6
	v_addc_co_u32_e32 v7, vcc, v5, v7, vcc
	global_store_dword v[8:9], v1, off
	global_store_dword v[6:7], v2, off
	s_andn2_b64 exec, exec, s[0:1]
	s_cbranch_execnz .LBB112_30
.LBB112_31:
	s_endpgm
	.section	.rodata,"a",@progbits
	.p2align	6, 0x0
	.amdhsa_kernel _ZN5aiter19grouped_topk_kernelIfDv2_fLi8ELb0ELb1ELb0EEEvPT_PKS2_PfPimiiiif
		.amdhsa_group_segment_fixed_size 0
		.amdhsa_private_segment_fixed_size 0
		.amdhsa_kernarg_size 320
		.amdhsa_user_sgpr_count 6
		.amdhsa_user_sgpr_private_segment_buffer 1
		.amdhsa_user_sgpr_dispatch_ptr 0
		.amdhsa_user_sgpr_queue_ptr 0
		.amdhsa_user_sgpr_kernarg_segment_ptr 1
		.amdhsa_user_sgpr_dispatch_id 0
		.amdhsa_user_sgpr_flat_scratch_init 0
		.amdhsa_user_sgpr_kernarg_preload_length 0
		.amdhsa_user_sgpr_kernarg_preload_offset 0
		.amdhsa_user_sgpr_private_segment_size 0
		.amdhsa_uses_dynamic_stack 0
		.amdhsa_system_sgpr_private_segment_wavefront_offset 0
		.amdhsa_system_sgpr_workgroup_id_x 1
		.amdhsa_system_sgpr_workgroup_id_y 0
		.amdhsa_system_sgpr_workgroup_id_z 0
		.amdhsa_system_sgpr_workgroup_info 0
		.amdhsa_system_vgpr_workitem_id 0
		.amdhsa_next_free_vgpr 23
		.amdhsa_next_free_sgpr 31
		.amdhsa_accum_offset 24
		.amdhsa_reserve_vcc 1
		.amdhsa_reserve_flat_scratch 0
		.amdhsa_float_round_mode_32 0
		.amdhsa_float_round_mode_16_64 0
		.amdhsa_float_denorm_mode_32 3
		.amdhsa_float_denorm_mode_16_64 3
		.amdhsa_dx10_clamp 1
		.amdhsa_ieee_mode 1
		.amdhsa_fp16_overflow 0
		.amdhsa_tg_split 0
		.amdhsa_exception_fp_ieee_invalid_op 0
		.amdhsa_exception_fp_denorm_src 0
		.amdhsa_exception_fp_ieee_div_zero 0
		.amdhsa_exception_fp_ieee_overflow 0
		.amdhsa_exception_fp_ieee_underflow 0
		.amdhsa_exception_fp_ieee_inexact 0
		.amdhsa_exception_int_div_zero 0
	.end_amdhsa_kernel
	.section	.text._ZN5aiter19grouped_topk_kernelIfDv2_fLi8ELb0ELb1ELb0EEEvPT_PKS2_PfPimiiiif,"axG",@progbits,_ZN5aiter19grouped_topk_kernelIfDv2_fLi8ELb0ELb1ELb0EEEvPT_PKS2_PfPimiiiif,comdat
.Lfunc_end112:
	.size	_ZN5aiter19grouped_topk_kernelIfDv2_fLi8ELb0ELb1ELb0EEEvPT_PKS2_PfPimiiiif, .Lfunc_end112-_ZN5aiter19grouped_topk_kernelIfDv2_fLi8ELb0ELb1ELb0EEEvPT_PKS2_PfPimiiiif
                                        ; -- End function
	.section	.AMDGPU.csdata,"",@progbits
; Kernel info:
; codeLenInByte = 2312
; NumSgprs: 35
; NumVgprs: 23
; NumAgprs: 0
; TotalNumVgprs: 23
; ScratchSize: 0
; MemoryBound: 0
; FloatMode: 240
; IeeeMode: 1
; LDSByteSize: 0 bytes/workgroup (compile time only)
; SGPRBlocks: 4
; VGPRBlocks: 2
; NumSGPRsForWavesPerEU: 35
; NumVGPRsForWavesPerEU: 23
; AccumOffset: 24
; Occupancy: 8
; WaveLimiterHint : 0
; COMPUTE_PGM_RSRC2:SCRATCH_EN: 0
; COMPUTE_PGM_RSRC2:USER_SGPR: 6
; COMPUTE_PGM_RSRC2:TRAP_HANDLER: 0
; COMPUTE_PGM_RSRC2:TGID_X_EN: 1
; COMPUTE_PGM_RSRC2:TGID_Y_EN: 0
; COMPUTE_PGM_RSRC2:TGID_Z_EN: 0
; COMPUTE_PGM_RSRC2:TIDIG_COMP_CNT: 0
; COMPUTE_PGM_RSRC3_GFX90A:ACCUM_OFFSET: 5
; COMPUTE_PGM_RSRC3_GFX90A:TG_SPLIT: 0
	.section	.text._ZN5aiter19grouped_topk_kernelIN3c104HalfEDv2_fLi8ELb0ELb1ELb0EEEvPT_PKS4_PfPimiiiif,"axG",@progbits,_ZN5aiter19grouped_topk_kernelIN3c104HalfEDv2_fLi8ELb0ELb1ELb0EEEvPT_PKS4_PfPimiiiif,comdat
	.protected	_ZN5aiter19grouped_topk_kernelIN3c104HalfEDv2_fLi8ELb0ELb1ELb0EEEvPT_PKS4_PfPimiiiif ; -- Begin function _ZN5aiter19grouped_topk_kernelIN3c104HalfEDv2_fLi8ELb0ELb1ELb0EEEvPT_PKS4_PfPimiiiif
	.globl	_ZN5aiter19grouped_topk_kernelIN3c104HalfEDv2_fLi8ELb0ELb1ELb0EEEvPT_PKS4_PfPimiiiif
	.p2align	8
	.type	_ZN5aiter19grouped_topk_kernelIN3c104HalfEDv2_fLi8ELb0ELb1ELb0EEEvPT_PKS4_PfPimiiiif,@function
_ZN5aiter19grouped_topk_kernelIN3c104HalfEDv2_fLi8ELb0ELb1ELb0EEEvPT_PKS4_PfPimiiiif: ; @_ZN5aiter19grouped_topk_kernelIN3c104HalfEDv2_fLi8ELb0ELb1ELb0EEEvPT_PKS4_PfPimiiiif
; %bb.0:
	s_load_dwordx4 s[12:15], s[4:5], 0x28
	s_load_dwordx4 s[16:19], s[4:5], 0x8
	s_load_dwordx2 s[10:11], s[4:5], 0x18
	v_lshl_add_u32 v4, v0, 3, 0
	s_waitcnt lgkmcnt(0)
	s_lshr_b32 s0, s12, 31
	s_add_i32 s0, s12, s0
	s_ashr_i32 s7, s0, 1
	v_cmp_gt_i32_e64 s[0:1], s7, v0
	s_and_saveexec_b64 s[8:9], s[0:1]
	s_cbranch_execz .LBB113_3
; %bb.1:
	s_load_dwordx2 s[2:3], s[4:5], 0x0
	s_load_dword s22, s[4:5], 0x4c
	s_mul_i32 s20, s6, s12
	s_ashr_i32 s21, s20, 31
	s_lshl_b64 s[20:21], s[20:21], 1
	s_waitcnt lgkmcnt(0)
	s_add_u32 s15, s2, s20
	s_addc_u32 s2, s3, s21
	s_and_b32 s22, s22, 0xffff
	s_mov_b32 s3, 0
	v_lshlrev_b32_e32 v2, 2, v0
	v_mov_b32_e32 v1, 0
	s_lshl_b32 s23, s22, 2
	v_lshl_add_u32 v3, v0, 3, 0
	s_lshl_b32 s24, s22, 3
	s_mov_b64 s[20:21], 0
	v_mov_b32_e32 v5, s2
	v_mov_b32_e32 v6, s17
	s_mov_b32 s25, 0x3fb8aa3b
	s_mov_b32 s26, 0x32a5705f
	;; [unrolled: 1-line block ×4, first 2 shown]
	v_mov_b32_e32 v7, 0x7f800000
	v_mov_b32_e32 v8, s3
	;; [unrolled: 1-line block ×3, first 2 shown]
.LBB113_2:                              ; =>This Inner Loop Header: Depth=1
	v_add_co_u32_e32 v10, vcc, s15, v2
	v_addc_co_u32_e32 v11, vcc, v5, v1, vcc
	v_add_co_u32_e32 v12, vcc, s16, v2
	v_addc_co_u32_e32 v13, vcc, v6, v1, vcc
	global_load_dword v14, v[10:11], off
	global_load_dword v15, v[12:13], off
	v_add_co_u32_e32 v2, vcc, s23, v2
	v_add_u32_e32 v9, s22, v9
	v_addc_co_u32_e32 v1, vcc, v1, v8, vcc
	v_cmp_le_i32_e32 vcc, s7, v9
	s_or_b64 s[20:21], vcc, s[20:21]
	s_waitcnt vmcnt(1)
	v_cvt_f32_f16_e64 v12, -v14
	v_cvt_f32_f16_sdwa v13, -v14 dst_sel:DWORD dst_unused:UNUSED_PAD src0_sel:WORD_1
	s_waitcnt vmcnt(0)
	v_cvt_f32_f16_e32 v10, v15
	v_cvt_f32_f16_sdwa v11, v15 dst_sel:DWORD dst_unused:UNUSED_PAD src0_sel:WORD_1
	v_mul_f32_e32 v15, 0x3fb8aa3b, v12
	v_mul_f32_e32 v16, 0x3fb8aa3b, v13
	v_fma_mix_f32 v17, -v14, s25, -v15 op_sel_hi:[1,0,0]
	v_rndne_f32_e32 v18, v15
	v_fma_mix_f32 v19, -v14, s25, -v16 op_sel:[1,0,0] op_sel_hi:[1,0,0]
	v_rndne_f32_e32 v20, v16
	v_fma_mix_f32 v17, -v14, s26, v17 op_sel_hi:[1,0,0]
	v_sub_f32_e32 v15, v15, v18
	v_fma_mix_f32 v14, -v14, s26, v19 op_sel:[1,0,0] op_sel_hi:[1,0,0]
	v_sub_f32_e32 v16, v16, v20
	v_add_f32_e32 v15, v15, v17
	v_add_f32_e32 v14, v16, v14
	v_cvt_i32_f32_e32 v18, v18
	v_cvt_i32_f32_e32 v19, v20
	v_exp_f32_e32 v15, v15
	v_exp_f32_e32 v14, v14
	v_cmp_ngt_f32_e32 vcc, s27, v13
	v_cmp_ngt_f32_e64 s[2:3], s27, v12
	v_ldexp_f32 v15, v15, v18
	v_ldexp_f32 v14, v14, v19
	v_cndmask_b32_e64 v15, 0, v15, s[2:3]
	v_cndmask_b32_e32 v14, 0, v14, vcc
	v_cmp_nlt_f32_e32 vcc, s28, v13
	v_cmp_nlt_f32_e64 s[2:3], s28, v12
	v_cndmask_b32_e64 v12, v7, v15, s[2:3]
	v_cndmask_b32_e32 v13, v7, v14, vcc
	v_pk_add_f32 v[12:13], v[12:13], 1.0 op_sel_hi:[1,0]
	v_div_scale_f32 v14, s[2:3], v13, v13, 1.0
	v_div_scale_f32 v16, s[2:3], v12, v12, 1.0
	v_rcp_f32_e32 v18, v14
	v_rcp_f32_e32 v19, v16
	v_div_scale_f32 v15, vcc, 1.0, v13, 1.0
	v_fma_f32 v20, -v14, v18, 1.0
	v_fma_f32 v21, -v16, v19, 1.0
	v_fmac_f32_e32 v18, v20, v18
	v_div_scale_f32 v17, s[2:3], 1.0, v12, 1.0
	v_fmac_f32_e32 v19, v21, v19
	v_mul_f32_e32 v20, v15, v18
	v_mul_f32_e32 v21, v17, v19
	v_fma_f32 v22, -v14, v20, v15
	v_fma_f32 v23, -v16, v21, v17
	v_fmac_f32_e32 v20, v22, v18
	v_fmac_f32_e32 v21, v23, v19
	v_fma_f32 v14, -v14, v20, v15
	v_fma_f32 v15, -v16, v21, v17
	v_div_fmas_f32 v14, v14, v18, v20
	s_mov_b64 vcc, s[2:3]
	v_div_fixup_f32 v13, v14, v13, 1.0
	v_div_fmas_f32 v14, v15, v19, v21
	v_div_fixup_f32 v12, v14, v12, 1.0
	v_pk_add_f32 v[10:11], v[12:13], v[10:11]
	ds_write_b64 v3, v[10:11]
	v_add_u32_e32 v3, s24, v3
	s_andn2_b64 exec, exec, s[20:21]
	s_cbranch_execnz .LBB113_2
.LBB113_3:
	s_or_b64 exec, exec, s[8:9]
	s_ashr_i32 s2, s12, 31
	s_lshr_b32 s3, s2, 29
	s_add_i32 s3, s12, s3
	s_ashr_i32 s15, s3, 3
	s_lshl_b32 s3, s12, 2
	s_add_i32 s28, s3, 0
	v_cmp_gt_u32_e32 vcc, 64, v0
	s_waitcnt lgkmcnt(0)
	s_barrier
	s_and_saveexec_b64 s[20:21], vcc
	s_cbranch_execz .LBB113_12
; %bb.4:
	s_load_dword s8, s[4:5], 0x4c
	v_lshrrev_b32_e32 v2, 3, v0
	s_lshr_b32 s2, s2, 28
	v_and_b32_e32 v1, 7, v0
	s_add_i32 s2, s12, s2
	s_waitcnt lgkmcnt(0)
	s_bfe_u32 s29, s8, 0xd0003
	v_mul_lo_u32 v3, s15, v2
	s_ashr_i32 s12, s2, 4
	v_lshlrev_b32_e32 v3, 2, v3
	v_lshlrev_b32_e32 v5, 3, v1
	s_mul_i32 s8, s15, s29
	v_cmp_gt_i32_e32 vcc, s12, v1
	v_cmp_eq_u32_e64 s[2:3], 0, v1
	v_add3_u32 v3, v3, v5, 0
	s_lshl_b32 s30, s8, 2
	s_mov_b64 s[22:23], 0
	s_branch .LBB113_6
.LBB113_5:                              ;   in Loop: Header=BB113_6 Depth=1
	s_or_b64 exec, exec, s[24:25]
	v_add_u32_e32 v2, s29, v2
	v_cmp_lt_u32_e64 s[8:9], 7, v2
	s_or_b64 s[22:23], s[8:9], s[22:23]
	v_add_u32_e32 v3, s30, v3
	s_andn2_b64 exec, exec, s[22:23]
	s_cbranch_execz .LBB113_12
.LBB113_6:                              ; =>This Loop Header: Depth=1
                                        ;     Child Loop BB113_8 Depth 2
	v_mov_b32_e32 v5, 0xff800000
	v_mov_b32_e32 v8, 0xff800000
	s_and_saveexec_b64 s[24:25], vcc
	s_cbranch_execz .LBB113_10
; %bb.7:                                ;   in Loop: Header=BB113_6 Depth=1
	s_mov_b64 s[26:27], 0
	v_mov_b32_e32 v5, 0xff800000
	v_mov_b32_e32 v6, v3
	;; [unrolled: 1-line block ×4, first 2 shown]
.LBB113_8:                              ;   Parent Loop BB113_6 Depth=1
                                        ; =>  This Inner Loop Header: Depth=2
	ds_read_b64 v[10:11], v6
	v_add_u32_e32 v7, 8, v7
	v_max_f32_e32 v8, v8, v8
	v_cmp_le_i32_e64 s[8:9], s12, v7
	s_or_b64 s[26:27], s[8:9], s[26:27]
	s_waitcnt lgkmcnt(0)
	v_max_f32_e32 v12, v10, v10
	v_max_f32_e32 v8, v12, v8
	v_cmp_gt_f32_e64 s[8:9], v10, v5
	v_max_f32_e32 v9, v5, v5
	v_cndmask_b32_e64 v8, v8, v5, s[8:9]
	v_max_f32_e32 v13, v11, v11
	v_max_f32_e32 v9, v12, v9
	;; [unrolled: 1-line block ×4, first 2 shown]
	v_cmp_gt_f32_e64 s[8:9], v11, v9
	v_add_u32_e32 v6, 64, v6
	v_max_f32_e32 v5, v13, v9
	v_cndmask_b32_e64 v8, v8, v9, s[8:9]
	s_andn2_b64 exec, exec, s[26:27]
	s_cbranch_execnz .LBB113_8
; %bb.9:                                ;   in Loop: Header=BB113_6 Depth=1
	s_or_b64 exec, exec, s[26:27]
.LBB113_10:                             ;   in Loop: Header=BB113_6 Depth=1
	s_or_b64 exec, exec, s[24:25]
	v_mov_b32_dpp v6, v5 quad_perm:[1,0,3,2] row_mask:0xf bank_mask:0xf bound_ctrl:1
	v_mov_b32_dpp v7, v8 quad_perm:[1,0,3,2] row_mask:0xf bank_mask:0xf bound_ctrl:1
	v_max_f32_e32 v9, v6, v6
	v_max_f32_e32 v8, v8, v8
	;; [unrolled: 1-line block ×3, first 2 shown]
	v_cmp_lt_f32_e64 s[8:9], v5, v6
	v_cndmask_b32_e64 v6, v8, v5, s[8:9]
	v_max_f32_e32 v5, v5, v5
	v_max_f32_e32 v5, v9, v5
	v_max_f32_e32 v6, v6, v6
	v_max_f32_e32 v7, v7, v7
	v_max_f32_e32 v6, v6, v7
	s_nop 0
	v_mov_b32_dpp v7, v5 quad_perm:[2,3,0,1] row_mask:0xf bank_mask:0xf bound_ctrl:1
	v_max_f32_e32 v9, v7, v7
	v_mov_b32_dpp v8, v6 quad_perm:[2,3,0,1] row_mask:0xf bank_mask:0xf bound_ctrl:1
	v_max_f32_e32 v6, v9, v6
	v_cmp_lt_f32_e64 s[8:9], v5, v7
	v_cndmask_b32_e64 v6, v6, v5, s[8:9]
	v_max_f32_e32 v7, v8, v8
	v_max_f32_e32 v5, v9, v5
	v_max_f32_e32 v8, v6, v7
	s_nop 0
	v_mov_b32_dpp v7, v5 row_half_mirror row_mask:0xf bank_mask:0xf bound_ctrl:1
	v_mov_b32_dpp v6, v8 row_half_mirror row_mask:0xf bank_mask:0xf bound_ctrl:1
	s_and_saveexec_b64 s[24:25], s[2:3]
	s_cbranch_execz .LBB113_5
; %bb.11:                               ;   in Loop: Header=BB113_6 Depth=1
	v_max_f32_e32 v8, v8, v8
	v_max_f32_e32 v10, v7, v7
	;; [unrolled: 1-line block ×3, first 2 shown]
	v_cmp_lt_f32_e64 s[8:9], v5, v7
	v_cndmask_b32_e64 v7, v8, v5, s[8:9]
	v_max_f32_e32 v7, v7, v7
	v_max_f32_e32 v6, v6, v6
	;; [unrolled: 1-line block ×5, first 2 shown]
	v_lshl_add_u32 v9, v2, 2, s28
	v_add_f32_e32 v5, v5, v6
	ds_write_b32 v9, v5
	s_branch .LBB113_5
.LBB113_12:
	s_or_b64 exec, exec, s[20:21]
	s_cmp_lt_i32 s14, 1
	s_waitcnt lgkmcnt(0)
	s_barrier
	s_cbranch_scc1 .LBB113_15
; %bb.13:
	v_mov_b32_e32 v1, s28
	s_mov_b32 s2, 0xff800000
	v_mov_b32_e32 v2, 0xff800000
.LBB113_14:                             ; =>This Inner Loop Header: Depth=1
	ds_read2_b32 v[6:7], v1 offset1:1
	ds_read2_b32 v[8:9], v1 offset0:2 offset1:3
	ds_read2_b32 v[10:11], v1 offset0:4 offset1:5
	;; [unrolled: 1-line block ×3, first 2 shown]
	s_waitcnt lgkmcnt(3)
	v_cmp_nlg_f32_e32 vcc, s2, v6
	v_cndmask_b32_e64 v3, 0, 1, vcc
	v_cmp_lg_f32_e32 vcc, s2, v6
	v_readfirstlane_b32 s3, v3
	v_cndmask_b32_e32 v3, v2, v6, vcc
	v_cmp_gt_f32_e32 vcc, v7, v3
	s_lshl_b32 s3, s3, 3
	v_cndmask_b32_e32 v3, v3, v7, vcc
	s_and_b64 s[8:9], vcc, exec
	s_waitcnt lgkmcnt(2)
	v_cmp_gt_f32_e32 vcc, v8, v3
	v_cndmask_b32_e32 v3, v3, v8, vcc
	s_cselect_b32 s3, 1, s3
	s_and_b64 s[8:9], vcc, exec
	v_cmp_gt_f32_e32 vcc, v9, v3
	v_cndmask_b32_e32 v3, v3, v9, vcc
	s_cselect_b32 s3, 2, s3
	s_and_b64 s[8:9], vcc, exec
	s_waitcnt lgkmcnt(1)
	v_cmp_gt_f32_e32 vcc, v10, v3
	v_cndmask_b32_e32 v3, v3, v10, vcc
	s_cselect_b32 s3, 3, s3
	s_and_b64 s[8:9], vcc, exec
	v_cmp_gt_f32_e32 vcc, v11, v3
	v_cndmask_b32_e32 v3, v3, v11, vcc
	s_cselect_b32 s3, 4, s3
	s_and_b64 s[8:9], vcc, exec
	s_waitcnt lgkmcnt(0)
	v_cmp_gt_f32_e32 vcc, v12, v3
	v_cndmask_b32_e32 v3, v3, v12, vcc
	s_cselect_b32 s3, 5, s3
	s_and_b64 s[8:9], vcc, exec
	v_cmp_ngt_f32_e32 vcc, v13, v3
	s_cselect_b32 s3, 6, s3
	s_and_b64 s[8:9], vcc, exec
	s_cselect_b32 s3, s3, 7
	s_lshl_b32 s3, s3, 2
	s_add_i32 s3, s28, s3
	s_add_i32 s14, s14, -1
	v_mov_b32_e32 v3, s3
	s_cmp_lg_u32 s14, 0
	ds_write_b32 v3, v2
	s_cbranch_scc1 .LBB113_14
.LBB113_15:
	v_lshlrev_b32_e32 v1, 1, v0
	s_and_saveexec_b64 s[2:3], s[0:1]
	s_cbranch_execz .LBB113_20
; %bb.16:
	s_abs_i32 s12, s15
	v_cvt_f32_u32_e32 v2, s12
	s_load_dword s14, s[4:5], 0x4c
	s_ashr_i32 s20, s15, 31
	s_sub_i32 s15, 0, s12
	v_rcp_iflag_f32_e32 v2, v2
	v_lshlrev_b32_e32 v5, 1, v0
	s_waitcnt lgkmcnt(0)
	s_and_b32 s21, s14, 0xffff
	v_lshl_add_u32 v6, v0, 3, 0
	v_mul_f32_e32 v2, 0x4f7ffffe, v2
	v_cvt_u32_f32_e32 v2, v2
	s_mov_b64 s[8:9], 0
	s_lshl_b32 s22, s21, 1
	s_lshl_b32 s23, s21, 3
	v_mul_lo_u32 v3, s15, v2
	v_mul_hi_u32 v3, v2, v3
	v_add_u32_e32 v7, v2, v3
	s_mov_b32 s24, 0xff800000
	v_mov_b32_e32 v2, 0xff800000
	v_mov_b32_e32 v8, v0
	s_branch .LBB113_18
.LBB113_17:                             ;   in Loop: Header=BB113_18 Depth=1
	s_or_b64 exec, exec, s[14:15]
	v_add_u32_e32 v8, s21, v8
	v_cmp_le_i32_e32 vcc, s7, v8
	v_add_u32_e32 v5, s22, v5
	s_or_b64 s[8:9], vcc, s[8:9]
	v_add_u32_e32 v6, s23, v6
	s_andn2_b64 exec, exec, s[8:9]
	s_cbranch_execz .LBB113_20
.LBB113_18:                             ; =>This Inner Loop Header: Depth=1
	v_mul_hi_u32 v3, v5, v7
	v_mul_lo_u32 v9, v3, s12
	v_sub_u32_e32 v9, v5, v9
	v_add_u32_e32 v10, 1, v3
	v_cmp_le_u32_e32 vcc, s12, v9
	v_cndmask_b32_e32 v3, v3, v10, vcc
	v_subrev_u32_e32 v10, s12, v9
	v_cndmask_b32_e32 v9, v9, v10, vcc
	v_add_u32_e32 v10, 1, v3
	v_cmp_le_u32_e32 vcc, s12, v9
	v_cndmask_b32_e32 v3, v3, v10, vcc
	v_xor_b32_e32 v3, s20, v3
	v_subrev_u32_e32 v3, s20, v3
	v_lshl_add_u32 v3, v3, 2, s28
	ds_read_b32 v3, v3
	s_waitcnt lgkmcnt(0)
	v_cmp_neq_f32_e32 vcc, s24, v3
	s_and_saveexec_b64 s[14:15], vcc
	s_cbranch_execz .LBB113_17
; %bb.19:                               ;   in Loop: Header=BB113_18 Depth=1
	v_mov_b32_e32 v3, v2
	ds_write_b64 v6, v[2:3]
	s_branch .LBB113_17
.LBB113_20:
	s_or_b64 exec, exec, s[2:3]
	s_cmp_lt_i32 s13, 1
	s_waitcnt lgkmcnt(0)
	s_barrier
	s_cbranch_scc1 .LBB113_27
; %bb.21:
	s_add_u32 s2, s4, 64
	s_addc_u32 s3, s5, 0
	s_mov_b32 s12, 0
	v_mov_b32_e32 v5, 0
	v_mov_b32_e32 v6, 0xff800000
                                        ; implicit-def: $vgpr3
                                        ; implicit-def: $vgpr2
	s_branch .LBB113_23
.LBB113_22:                             ;   in Loop: Header=BB113_23 Depth=1
	s_or_b64 exec, exec, s[8:9]
	v_mov_b32_dpp v10, v8 quad_perm:[1,0,3,2] row_mask:0xf bank_mask:0xf
	v_cmp_lt_f32_e32 vcc, v8, v10
	v_cndmask_b32_e32 v8, v8, v10, vcc
	v_mov_b32_dpp v9, v7 quad_perm:[1,0,3,2] row_mask:0xf bank_mask:0xf
	v_cndmask_b32_e32 v7, v7, v9, vcc
	v_mov_b32_dpp v10, v8 quad_perm:[2,3,0,1] row_mask:0xf bank_mask:0xf
	v_cmp_gt_f32_e32 vcc, v10, v8
	v_cndmask_b32_e32 v8, v8, v10, vcc
	v_mov_b32_dpp v9, v7 quad_perm:[2,3,0,1] row_mask:0xf bank_mask:0xf
	v_cndmask_b32_e32 v7, v7, v9, vcc
	v_mov_b32_dpp v10, v8 row_half_mirror row_mask:0xf bank_mask:0xf
	v_cmp_gt_f32_e32 vcc, v10, v8
	v_cndmask_b32_e32 v8, v8, v10, vcc
	v_mov_b32_dpp v9, v7 row_half_mirror row_mask:0xf bank_mask:0xf
	v_cndmask_b32_e32 v7, v7, v9, vcc
	v_mov_b32_dpp v10, v8 row_mirror row_mask:0xf bank_mask:0xf
	v_cmp_gt_f32_e32 vcc, v10, v8
	v_cndmask_b32_e32 v8, v8, v10, vcc
	v_mov_b32_dpp v9, v7 row_mirror row_mask:0xf bank_mask:0xf
	v_cndmask_b32_e32 v7, v7, v9, vcc
	v_mov_b32_dpp v10, v8 row_bcast:15 row_mask:0xf bank_mask:0xf
	v_cmp_gt_f32_e32 vcc, v10, v8
	v_mov_b32_dpp v9, v7 row_bcast:15 row_mask:0xf bank_mask:0xf
	v_cndmask_b32_e32 v8, v8, v10, vcc
	v_cndmask_b32_e32 v7, v7, v9, vcc
	s_nop 0
	v_mov_b32_dpp v10, v8 row_bcast:31 row_mask:0xf bank_mask:0xf
	v_mov_b32_dpp v9, v7 row_bcast:31 row_mask:0xf bank_mask:0xf
	v_cmp_gt_f32_e32 vcc, v10, v8
	v_cndmask_b32_e32 v7, v7, v9, vcc
	v_readlane_b32 s8, v7, 63
	s_ashr_i32 s9, s8, 31
	s_lshl_b64 s[14:15], s[8:9], 1
	s_add_u32 s14, s16, s14
	s_addc_u32 s15, s17, s15
	global_load_ushort v7, v5, s[14:15]
	v_cndmask_b32_e32 v8, v8, v10, vcc
	v_readlane_b32 s9, v8, 63
	v_mov_b32_e32 v8, s8
	s_lshl_b32 s8, s8, 2
	v_cmp_eq_u32_e32 vcc, s12, v0
	s_add_i32 s12, s12, 1
	s_add_i32 s8, s8, 0
	v_cndmask_b32_e32 v2, v2, v8, vcc
	v_mov_b32_e32 v8, s8
	s_cmp_eq_u32 s12, s13
	ds_write_b32 v8, v6
	s_waitcnt vmcnt(0)
	v_cvt_f32_f16_e32 v7, v7
	v_sub_f32_e32 v7, s9, v7
	v_cndmask_b32_e32 v3, v3, v7, vcc
	s_cbranch_scc1 .LBB113_28
.LBB113_23:                             ; =>This Loop Header: Depth=1
                                        ;     Child Loop BB113_25 Depth 2
	v_mov_b32_e32 v7, s12
	v_mov_b32_e32 v8, 0xff800000
	s_and_saveexec_b64 s[8:9], s[0:1]
	s_cbranch_execz .LBB113_22
; %bb.24:                               ;   in Loop: Header=BB113_23 Depth=1
	s_load_dword s20, s[2:3], 0xc
	s_mov_b64 s[14:15], 0
	v_mov_b32_e32 v7, s12
	v_mov_b32_e32 v8, 0xff800000
	;; [unrolled: 1-line block ×3, first 2 shown]
	s_waitcnt lgkmcnt(0)
	s_and_b32 s20, s20, 0xffff
	s_lshl_b32 s21, s20, 1
	s_lshl_b32 s22, s20, 3
	v_mov_b32_e32 v10, v1
	v_mov_b32_e32 v11, v0
.LBB113_25:                             ;   Parent Loop BB113_23 Depth=1
                                        ; =>  This Inner Loop Header: Depth=2
	ds_read_b64 v[12:13], v9
	v_add_u32_e32 v11, s20, v11
	v_cmp_le_i32_e32 vcc, s7, v11
	s_or_b64 s[14:15], vcc, s[14:15]
	v_add_u32_e32 v14, 1, v10
	s_waitcnt lgkmcnt(0)
	v_cmp_gt_f32_e32 vcc, v12, v8
	v_cndmask_b32_e32 v8, v8, v12, vcc
	v_cndmask_b32_e32 v7, v7, v10, vcc
	v_cmp_gt_f32_e32 vcc, v13, v8
	v_add_u32_e32 v9, s22, v9
	v_cndmask_b32_e32 v8, v8, v13, vcc
	v_add_u32_e32 v10, s21, v10
	v_cndmask_b32_e32 v7, v7, v14, vcc
	s_andn2_b64 exec, exec, s[14:15]
	s_cbranch_execnz .LBB113_25
; %bb.26:                               ;   in Loop: Header=BB113_23 Depth=1
	s_or_b64 exec, exec, s[14:15]
	s_branch .LBB113_22
.LBB113_27:
                                        ; implicit-def: $vgpr3
                                        ; implicit-def: $vgpr2
.LBB113_28:
	v_cmp_gt_i32_e32 vcc, s13, v0
	s_and_saveexec_b64 s[0:1], vcc
	s_cbranch_execz .LBB113_31
; %bb.29:
	s_load_dword s2, s[4:5], 0x38
	s_load_dwordx2 s[0:1], s[4:5], 0x20
	s_ashr_i32 s3, s6, 31
	s_load_dword s4, s[4:5], 0x4c
	v_mov_b32_e32 v4, s19
	s_waitcnt lgkmcnt(0)
	v_mul_f32_e32 v1, s2, v3
	s_mul_i32 s1, s6, s1
	s_mul_hi_u32 s2, s6, s0
	s_add_i32 s1, s2, s1
	s_mul_i32 s3, s3, s0
	s_add_i32 s5, s1, s3
	s_mul_i32 s2, s6, s0
	s_and_b32 s3, s4, 0xffff
	s_mov_b64 s[0:1], 0
	v_mov_b32_e32 v3, s5
	v_mov_b32_e32 v5, s11
.LBB113_30:                             ; =>This Inner Loop Header: Depth=1
	v_ashrrev_i32_e32 v7, 31, v0
	v_add_co_u32_e32 v6, vcc, s2, v0
	v_addc_co_u32_e32 v7, vcc, v3, v7, vcc
	v_add_u32_e32 v0, s3, v0
	v_cmp_le_i32_e32 vcc, s13, v0
	v_lshlrev_b64 v[6:7], 2, v[6:7]
	s_or_b64 s[0:1], vcc, s[0:1]
	v_add_co_u32_e32 v8, vcc, s18, v6
	v_addc_co_u32_e32 v9, vcc, v4, v7, vcc
	v_add_co_u32_e32 v6, vcc, s10, v6
	v_addc_co_u32_e32 v7, vcc, v5, v7, vcc
	global_store_dword v[8:9], v1, off
	global_store_dword v[6:7], v2, off
	s_andn2_b64 exec, exec, s[0:1]
	s_cbranch_execnz .LBB113_30
.LBB113_31:
	s_endpgm
	.section	.rodata,"a",@progbits
	.p2align	6, 0x0
	.amdhsa_kernel _ZN5aiter19grouped_topk_kernelIN3c104HalfEDv2_fLi8ELb0ELb1ELb0EEEvPT_PKS4_PfPimiiiif
		.amdhsa_group_segment_fixed_size 0
		.amdhsa_private_segment_fixed_size 0
		.amdhsa_kernarg_size 320
		.amdhsa_user_sgpr_count 6
		.amdhsa_user_sgpr_private_segment_buffer 1
		.amdhsa_user_sgpr_dispatch_ptr 0
		.amdhsa_user_sgpr_queue_ptr 0
		.amdhsa_user_sgpr_kernarg_segment_ptr 1
		.amdhsa_user_sgpr_dispatch_id 0
		.amdhsa_user_sgpr_flat_scratch_init 0
		.amdhsa_user_sgpr_kernarg_preload_length 0
		.amdhsa_user_sgpr_kernarg_preload_offset 0
		.amdhsa_user_sgpr_private_segment_size 0
		.amdhsa_uses_dynamic_stack 0
		.amdhsa_system_sgpr_private_segment_wavefront_offset 0
		.amdhsa_system_sgpr_workgroup_id_x 1
		.amdhsa_system_sgpr_workgroup_id_y 0
		.amdhsa_system_sgpr_workgroup_id_z 0
		.amdhsa_system_sgpr_workgroup_info 0
		.amdhsa_system_vgpr_workitem_id 0
		.amdhsa_next_free_vgpr 24
		.amdhsa_next_free_sgpr 31
		.amdhsa_accum_offset 24
		.amdhsa_reserve_vcc 1
		.amdhsa_reserve_flat_scratch 0
		.amdhsa_float_round_mode_32 0
		.amdhsa_float_round_mode_16_64 0
		.amdhsa_float_denorm_mode_32 3
		.amdhsa_float_denorm_mode_16_64 3
		.amdhsa_dx10_clamp 1
		.amdhsa_ieee_mode 1
		.amdhsa_fp16_overflow 0
		.amdhsa_tg_split 0
		.amdhsa_exception_fp_ieee_invalid_op 0
		.amdhsa_exception_fp_denorm_src 0
		.amdhsa_exception_fp_ieee_div_zero 0
		.amdhsa_exception_fp_ieee_overflow 0
		.amdhsa_exception_fp_ieee_underflow 0
		.amdhsa_exception_fp_ieee_inexact 0
		.amdhsa_exception_int_div_zero 0
	.end_amdhsa_kernel
	.section	.text._ZN5aiter19grouped_topk_kernelIN3c104HalfEDv2_fLi8ELb0ELb1ELb0EEEvPT_PKS4_PfPimiiiif,"axG",@progbits,_ZN5aiter19grouped_topk_kernelIN3c104HalfEDv2_fLi8ELb0ELb1ELb0EEEvPT_PKS4_PfPimiiiif,comdat
.Lfunc_end113:
	.size	_ZN5aiter19grouped_topk_kernelIN3c104HalfEDv2_fLi8ELb0ELb1ELb0EEEvPT_PKS4_PfPimiiiif, .Lfunc_end113-_ZN5aiter19grouped_topk_kernelIN3c104HalfEDv2_fLi8ELb0ELb1ELb0EEEvPT_PKS4_PfPimiiiif
                                        ; -- End function
	.section	.AMDGPU.csdata,"",@progbits
; Kernel info:
; codeLenInByte = 2360
; NumSgprs: 35
; NumVgprs: 24
; NumAgprs: 0
; TotalNumVgprs: 24
; ScratchSize: 0
; MemoryBound: 0
; FloatMode: 240
; IeeeMode: 1
; LDSByteSize: 0 bytes/workgroup (compile time only)
; SGPRBlocks: 4
; VGPRBlocks: 2
; NumSGPRsForWavesPerEU: 35
; NumVGPRsForWavesPerEU: 24
; AccumOffset: 24
; Occupancy: 8
; WaveLimiterHint : 0
; COMPUTE_PGM_RSRC2:SCRATCH_EN: 0
; COMPUTE_PGM_RSRC2:USER_SGPR: 6
; COMPUTE_PGM_RSRC2:TRAP_HANDLER: 0
; COMPUTE_PGM_RSRC2:TGID_X_EN: 1
; COMPUTE_PGM_RSRC2:TGID_Y_EN: 0
; COMPUTE_PGM_RSRC2:TGID_Z_EN: 0
; COMPUTE_PGM_RSRC2:TIDIG_COMP_CNT: 0
; COMPUTE_PGM_RSRC3_GFX90A:ACCUM_OFFSET: 5
; COMPUTE_PGM_RSRC3_GFX90A:TG_SPLIT: 0
	.section	.text._ZN5aiter19grouped_topk_kernelIN3c108BFloat16EDv2_fLi8ELb0ELb1ELb0EEEvPT_PKS4_PfPimiiiif,"axG",@progbits,_ZN5aiter19grouped_topk_kernelIN3c108BFloat16EDv2_fLi8ELb0ELb1ELb0EEEvPT_PKS4_PfPimiiiif,comdat
	.protected	_ZN5aiter19grouped_topk_kernelIN3c108BFloat16EDv2_fLi8ELb0ELb1ELb0EEEvPT_PKS4_PfPimiiiif ; -- Begin function _ZN5aiter19grouped_topk_kernelIN3c108BFloat16EDv2_fLi8ELb0ELb1ELb0EEEvPT_PKS4_PfPimiiiif
	.globl	_ZN5aiter19grouped_topk_kernelIN3c108BFloat16EDv2_fLi8ELb0ELb1ELb0EEEvPT_PKS4_PfPimiiiif
	.p2align	8
	.type	_ZN5aiter19grouped_topk_kernelIN3c108BFloat16EDv2_fLi8ELb0ELb1ELb0EEEvPT_PKS4_PfPimiiiif,@function
_ZN5aiter19grouped_topk_kernelIN3c108BFloat16EDv2_fLi8ELb0ELb1ELb0EEEvPT_PKS4_PfPimiiiif: ; @_ZN5aiter19grouped_topk_kernelIN3c108BFloat16EDv2_fLi8ELb0ELb1ELb0EEEvPT_PKS4_PfPimiiiif
; %bb.0:
	s_load_dwordx4 s[12:15], s[4:5], 0x28
	s_load_dwordx4 s[16:19], s[4:5], 0x8
	s_load_dwordx2 s[10:11], s[4:5], 0x18
	v_lshl_add_u32 v4, v0, 3, 0
	s_waitcnt lgkmcnt(0)
	s_lshr_b32 s0, s12, 31
	s_add_i32 s0, s12, s0
	s_ashr_i32 s7, s0, 1
	v_cmp_gt_i32_e64 s[0:1], s7, v0
	s_and_saveexec_b64 s[8:9], s[0:1]
	s_cbranch_execz .LBB114_3
; %bb.1:
	s_load_dwordx2 s[2:3], s[4:5], 0x0
	s_load_dword s22, s[4:5], 0x4c
	s_mul_i32 s20, s6, s12
	s_ashr_i32 s21, s20, 31
	s_lshl_b64 s[20:21], s[20:21], 1
	s_waitcnt lgkmcnt(0)
	s_add_u32 s15, s2, s20
	s_addc_u32 s2, s3, s21
	s_and_b32 s22, s22, 0xffff
	s_mov_b32 s3, 0
	v_lshlrev_b32_e32 v2, 2, v0
	v_mov_b32_e32 v1, 0
	s_lshl_b32 s23, s22, 2
	v_lshl_add_u32 v3, v0, 3, 0
	s_lshl_b32 s24, s22, 3
	s_mov_b64 s[20:21], 0
	v_mov_b32_e32 v5, s2
	v_mov_b32_e32 v6, s17
	s_mov_b32 s25, 0xbfb8aa3b
	s_mov_b32 s26, 0x42ce8ed0
	;; [unrolled: 1-line block ×3, first 2 shown]
	v_mov_b32_e32 v7, 0x7f800000
	v_mov_b32_e32 v8, s3
	;; [unrolled: 1-line block ×3, first 2 shown]
.LBB114_2:                              ; =>This Inner Loop Header: Depth=1
	v_add_co_u32_e32 v10, vcc, s15, v2
	v_addc_co_u32_e32 v11, vcc, v5, v1, vcc
	v_add_co_u32_e32 v12, vcc, s16, v2
	v_addc_co_u32_e32 v13, vcc, v6, v1, vcc
	global_load_dword v14, v[10:11], off
	global_load_dword v15, v[12:13], off
	v_add_co_u32_e32 v2, vcc, s23, v2
	v_add_u32_e32 v9, s22, v9
	v_addc_co_u32_e32 v1, vcc, v1, v8, vcc
	v_cmp_le_i32_e32 vcc, s7, v9
	s_or_b64 s[20:21], vcc, s[20:21]
	s_waitcnt vmcnt(1)
	v_cvt_f32_u32_sdwa v12, v14 dst_sel:DWORD dst_unused:UNUSED_PAD src0_sel:WORD_1
	v_cvt_f32_u32_sdwa v13, v14 dst_sel:DWORD dst_unused:UNUSED_PAD src0_sel:WORD_0
	s_waitcnt vmcnt(0)
	v_cvt_f32_u32_sdwa v11, v15 dst_sel:DWORD dst_unused:UNUSED_PAD src0_sel:WORD_1
	v_cvt_f32_u32_sdwa v10, v15 dst_sel:DWORD dst_unused:UNUSED_PAD src0_sel:WORD_0
	v_mul_f32_e32 v14, 0xbfb8aa3b, v12
	v_mul_f32_e32 v15, 0xbfb8aa3b, v13
	v_fma_f32 v16, v12, s25, -v14
	v_rndne_f32_e32 v17, v14
	v_fma_f32 v18, v13, s25, -v15
	v_rndne_f32_e32 v19, v15
	v_fmac_f32_e32 v16, 0xb2a5705f, v12
	v_sub_f32_e32 v14, v14, v17
	v_fmac_f32_e32 v18, 0xb2a5705f, v13
	v_sub_f32_e32 v15, v15, v19
	v_add_f32_e32 v14, v14, v16
	v_add_f32_e32 v15, v15, v18
	v_cvt_i32_f32_e32 v17, v17
	v_cvt_i32_f32_e32 v19, v19
	v_exp_f32_e32 v14, v14
	v_exp_f32_e32 v15, v15
	v_cmp_nlt_f32_e32 vcc, s26, v13
	v_cmp_nlt_f32_e64 s[2:3], s26, v12
	v_ldexp_f32 v14, v14, v17
	v_ldexp_f32 v15, v15, v19
	v_cndmask_b32_e64 v14, 0, v14, s[2:3]
	v_cndmask_b32_e32 v15, 0, v15, vcc
	v_cmp_ngt_f32_e32 vcc, s27, v13
	v_cmp_ngt_f32_e64 s[2:3], s27, v12
	v_cndmask_b32_e64 v13, v7, v14, s[2:3]
	v_cndmask_b32_e32 v12, v7, v15, vcc
	v_pk_add_f32 v[12:13], v[12:13], 1.0 op_sel_hi:[1,0]
	v_div_scale_f32 v14, s[2:3], v13, v13, 1.0
	v_div_scale_f32 v16, s[2:3], v12, v12, 1.0
	v_rcp_f32_e32 v18, v14
	v_rcp_f32_e32 v19, v16
	v_div_scale_f32 v15, vcc, 1.0, v13, 1.0
	v_fma_f32 v20, -v14, v18, 1.0
	v_fma_f32 v21, -v16, v19, 1.0
	v_fmac_f32_e32 v18, v20, v18
	v_div_scale_f32 v17, s[2:3], 1.0, v12, 1.0
	v_fmac_f32_e32 v19, v21, v19
	v_mul_f32_e32 v20, v15, v18
	v_mul_f32_e32 v21, v17, v19
	v_fma_f32 v22, -v14, v20, v15
	v_fma_f32 v23, -v16, v21, v17
	v_fmac_f32_e32 v20, v22, v18
	v_fmac_f32_e32 v21, v23, v19
	v_fma_f32 v14, -v14, v20, v15
	v_fma_f32 v15, -v16, v21, v17
	v_div_fmas_f32 v14, v14, v18, v20
	s_mov_b64 vcc, s[2:3]
	v_div_fixup_f32 v13, v14, v13, 1.0
	v_div_fmas_f32 v14, v15, v19, v21
	v_div_fixup_f32 v12, v14, v12, 1.0
	v_pk_add_f32 v[10:11], v[12:13], v[10:11]
	ds_write_b64 v3, v[10:11]
	v_add_u32_e32 v3, s24, v3
	s_andn2_b64 exec, exec, s[20:21]
	s_cbranch_execnz .LBB114_2
.LBB114_3:
	s_or_b64 exec, exec, s[8:9]
	s_ashr_i32 s2, s12, 31
	s_lshr_b32 s3, s2, 29
	s_add_i32 s3, s12, s3
	s_ashr_i32 s15, s3, 3
	s_lshl_b32 s3, s12, 2
	s_add_i32 s28, s3, 0
	v_cmp_gt_u32_e32 vcc, 64, v0
	s_waitcnt lgkmcnt(0)
	s_barrier
	s_and_saveexec_b64 s[20:21], vcc
	s_cbranch_execz .LBB114_12
; %bb.4:
	s_load_dword s8, s[4:5], 0x4c
	v_lshrrev_b32_e32 v2, 3, v0
	s_lshr_b32 s2, s2, 28
	v_and_b32_e32 v1, 7, v0
	s_add_i32 s2, s12, s2
	s_waitcnt lgkmcnt(0)
	s_bfe_u32 s29, s8, 0xd0003
	v_mul_lo_u32 v3, s15, v2
	s_ashr_i32 s12, s2, 4
	v_lshlrev_b32_e32 v3, 2, v3
	v_lshlrev_b32_e32 v5, 3, v1
	s_mul_i32 s8, s15, s29
	v_cmp_gt_i32_e32 vcc, s12, v1
	v_cmp_eq_u32_e64 s[2:3], 0, v1
	v_add3_u32 v3, v3, v5, 0
	s_lshl_b32 s30, s8, 2
	s_mov_b64 s[22:23], 0
	s_branch .LBB114_6
.LBB114_5:                              ;   in Loop: Header=BB114_6 Depth=1
	s_or_b64 exec, exec, s[24:25]
	v_add_u32_e32 v2, s29, v2
	v_cmp_lt_u32_e64 s[8:9], 7, v2
	s_or_b64 s[22:23], s[8:9], s[22:23]
	v_add_u32_e32 v3, s30, v3
	s_andn2_b64 exec, exec, s[22:23]
	s_cbranch_execz .LBB114_12
.LBB114_6:                              ; =>This Loop Header: Depth=1
                                        ;     Child Loop BB114_8 Depth 2
	v_mov_b32_e32 v5, 0xff800000
	v_mov_b32_e32 v8, 0xff800000
	s_and_saveexec_b64 s[24:25], vcc
	s_cbranch_execz .LBB114_10
; %bb.7:                                ;   in Loop: Header=BB114_6 Depth=1
	s_mov_b64 s[26:27], 0
	v_mov_b32_e32 v5, 0xff800000
	v_mov_b32_e32 v6, v3
	;; [unrolled: 1-line block ×4, first 2 shown]
.LBB114_8:                              ;   Parent Loop BB114_6 Depth=1
                                        ; =>  This Inner Loop Header: Depth=2
	ds_read_b64 v[10:11], v6
	v_add_u32_e32 v7, 8, v7
	v_max_f32_e32 v8, v8, v8
	v_cmp_le_i32_e64 s[8:9], s12, v7
	s_or_b64 s[26:27], s[8:9], s[26:27]
	s_waitcnt lgkmcnt(0)
	v_max_f32_e32 v12, v10, v10
	v_max_f32_e32 v8, v12, v8
	v_cmp_gt_f32_e64 s[8:9], v10, v5
	v_max_f32_e32 v9, v5, v5
	v_cndmask_b32_e64 v8, v8, v5, s[8:9]
	v_max_f32_e32 v13, v11, v11
	v_max_f32_e32 v9, v12, v9
	;; [unrolled: 1-line block ×4, first 2 shown]
	v_cmp_gt_f32_e64 s[8:9], v11, v9
	v_add_u32_e32 v6, 64, v6
	v_max_f32_e32 v5, v13, v9
	v_cndmask_b32_e64 v8, v8, v9, s[8:9]
	s_andn2_b64 exec, exec, s[26:27]
	s_cbranch_execnz .LBB114_8
; %bb.9:                                ;   in Loop: Header=BB114_6 Depth=1
	s_or_b64 exec, exec, s[26:27]
.LBB114_10:                             ;   in Loop: Header=BB114_6 Depth=1
	s_or_b64 exec, exec, s[24:25]
	v_mov_b32_dpp v6, v5 quad_perm:[1,0,3,2] row_mask:0xf bank_mask:0xf bound_ctrl:1
	v_mov_b32_dpp v7, v8 quad_perm:[1,0,3,2] row_mask:0xf bank_mask:0xf bound_ctrl:1
	v_max_f32_e32 v9, v6, v6
	v_max_f32_e32 v8, v8, v8
	;; [unrolled: 1-line block ×3, first 2 shown]
	v_cmp_lt_f32_e64 s[8:9], v5, v6
	v_cndmask_b32_e64 v6, v8, v5, s[8:9]
	v_max_f32_e32 v5, v5, v5
	v_max_f32_e32 v5, v9, v5
	v_max_f32_e32 v6, v6, v6
	v_max_f32_e32 v7, v7, v7
	v_max_f32_e32 v6, v6, v7
	s_nop 0
	v_mov_b32_dpp v7, v5 quad_perm:[2,3,0,1] row_mask:0xf bank_mask:0xf bound_ctrl:1
	v_max_f32_e32 v9, v7, v7
	v_mov_b32_dpp v8, v6 quad_perm:[2,3,0,1] row_mask:0xf bank_mask:0xf bound_ctrl:1
	v_max_f32_e32 v6, v9, v6
	v_cmp_lt_f32_e64 s[8:9], v5, v7
	v_cndmask_b32_e64 v6, v6, v5, s[8:9]
	v_max_f32_e32 v7, v8, v8
	v_max_f32_e32 v5, v9, v5
	;; [unrolled: 1-line block ×3, first 2 shown]
	s_nop 0
	v_mov_b32_dpp v7, v5 row_half_mirror row_mask:0xf bank_mask:0xf bound_ctrl:1
	v_mov_b32_dpp v6, v8 row_half_mirror row_mask:0xf bank_mask:0xf bound_ctrl:1
	s_and_saveexec_b64 s[24:25], s[2:3]
	s_cbranch_execz .LBB114_5
; %bb.11:                               ;   in Loop: Header=BB114_6 Depth=1
	v_max_f32_e32 v8, v8, v8
	v_max_f32_e32 v10, v7, v7
	;; [unrolled: 1-line block ×3, first 2 shown]
	v_cmp_lt_f32_e64 s[8:9], v5, v7
	v_cndmask_b32_e64 v7, v8, v5, s[8:9]
	v_max_f32_e32 v7, v7, v7
	v_max_f32_e32 v6, v6, v6
	;; [unrolled: 1-line block ×5, first 2 shown]
	v_lshl_add_u32 v9, v2, 2, s28
	v_add_f32_e32 v5, v5, v6
	ds_write_b32 v9, v5
	s_branch .LBB114_5
.LBB114_12:
	s_or_b64 exec, exec, s[20:21]
	s_cmp_lt_i32 s14, 1
	s_waitcnt lgkmcnt(0)
	s_barrier
	s_cbranch_scc1 .LBB114_15
; %bb.13:
	v_mov_b32_e32 v1, s28
	s_mov_b32 s2, 0xff800000
	v_mov_b32_e32 v2, 0xff800000
.LBB114_14:                             ; =>This Inner Loop Header: Depth=1
	ds_read2_b32 v[6:7], v1 offset1:1
	ds_read2_b32 v[8:9], v1 offset0:2 offset1:3
	ds_read2_b32 v[10:11], v1 offset0:4 offset1:5
	;; [unrolled: 1-line block ×3, first 2 shown]
	s_waitcnt lgkmcnt(3)
	v_cmp_nlg_f32_e32 vcc, s2, v6
	v_cndmask_b32_e64 v3, 0, 1, vcc
	v_cmp_lg_f32_e32 vcc, s2, v6
	v_readfirstlane_b32 s3, v3
	v_cndmask_b32_e32 v3, v2, v6, vcc
	v_cmp_gt_f32_e32 vcc, v7, v3
	s_lshl_b32 s3, s3, 3
	v_cndmask_b32_e32 v3, v3, v7, vcc
	s_and_b64 s[8:9], vcc, exec
	s_waitcnt lgkmcnt(2)
	v_cmp_gt_f32_e32 vcc, v8, v3
	v_cndmask_b32_e32 v3, v3, v8, vcc
	s_cselect_b32 s3, 1, s3
	s_and_b64 s[8:9], vcc, exec
	v_cmp_gt_f32_e32 vcc, v9, v3
	v_cndmask_b32_e32 v3, v3, v9, vcc
	s_cselect_b32 s3, 2, s3
	s_and_b64 s[8:9], vcc, exec
	s_waitcnt lgkmcnt(1)
	v_cmp_gt_f32_e32 vcc, v10, v3
	v_cndmask_b32_e32 v3, v3, v10, vcc
	s_cselect_b32 s3, 3, s3
	s_and_b64 s[8:9], vcc, exec
	v_cmp_gt_f32_e32 vcc, v11, v3
	v_cndmask_b32_e32 v3, v3, v11, vcc
	s_cselect_b32 s3, 4, s3
	s_and_b64 s[8:9], vcc, exec
	s_waitcnt lgkmcnt(0)
	v_cmp_gt_f32_e32 vcc, v12, v3
	v_cndmask_b32_e32 v3, v3, v12, vcc
	s_cselect_b32 s3, 5, s3
	s_and_b64 s[8:9], vcc, exec
	v_cmp_ngt_f32_e32 vcc, v13, v3
	s_cselect_b32 s3, 6, s3
	s_and_b64 s[8:9], vcc, exec
	s_cselect_b32 s3, s3, 7
	s_lshl_b32 s3, s3, 2
	s_add_i32 s3, s28, s3
	s_add_i32 s14, s14, -1
	v_mov_b32_e32 v3, s3
	s_cmp_lg_u32 s14, 0
	ds_write_b32 v3, v2
	s_cbranch_scc1 .LBB114_14
.LBB114_15:
	v_lshlrev_b32_e32 v1, 1, v0
	s_and_saveexec_b64 s[2:3], s[0:1]
	s_cbranch_execz .LBB114_20
; %bb.16:
	s_abs_i32 s12, s15
	v_cvt_f32_u32_e32 v2, s12
	s_load_dword s14, s[4:5], 0x4c
	s_ashr_i32 s20, s15, 31
	s_sub_i32 s15, 0, s12
	v_rcp_iflag_f32_e32 v2, v2
	v_lshlrev_b32_e32 v5, 1, v0
	s_waitcnt lgkmcnt(0)
	s_and_b32 s21, s14, 0xffff
	v_lshl_add_u32 v6, v0, 3, 0
	v_mul_f32_e32 v2, 0x4f7ffffe, v2
	v_cvt_u32_f32_e32 v2, v2
	s_mov_b64 s[8:9], 0
	s_lshl_b32 s22, s21, 1
	s_lshl_b32 s23, s21, 3
	v_mul_lo_u32 v3, s15, v2
	v_mul_hi_u32 v3, v2, v3
	v_add_u32_e32 v7, v2, v3
	s_mov_b32 s24, 0xff800000
	v_mov_b32_e32 v2, 0xff800000
	v_mov_b32_e32 v8, v0
	s_branch .LBB114_18
.LBB114_17:                             ;   in Loop: Header=BB114_18 Depth=1
	s_or_b64 exec, exec, s[14:15]
	v_add_u32_e32 v8, s21, v8
	v_cmp_le_i32_e32 vcc, s7, v8
	v_add_u32_e32 v5, s22, v5
	s_or_b64 s[8:9], vcc, s[8:9]
	v_add_u32_e32 v6, s23, v6
	s_andn2_b64 exec, exec, s[8:9]
	s_cbranch_execz .LBB114_20
.LBB114_18:                             ; =>This Inner Loop Header: Depth=1
	v_mul_hi_u32 v3, v5, v7
	v_mul_lo_u32 v9, v3, s12
	v_sub_u32_e32 v9, v5, v9
	v_add_u32_e32 v10, 1, v3
	v_cmp_le_u32_e32 vcc, s12, v9
	v_cndmask_b32_e32 v3, v3, v10, vcc
	v_subrev_u32_e32 v10, s12, v9
	v_cndmask_b32_e32 v9, v9, v10, vcc
	v_add_u32_e32 v10, 1, v3
	v_cmp_le_u32_e32 vcc, s12, v9
	v_cndmask_b32_e32 v3, v3, v10, vcc
	v_xor_b32_e32 v3, s20, v3
	v_subrev_u32_e32 v3, s20, v3
	v_lshl_add_u32 v3, v3, 2, s28
	ds_read_b32 v3, v3
	s_waitcnt lgkmcnt(0)
	v_cmp_neq_f32_e32 vcc, s24, v3
	s_and_saveexec_b64 s[14:15], vcc
	s_cbranch_execz .LBB114_17
; %bb.19:                               ;   in Loop: Header=BB114_18 Depth=1
	v_mov_b32_e32 v3, v2
	ds_write_b64 v6, v[2:3]
	s_branch .LBB114_17
.LBB114_20:
	s_or_b64 exec, exec, s[2:3]
	s_cmp_lt_i32 s13, 1
	s_waitcnt lgkmcnt(0)
	s_barrier
	s_cbranch_scc1 .LBB114_27
; %bb.21:
	s_add_u32 s2, s4, 64
	s_addc_u32 s3, s5, 0
	s_mov_b32 s12, 0
	v_mov_b32_e32 v5, 0
	v_mov_b32_e32 v6, 0xff800000
                                        ; implicit-def: $vgpr3
                                        ; implicit-def: $vgpr2
	s_branch .LBB114_23
.LBB114_22:                             ;   in Loop: Header=BB114_23 Depth=1
	s_or_b64 exec, exec, s[8:9]
	v_mov_b32_dpp v10, v8 quad_perm:[1,0,3,2] row_mask:0xf bank_mask:0xf
	v_cmp_lt_f32_e32 vcc, v8, v10
	v_cndmask_b32_e32 v8, v8, v10, vcc
	v_mov_b32_dpp v9, v7 quad_perm:[1,0,3,2] row_mask:0xf bank_mask:0xf
	v_cndmask_b32_e32 v7, v7, v9, vcc
	v_mov_b32_dpp v10, v8 quad_perm:[2,3,0,1] row_mask:0xf bank_mask:0xf
	v_cmp_gt_f32_e32 vcc, v10, v8
	v_cndmask_b32_e32 v8, v8, v10, vcc
	v_mov_b32_dpp v9, v7 quad_perm:[2,3,0,1] row_mask:0xf bank_mask:0xf
	v_cndmask_b32_e32 v7, v7, v9, vcc
	v_mov_b32_dpp v10, v8 row_half_mirror row_mask:0xf bank_mask:0xf
	v_cmp_gt_f32_e32 vcc, v10, v8
	v_cndmask_b32_e32 v8, v8, v10, vcc
	v_mov_b32_dpp v9, v7 row_half_mirror row_mask:0xf bank_mask:0xf
	v_cndmask_b32_e32 v7, v7, v9, vcc
	v_mov_b32_dpp v10, v8 row_mirror row_mask:0xf bank_mask:0xf
	v_cmp_gt_f32_e32 vcc, v10, v8
	v_cndmask_b32_e32 v8, v8, v10, vcc
	v_mov_b32_dpp v9, v7 row_mirror row_mask:0xf bank_mask:0xf
	v_cndmask_b32_e32 v7, v7, v9, vcc
	v_mov_b32_dpp v10, v8 row_bcast:15 row_mask:0xf bank_mask:0xf
	v_cmp_gt_f32_e32 vcc, v10, v8
	v_mov_b32_dpp v9, v7 row_bcast:15 row_mask:0xf bank_mask:0xf
	v_cndmask_b32_e32 v8, v8, v10, vcc
	v_cndmask_b32_e32 v7, v7, v9, vcc
	s_nop 0
	v_mov_b32_dpp v10, v8 row_bcast:31 row_mask:0xf bank_mask:0xf
	v_mov_b32_dpp v9, v7 row_bcast:31 row_mask:0xf bank_mask:0xf
	v_cmp_gt_f32_e32 vcc, v10, v8
	v_cndmask_b32_e32 v7, v7, v9, vcc
	v_readlane_b32 s8, v7, 63
	s_ashr_i32 s9, s8, 31
	s_lshl_b64 s[14:15], s[8:9], 1
	s_add_u32 s14, s16, s14
	s_addc_u32 s15, s17, s15
	global_load_ushort v7, v5, s[14:15]
	v_cndmask_b32_e32 v8, v8, v10, vcc
	v_readlane_b32 s9, v8, 63
	v_mov_b32_e32 v8, s8
	s_lshl_b32 s8, s8, 2
	v_cmp_eq_u32_e32 vcc, s12, v0
	s_add_i32 s8, s8, 0
	v_cndmask_b32_e32 v2, v2, v8, vcc
	v_mov_b32_e32 v8, s8
	ds_write_b32 v8, v6
	s_add_i32 s12, s12, 1
	s_cmp_eq_u32 s12, s13
	s_waitcnt vmcnt(0)
	v_and_b32_e32 v8, 0xff, v7
	v_lshlrev_b32_e32 v7, 16, v7
	v_lshlrev_b32_e32 v8, 16, v8
	v_and_b32_e32 v7, 0xff000000, v7
	v_or_b32_e32 v7, v8, v7
	v_sub_f32_e32 v7, s9, v7
	v_cndmask_b32_e32 v3, v3, v7, vcc
	s_cbranch_scc1 .LBB114_28
.LBB114_23:                             ; =>This Loop Header: Depth=1
                                        ;     Child Loop BB114_25 Depth 2
	v_mov_b32_e32 v7, s12
	v_mov_b32_e32 v8, 0xff800000
	s_and_saveexec_b64 s[8:9], s[0:1]
	s_cbranch_execz .LBB114_22
; %bb.24:                               ;   in Loop: Header=BB114_23 Depth=1
	s_load_dword s20, s[2:3], 0xc
	s_mov_b64 s[14:15], 0
	v_mov_b32_e32 v7, s12
	v_mov_b32_e32 v8, 0xff800000
	;; [unrolled: 1-line block ×3, first 2 shown]
	s_waitcnt lgkmcnt(0)
	s_and_b32 s20, s20, 0xffff
	s_lshl_b32 s21, s20, 1
	s_lshl_b32 s22, s20, 3
	v_mov_b32_e32 v10, v1
	v_mov_b32_e32 v11, v0
.LBB114_25:                             ;   Parent Loop BB114_23 Depth=1
                                        ; =>  This Inner Loop Header: Depth=2
	ds_read_b64 v[12:13], v9
	v_add_u32_e32 v11, s20, v11
	v_cmp_le_i32_e32 vcc, s7, v11
	s_or_b64 s[14:15], vcc, s[14:15]
	v_add_u32_e32 v14, 1, v10
	s_waitcnt lgkmcnt(0)
	v_cmp_gt_f32_e32 vcc, v12, v8
	v_cndmask_b32_e32 v8, v8, v12, vcc
	v_cndmask_b32_e32 v7, v7, v10, vcc
	v_cmp_gt_f32_e32 vcc, v13, v8
	v_add_u32_e32 v9, s22, v9
	v_cndmask_b32_e32 v8, v8, v13, vcc
	v_add_u32_e32 v10, s21, v10
	v_cndmask_b32_e32 v7, v7, v14, vcc
	s_andn2_b64 exec, exec, s[14:15]
	s_cbranch_execnz .LBB114_25
; %bb.26:                               ;   in Loop: Header=BB114_23 Depth=1
	s_or_b64 exec, exec, s[14:15]
	s_branch .LBB114_22
.LBB114_27:
                                        ; implicit-def: $vgpr3
                                        ; implicit-def: $vgpr2
.LBB114_28:
	v_cmp_gt_i32_e32 vcc, s13, v0
	s_and_saveexec_b64 s[0:1], vcc
	s_cbranch_execz .LBB114_31
; %bb.29:
	s_load_dword s2, s[4:5], 0x38
	s_load_dwordx2 s[0:1], s[4:5], 0x20
	s_ashr_i32 s3, s6, 31
	s_load_dword s4, s[4:5], 0x4c
	v_mov_b32_e32 v4, s19
	s_waitcnt lgkmcnt(0)
	v_mul_f32_e32 v1, s2, v3
	s_mul_i32 s1, s6, s1
	s_mul_hi_u32 s2, s6, s0
	s_add_i32 s1, s2, s1
	s_mul_i32 s3, s3, s0
	s_add_i32 s5, s1, s3
	s_mul_i32 s2, s6, s0
	s_and_b32 s3, s4, 0xffff
	s_mov_b64 s[0:1], 0
	v_mov_b32_e32 v3, s5
	v_mov_b32_e32 v5, s11
.LBB114_30:                             ; =>This Inner Loop Header: Depth=1
	v_ashrrev_i32_e32 v7, 31, v0
	v_add_co_u32_e32 v6, vcc, s2, v0
	v_addc_co_u32_e32 v7, vcc, v3, v7, vcc
	v_add_u32_e32 v0, s3, v0
	v_cmp_le_i32_e32 vcc, s13, v0
	v_lshlrev_b64 v[6:7], 2, v[6:7]
	s_or_b64 s[0:1], vcc, s[0:1]
	v_add_co_u32_e32 v8, vcc, s18, v6
	v_addc_co_u32_e32 v9, vcc, v4, v7, vcc
	v_add_co_u32_e32 v6, vcc, s10, v6
	v_addc_co_u32_e32 v7, vcc, v5, v7, vcc
	global_store_dword v[8:9], v1, off
	global_store_dword v[6:7], v2, off
	s_andn2_b64 exec, exec, s[0:1]
	s_cbranch_execnz .LBB114_30
.LBB114_31:
	s_endpgm
	.section	.rodata,"a",@progbits
	.p2align	6, 0x0
	.amdhsa_kernel _ZN5aiter19grouped_topk_kernelIN3c108BFloat16EDv2_fLi8ELb0ELb1ELb0EEEvPT_PKS4_PfPimiiiif
		.amdhsa_group_segment_fixed_size 0
		.amdhsa_private_segment_fixed_size 0
		.amdhsa_kernarg_size 320
		.amdhsa_user_sgpr_count 6
		.amdhsa_user_sgpr_private_segment_buffer 1
		.amdhsa_user_sgpr_dispatch_ptr 0
		.amdhsa_user_sgpr_queue_ptr 0
		.amdhsa_user_sgpr_kernarg_segment_ptr 1
		.amdhsa_user_sgpr_dispatch_id 0
		.amdhsa_user_sgpr_flat_scratch_init 0
		.amdhsa_user_sgpr_kernarg_preload_length 0
		.amdhsa_user_sgpr_kernarg_preload_offset 0
		.amdhsa_user_sgpr_private_segment_size 0
		.amdhsa_uses_dynamic_stack 0
		.amdhsa_system_sgpr_private_segment_wavefront_offset 0
		.amdhsa_system_sgpr_workgroup_id_x 1
		.amdhsa_system_sgpr_workgroup_id_y 0
		.amdhsa_system_sgpr_workgroup_id_z 0
		.amdhsa_system_sgpr_workgroup_info 0
		.amdhsa_system_vgpr_workitem_id 0
		.amdhsa_next_free_vgpr 24
		.amdhsa_next_free_sgpr 31
		.amdhsa_accum_offset 24
		.amdhsa_reserve_vcc 1
		.amdhsa_reserve_flat_scratch 0
		.amdhsa_float_round_mode_32 0
		.amdhsa_float_round_mode_16_64 0
		.amdhsa_float_denorm_mode_32 3
		.amdhsa_float_denorm_mode_16_64 3
		.amdhsa_dx10_clamp 1
		.amdhsa_ieee_mode 1
		.amdhsa_fp16_overflow 0
		.amdhsa_tg_split 0
		.amdhsa_exception_fp_ieee_invalid_op 0
		.amdhsa_exception_fp_denorm_src 0
		.amdhsa_exception_fp_ieee_div_zero 0
		.amdhsa_exception_fp_ieee_overflow 0
		.amdhsa_exception_fp_ieee_underflow 0
		.amdhsa_exception_fp_ieee_inexact 0
		.amdhsa_exception_int_div_zero 0
	.end_amdhsa_kernel
	.section	.text._ZN5aiter19grouped_topk_kernelIN3c108BFloat16EDv2_fLi8ELb0ELb1ELb0EEEvPT_PKS4_PfPimiiiif,"axG",@progbits,_ZN5aiter19grouped_topk_kernelIN3c108BFloat16EDv2_fLi8ELb0ELb1ELb0EEEvPT_PKS4_PfPimiiiif,comdat
.Lfunc_end114:
	.size	_ZN5aiter19grouped_topk_kernelIN3c108BFloat16EDv2_fLi8ELb0ELb1ELb0EEEvPT_PKS4_PfPimiiiif, .Lfunc_end114-_ZN5aiter19grouped_topk_kernelIN3c108BFloat16EDv2_fLi8ELb0ELb1ELb0EEEvPT_PKS4_PfPimiiiif
                                        ; -- End function
	.section	.AMDGPU.csdata,"",@progbits
; Kernel info:
; codeLenInByte = 2380
; NumSgprs: 35
; NumVgprs: 24
; NumAgprs: 0
; TotalNumVgprs: 24
; ScratchSize: 0
; MemoryBound: 0
; FloatMode: 240
; IeeeMode: 1
; LDSByteSize: 0 bytes/workgroup (compile time only)
; SGPRBlocks: 4
; VGPRBlocks: 2
; NumSGPRsForWavesPerEU: 35
; NumVGPRsForWavesPerEU: 24
; AccumOffset: 24
; Occupancy: 8
; WaveLimiterHint : 0
; COMPUTE_PGM_RSRC2:SCRATCH_EN: 0
; COMPUTE_PGM_RSRC2:USER_SGPR: 6
; COMPUTE_PGM_RSRC2:TRAP_HANDLER: 0
; COMPUTE_PGM_RSRC2:TGID_X_EN: 1
; COMPUTE_PGM_RSRC2:TGID_Y_EN: 0
; COMPUTE_PGM_RSRC2:TGID_Z_EN: 0
; COMPUTE_PGM_RSRC2:TIDIG_COMP_CNT: 0
; COMPUTE_PGM_RSRC3_GFX90A:ACCUM_OFFSET: 5
; COMPUTE_PGM_RSRC3_GFX90A:TG_SPLIT: 0
	.section	.text._ZN5aiter19grouped_topk_kernelIfDv2_fLi8ELb0ELb0ELb1EEEvPT_PKS2_PfPimiiiif,"axG",@progbits,_ZN5aiter19grouped_topk_kernelIfDv2_fLi8ELb0ELb0ELb1EEEvPT_PKS2_PfPimiiiif,comdat
	.protected	_ZN5aiter19grouped_topk_kernelIfDv2_fLi8ELb0ELb0ELb1EEEvPT_PKS2_PfPimiiiif ; -- Begin function _ZN5aiter19grouped_topk_kernelIfDv2_fLi8ELb0ELb0ELb1EEEvPT_PKS2_PfPimiiiif
	.globl	_ZN5aiter19grouped_topk_kernelIfDv2_fLi8ELb0ELb0ELb1EEEvPT_PKS2_PfPimiiiif
	.p2align	8
	.type	_ZN5aiter19grouped_topk_kernelIfDv2_fLi8ELb0ELb0ELb1EEEvPT_PKS2_PfPimiiiif,@function
_ZN5aiter19grouped_topk_kernelIfDv2_fLi8ELb0ELb0ELb1EEEvPT_PKS2_PfPimiiiif: ; @_ZN5aiter19grouped_topk_kernelIfDv2_fLi8ELb0ELb0ELb1EEEvPT_PKS2_PfPimiiiif
; %bb.0:
	s_load_dwordx4 s[8:11], s[4:5], 0x28
	s_load_dwordx4 s[12:15], s[4:5], 0x10
	v_mov_b32_e32 v1, 0xff800000
	s_waitcnt lgkmcnt(0)
	v_cmp_gt_i32_e32 vcc, s8, v0
	s_and_saveexec_b64 s[2:3], vcc
	s_cbranch_execz .LBB115_4
; %bb.1:
	s_load_dword s0, s[4:5], 0x4c
	s_load_dwordx2 s[16:17], s[4:5], 0x0
	s_mul_i32 s7, s6, s8
	v_lshl_add_u32 v2, v0, 2, 0
	s_mov_b64 s[18:19], 0
	s_waitcnt lgkmcnt(0)
	s_and_b32 s11, s0, 0xffff
	s_lshl_b32 s20, s11, 2
	v_mov_b32_e32 v1, 0xff800000
	v_mov_b32_e32 v3, s17
	v_mov_b32_e32 v4, v0
.LBB115_2:                              ; =>This Inner Loop Header: Depth=1
	v_add_u32_e32 v6, s7, v4
	v_ashrrev_i32_e32 v7, 31, v6
	v_lshlrev_b64 v[6:7], 2, v[6:7]
	v_add_co_u32_e64 v6, s[0:1], s16, v6
	v_addc_co_u32_e64 v7, s[0:1], v3, v7, s[0:1]
	global_load_dword v5, v[6:7], off
	v_add_u32_e32 v4, s11, v4
	v_cmp_le_i32_e64 s[0:1], s8, v4
	s_or_b64 s[18:19], s[0:1], s[18:19]
	s_waitcnt vmcnt(0)
	v_cmp_gt_f32_e64 s[0:1], v5, v1
	ds_write_b32 v2, v5
	v_cndmask_b32_e64 v1, v1, v5, s[0:1]
	v_add_u32_e32 v2, s20, v2
	s_andn2_b64 exec, exec, s[18:19]
	s_cbranch_execnz .LBB115_2
; %bb.3:
	s_or_b64 exec, exec, s[18:19]
.LBB115_4:
	s_or_b64 exec, exec, s[2:3]
	v_mov_b32_dpp v2, v1 quad_perm:[1,0,3,2] row_mask:0xf bank_mask:0xf
	v_cmp_lt_f32_e64 s[0:1], v1, v2
	v_cndmask_b32_e64 v1, v1, v2, s[0:1]
	v_bfrev_b32_e32 v3, 0.5
	s_waitcnt lgkmcnt(0)
	v_mov_b32_dpp v2, v1 quad_perm:[2,3,0,1] row_mask:0xf bank_mask:0xf
	v_cmp_lt_f32_e64 s[0:1], v1, v2
	v_cndmask_b32_e64 v1, v1, v2, s[0:1]
	s_barrier
	s_nop 0
	v_mov_b32_dpp v2, v1 row_half_mirror row_mask:0xf bank_mask:0xf
	v_cmp_lt_f32_e64 s[0:1], v1, v2
	v_cndmask_b32_e64 v1, v1, v2, s[0:1]
	s_nop 1
	v_mov_b32_dpp v2, v1 row_mirror row_mask:0xf bank_mask:0xf
	v_cmp_lt_f32_e64 s[0:1], v1, v2
	v_cndmask_b32_e64 v1, v1, v2, s[0:1]
	s_nop 1
	v_mov_b32_dpp v2, v1 row_bcast:15 row_mask:0xf bank_mask:0xf
	v_cmp_lt_f32_e64 s[0:1], v1, v2
	v_cndmask_b32_e64 v1, v1, v2, s[0:1]
	s_nop 1
	v_mov_b32_dpp v2, v1 row_bcast:31 row_mask:0xf bank_mask:0xf
	v_cmp_lt_f32_e64 s[0:1], v1, v2
	v_cndmask_b32_e64 v2, v1, v2, s[0:1]
	v_mbcnt_lo_u32_b32 v1, -1, 0
	v_mbcnt_hi_u32_b32 v1, -1, v1
	v_lshl_or_b32 v1, v1, 2, v3
	ds_bpermute_b32 v3, v1, v2
	v_mov_b32_e32 v2, 0
	s_and_saveexec_b64 s[2:3], vcc
	s_cbranch_execz .LBB115_8
; %bb.5:
	s_load_dword s0, s[4:5], 0x4c
	v_lshl_add_u32 v4, v0, 2, 0
	s_mov_b64 s[16:17], 0
	v_mov_b32_e32 v2, 0
	s_mov_b32 s7, 0x3fb8aa3b
	s_waitcnt lgkmcnt(0)
	s_and_b32 s11, s0, 0xffff
	s_lshl_b32 s18, s11, 2
	s_mov_b32 s19, 0xc2ce8ed0
	s_mov_b32 s20, 0x42b17218
	v_mov_b32_e32 v5, 0x7f800000
	v_mov_b32_e32 v6, v0
.LBB115_6:                              ; =>This Inner Loop Header: Depth=1
	ds_read_b32 v7, v4
	v_add_u32_e32 v6, s11, v6
	s_waitcnt lgkmcnt(0)
	v_sub_f32_e32 v7, v7, v3
	v_mul_f32_e32 v8, 0x3fb8aa3b, v7
	v_fma_f32 v9, v7, s7, -v8
	v_rndne_f32_e32 v10, v8
	v_fmac_f32_e32 v9, 0x32a5705f, v7
	v_sub_f32_e32 v8, v8, v10
	v_add_f32_e32 v8, v8, v9
	v_cvt_i32_f32_e32 v10, v10
	v_exp_f32_e32 v8, v8
	v_cmp_ngt_f32_e64 s[0:1], s19, v7
	v_ldexp_f32 v8, v8, v10
	v_cndmask_b32_e64 v8, 0, v8, s[0:1]
	v_cmp_nlt_f32_e64 s[0:1], s20, v7
	v_cndmask_b32_e64 v7, v5, v8, s[0:1]
	v_cmp_le_i32_e64 s[0:1], s8, v6
	ds_write_b32 v4, v7
	v_add_f32_e32 v2, v2, v7
	s_or_b64 s[16:17], s[0:1], s[16:17]
	v_add_u32_e32 v4, s18, v4
	s_andn2_b64 exec, exec, s[16:17]
	s_cbranch_execnz .LBB115_6
; %bb.7:
	s_or_b64 exec, exec, s[16:17]
.LBB115_8:
	s_or_b64 exec, exec, s[2:3]
	s_waitcnt lgkmcnt(0)
	v_mov_b32_dpp v3, v2 quad_perm:[1,0,3,2] row_mask:0xf bank_mask:0xf
	v_add_f32_e32 v2, v2, v3
	s_barrier
	s_nop 0
	v_mov_b32_dpp v3, v2 quad_perm:[2,3,0,1] row_mask:0xf bank_mask:0xf
	v_add_f32_e32 v2, v2, v3
	s_nop 1
	v_mov_b32_dpp v3, v2 row_half_mirror row_mask:0xf bank_mask:0xf
	v_add_f32_e32 v2, v2, v3
	s_nop 1
	v_mov_b32_dpp v3, v2 row_mirror row_mask:0xf bank_mask:0xf
	v_add_f32_e32 v2, v2, v3
	s_nop 1
	v_mov_b32_dpp v3, v2 row_bcast:15 row_mask:0xf bank_mask:0xf
	v_add_f32_e32 v2, v2, v3
	s_nop 1
	v_mov_b32_dpp v3, v2 row_bcast:31 row_mask:0xf bank_mask:0xf
	v_add_f32_e32 v2, v2, v3
	ds_bpermute_b32 v1, v1, v2
	s_and_saveexec_b64 s[0:1], vcc
	s_cbranch_execz .LBB115_11
; %bb.9:
	s_load_dword s7, s[4:5], 0x4c
	v_lshl_add_u32 v2, v0, 2, 0
	s_mov_b64 s[2:3], 0
	v_mov_b32_e32 v3, v0
	s_waitcnt lgkmcnt(0)
	s_and_b32 s7, s7, 0xffff
	s_lshl_b32 s11, s7, 2
.LBB115_10:                             ; =>This Inner Loop Header: Depth=1
	ds_read_b32 v4, v2
	v_add_u32_e32 v3, s7, v3
	v_cmp_le_i32_e32 vcc, s8, v3
	s_or_b64 s[2:3], vcc, s[2:3]
	s_waitcnt lgkmcnt(0)
	v_div_scale_f32 v5, s[16:17], v1, v1, v4
	v_rcp_f32_e32 v6, v5
	v_div_scale_f32 v7, vcc, v4, v1, v4
	v_fma_f32 v8, -v5, v6, 1.0
	v_fmac_f32_e32 v6, v8, v6
	v_mul_f32_e32 v8, v7, v6
	v_fma_f32 v9, -v5, v8, v7
	v_fmac_f32_e32 v8, v9, v6
	v_fma_f32 v5, -v5, v8, v7
	v_div_fmas_f32 v5, v5, v6, v8
	v_div_fixup_f32 v4, v5, v1, v4
	ds_write_b32 v2, v4
	v_add_u32_e32 v2, s11, v2
	s_andn2_b64 exec, exec, s[2:3]
	s_cbranch_execnz .LBB115_10
.LBB115_11:
	s_or_b64 exec, exec, s[0:1]
	s_ashr_i32 s0, s8, 31
	s_lshr_b32 s0, s0, 29
	s_add_i32 s0, s8, s0
	s_ashr_i32 s11, s0, 3
	s_lshl_b32 s0, s8, 2
	s_add_i32 s7, s0, 0
	v_cmp_gt_u32_e32 vcc, 8, v0
	s_waitcnt lgkmcnt(0)
	s_barrier
	s_and_saveexec_b64 s[2:3], vcc
	s_cbranch_execz .LBB115_18
; %bb.12:
	s_load_dword s0, s[4:5], 0x4c
	v_mul_lo_u32 v1, v0, s11
	v_lshl_add_u32 v1, v1, 2, 0
	s_waitcnt lgkmcnt(0)
	s_and_b32 s20, s0, 0xffff
	s_cmp_gt_i32 s8, 7
	s_cselect_b64 s[0:1], -1, 0
	s_mul_i32 s16, s11, s20
	v_cndmask_b32_e64 v2, 0, 1, s[0:1]
	s_lshl_b32 s21, s16, 2
	s_mov_b64 s[16:17], 0
	v_cmp_ne_u32_e64 s[0:1], 1, v2
	v_mov_b32_e32 v2, v0
	s_branch .LBB115_14
.LBB115_13:                             ;   in Loop: Header=BB115_14 Depth=1
	v_lshl_add_u32 v4, v2, 2, s7
	v_add_u32_e32 v2, s20, v2
	v_cmp_lt_u32_e32 vcc, 7, v2
	s_or_b64 s[16:17], vcc, s[16:17]
	v_add_u32_e32 v1, s21, v1
	ds_write_b32 v4, v3
	s_andn2_b64 exec, exec, s[16:17]
	s_cbranch_execz .LBB115_18
.LBB115_14:                             ; =>This Loop Header: Depth=1
                                        ;     Child Loop BB115_16 Depth 2
	s_and_b64 vcc, exec, s[0:1]
	v_mov_b32_e32 v3, 0xff800000
	s_cbranch_vccnz .LBB115_13
; %bb.15:                               ;   in Loop: Header=BB115_14 Depth=1
	v_mul_lo_u32 v4, v2, s11
	v_add_u32_e32 v5, s11, v4
	s_mov_b64 s[18:19], 0
	v_mov_b32_e32 v3, 0xff800000
	v_mov_b32_e32 v6, v1
.LBB115_16:                             ;   Parent Loop BB115_14 Depth=1
                                        ; =>  This Inner Loop Header: Depth=2
	ds_read_b32 v7, v6
	v_add_u32_e32 v4, 1, v4
	v_cmp_ge_i32_e32 vcc, v4, v5
	s_or_b64 s[18:19], vcc, s[18:19]
	v_add_u32_e32 v6, 4, v6
	s_waitcnt lgkmcnt(0)
	v_cmp_gt_f32_e32 vcc, v7, v3
	v_cndmask_b32_e32 v3, v3, v7, vcc
	s_andn2_b64 exec, exec, s[18:19]
	s_cbranch_execnz .LBB115_16
; %bb.17:                               ;   in Loop: Header=BB115_14 Depth=1
	s_or_b64 exec, exec, s[18:19]
	s_branch .LBB115_13
.LBB115_18:
	s_or_b64 exec, exec, s[2:3]
	s_cmp_lt_i32 s10, 1
	s_waitcnt lgkmcnt(0)
	s_barrier
	s_cbranch_scc1 .LBB115_21
; %bb.19:
	v_mov_b32_e32 v1, s7
	s_mov_b32 s0, 0xff800000
	v_mov_b32_e32 v2, 0xff800000
.LBB115_20:                             ; =>This Inner Loop Header: Depth=1
	ds_read2_b32 v[4:5], v1 offset1:1
	ds_read2_b32 v[6:7], v1 offset0:2 offset1:3
	ds_read2_b32 v[8:9], v1 offset0:4 offset1:5
	ds_read2_b32 v[10:11], v1 offset0:6 offset1:7
	s_waitcnt lgkmcnt(3)
	v_cmp_nlg_f32_e32 vcc, s0, v4
	v_cndmask_b32_e64 v3, 0, 1, vcc
	v_cmp_lg_f32_e32 vcc, s0, v4
	v_readfirstlane_b32 s1, v3
	v_cndmask_b32_e32 v3, v2, v4, vcc
	v_cmp_gt_f32_e32 vcc, v5, v3
	s_lshl_b32 s1, s1, 3
	v_cndmask_b32_e32 v3, v3, v5, vcc
	s_and_b64 s[2:3], vcc, exec
	s_waitcnt lgkmcnt(2)
	v_cmp_gt_f32_e32 vcc, v6, v3
	v_cndmask_b32_e32 v3, v3, v6, vcc
	s_cselect_b32 s1, 1, s1
	s_and_b64 s[2:3], vcc, exec
	v_cmp_gt_f32_e32 vcc, v7, v3
	v_cndmask_b32_e32 v3, v3, v7, vcc
	s_cselect_b32 s1, 2, s1
	s_and_b64 s[2:3], vcc, exec
	s_waitcnt lgkmcnt(1)
	v_cmp_gt_f32_e32 vcc, v8, v3
	v_cndmask_b32_e32 v3, v3, v8, vcc
	s_cselect_b32 s1, 3, s1
	s_and_b64 s[2:3], vcc, exec
	v_cmp_gt_f32_e32 vcc, v9, v3
	v_cndmask_b32_e32 v3, v3, v9, vcc
	s_cselect_b32 s1, 4, s1
	s_and_b64 s[2:3], vcc, exec
	s_waitcnt lgkmcnt(0)
	v_cmp_gt_f32_e32 vcc, v10, v3
	v_cndmask_b32_e32 v3, v3, v10, vcc
	s_cselect_b32 s1, 5, s1
	s_and_b64 s[2:3], vcc, exec
	v_cmp_ngt_f32_e32 vcc, v11, v3
	s_cselect_b32 s1, 6, s1
	s_and_b64 s[2:3], vcc, exec
	s_cselect_b32 s1, s1, 7
	s_lshl_b32 s1, s1, 2
	s_add_i32 s1, s7, s1
	s_add_i32 s10, s10, -1
	v_mov_b32_e32 v3, s1
	s_cmp_lg_u32 s10, 0
	ds_write_b32 v3, v2
	s_cbranch_scc1 .LBB115_20
.LBB115_21:
	s_lshr_b32 s0, s8, 31
	s_add_i32 s0, s8, s0
	s_ashr_i32 s8, s0, 1
	v_cmp_gt_i32_e32 vcc, s8, v0
	v_lshlrev_b32_e32 v1, 1, v0
	v_lshl_add_u32 v4, v0, 3, 0
	s_and_saveexec_b64 s[2:3], vcc
	s_cbranch_execz .LBB115_26
; %bb.22:
	s_abs_i32 s18, s11
	v_cvt_f32_u32_e32 v2, s18
	s_load_dword s0, s[4:5], 0x4c
	s_sub_i32 s1, 0, s18
	s_ashr_i32 s19, s11, 31
	v_rcp_iflag_f32_e32 v2, v2
	v_lshlrev_b32_e32 v5, 1, v0
	s_waitcnt lgkmcnt(0)
	s_and_b32 s20, s0, 0xffff
	v_lshl_add_u32 v6, v0, 3, 0
	v_mul_f32_e32 v2, 0x4f7ffffe, v2
	v_cvt_u32_f32_e32 v2, v2
	s_mov_b64 s[10:11], 0
	s_lshl_b32 s21, s20, 1
	s_lshl_b32 s22, s20, 3
	v_mul_lo_u32 v3, s1, v2
	v_mul_hi_u32 v3, v2, v3
	v_add_u32_e32 v7, v2, v3
	s_mov_b32 s23, 0xff800000
	v_mov_b32_e32 v2, 0xff800000
	v_mov_b32_e32 v8, v0
	s_branch .LBB115_24
.LBB115_23:                             ;   in Loop: Header=BB115_24 Depth=1
	s_or_b64 exec, exec, s[16:17]
	v_add_u32_e32 v8, s20, v8
	v_cmp_le_i32_e64 s[0:1], s8, v8
	v_add_u32_e32 v5, s21, v5
	s_or_b64 s[10:11], s[0:1], s[10:11]
	v_add_u32_e32 v6, s22, v6
	s_andn2_b64 exec, exec, s[10:11]
	s_cbranch_execz .LBB115_26
.LBB115_24:                             ; =>This Inner Loop Header: Depth=1
	v_mul_hi_u32 v3, v5, v7
	v_mul_lo_u32 v9, v3, s18
	v_sub_u32_e32 v9, v5, v9
	v_add_u32_e32 v10, 1, v3
	v_cmp_le_u32_e64 s[0:1], s18, v9
	v_cndmask_b32_e64 v3, v3, v10, s[0:1]
	v_subrev_u32_e32 v10, s18, v9
	v_cndmask_b32_e64 v9, v9, v10, s[0:1]
	v_add_u32_e32 v10, 1, v3
	v_cmp_le_u32_e64 s[0:1], s18, v9
	v_cndmask_b32_e64 v3, v3, v10, s[0:1]
	v_xor_b32_e32 v3, s19, v3
	v_subrev_u32_e32 v3, s19, v3
	v_lshl_add_u32 v3, v3, 2, s7
	ds_read_b32 v3, v3
	s_waitcnt lgkmcnt(0)
	v_cmp_neq_f32_e64 s[0:1], s23, v3
	s_and_saveexec_b64 s[16:17], s[0:1]
	s_cbranch_execz .LBB115_23
; %bb.25:                               ;   in Loop: Header=BB115_24 Depth=1
	v_mov_b32_e32 v3, v2
	ds_write_b64 v6, v[2:3]
	s_branch .LBB115_23
.LBB115_26:
	s_or_b64 exec, exec, s[2:3]
	s_cmp_lt_i32 s9, 1
	s_waitcnt lgkmcnt(0)
	s_barrier
	s_cbranch_scc1 .LBB115_33
; %bb.27:
	s_add_u32 s2, s4, 64
	s_addc_u32 s3, s5, 0
	s_mov_b32 s7, 0
	v_mov_b32_e32 v5, 0xff800000
                                        ; implicit-def: $vgpr3
                                        ; implicit-def: $vgpr2
	s_branch .LBB115_29
.LBB115_28:                             ;   in Loop: Header=BB115_29 Depth=1
	s_or_b64 exec, exec, s[10:11]
	v_mov_b32_dpp v9, v7 quad_perm:[1,0,3,2] row_mask:0xf bank_mask:0xf
	v_cmp_lt_f32_e64 s[0:1], v7, v9
	v_cndmask_b32_e64 v7, v7, v9, s[0:1]
	v_mov_b32_dpp v8, v6 quad_perm:[1,0,3,2] row_mask:0xf bank_mask:0xf
	v_cndmask_b32_e64 v6, v6, v8, s[0:1]
	v_mov_b32_dpp v9, v7 quad_perm:[2,3,0,1] row_mask:0xf bank_mask:0xf
	v_cmp_gt_f32_e64 s[0:1], v9, v7
	v_cndmask_b32_e64 v7, v7, v9, s[0:1]
	v_mov_b32_dpp v8, v6 quad_perm:[2,3,0,1] row_mask:0xf bank_mask:0xf
	v_cndmask_b32_e64 v6, v6, v8, s[0:1]
	v_mov_b32_dpp v9, v7 row_half_mirror row_mask:0xf bank_mask:0xf
	v_cmp_gt_f32_e64 s[0:1], v9, v7
	v_cndmask_b32_e64 v7, v7, v9, s[0:1]
	v_mov_b32_dpp v8, v6 row_half_mirror row_mask:0xf bank_mask:0xf
	v_cndmask_b32_e64 v6, v6, v8, s[0:1]
	v_mov_b32_dpp v9, v7 row_mirror row_mask:0xf bank_mask:0xf
	v_cmp_gt_f32_e64 s[0:1], v9, v7
	v_cndmask_b32_e64 v7, v7, v9, s[0:1]
	v_mov_b32_dpp v8, v6 row_mirror row_mask:0xf bank_mask:0xf
	v_cndmask_b32_e64 v6, v6, v8, s[0:1]
	v_mov_b32_dpp v9, v7 row_bcast:15 row_mask:0xf bank_mask:0xf
	v_cmp_gt_f32_e64 s[0:1], v9, v7
	v_mov_b32_dpp v8, v6 row_bcast:15 row_mask:0xf bank_mask:0xf
	v_cndmask_b32_e64 v7, v7, v9, s[0:1]
	v_cndmask_b32_e64 v6, v6, v8, s[0:1]
	s_nop 0
	v_mov_b32_dpp v9, v7 row_bcast:31 row_mask:0xf bank_mask:0xf
	v_mov_b32_dpp v8, v6 row_bcast:31 row_mask:0xf bank_mask:0xf
	v_cmp_gt_f32_e64 s[0:1], v9, v7
	v_cndmask_b32_e64 v6, v6, v8, s[0:1]
	v_cndmask_b32_e64 v7, v7, v9, s[0:1]
	v_readlane_b32 s0, v6, 63
	s_lshl_b32 s1, s0, 2
	s_add_i32 s1, s1, 0
	v_mov_b32_e32 v6, s1
	v_readlane_b32 s10, v7, 63
	ds_write_b32 v6, v5
	v_mov_b32_e32 v6, s0
	v_cmp_eq_u32_e64 s[0:1], s7, v0
	v_cndmask_b32_e64 v2, v2, v6, s[0:1]
	v_mov_b32_e32 v6, s10
	s_add_i32 s7, s7, 1
	s_cmp_eq_u32 s7, s9
	v_cndmask_b32_e64 v3, v3, v6, s[0:1]
	s_cbranch_scc1 .LBB115_34
.LBB115_29:                             ; =>This Loop Header: Depth=1
                                        ;     Child Loop BB115_31 Depth 2
	v_mov_b32_e32 v6, s7
	v_mov_b32_e32 v7, 0xff800000
	s_and_saveexec_b64 s[10:11], vcc
	s_cbranch_execz .LBB115_28
; %bb.30:                               ;   in Loop: Header=BB115_29 Depth=1
	s_load_dword s0, s[2:3], 0xc
	s_mov_b64 s[16:17], 0
	v_mov_b32_e32 v6, s7
	v_mov_b32_e32 v7, 0xff800000
	;; [unrolled: 1-line block ×3, first 2 shown]
	s_waitcnt lgkmcnt(0)
	s_and_b32 s18, s0, 0xffff
	s_lshl_b32 s19, s18, 1
	s_lshl_b32 s20, s18, 3
	v_mov_b32_e32 v9, v1
	v_mov_b32_e32 v10, v0
.LBB115_31:                             ;   Parent Loop BB115_29 Depth=1
                                        ; =>  This Inner Loop Header: Depth=2
	ds_read_b64 v[12:13], v8
	v_add_u32_e32 v10, s18, v10
	v_cmp_le_i32_e64 s[0:1], s8, v10
	s_or_b64 s[16:17], s[0:1], s[16:17]
	v_add_u32_e32 v11, 1, v9
	s_waitcnt lgkmcnt(0)
	v_cmp_gt_f32_e64 s[0:1], v12, v7
	v_cndmask_b32_e64 v7, v7, v12, s[0:1]
	v_cndmask_b32_e64 v6, v6, v9, s[0:1]
	v_cmp_gt_f32_e64 s[0:1], v13, v7
	v_add_u32_e32 v8, s20, v8
	v_cndmask_b32_e64 v7, v7, v13, s[0:1]
	v_add_u32_e32 v9, s19, v9
	v_cndmask_b32_e64 v6, v6, v11, s[0:1]
	s_andn2_b64 exec, exec, s[16:17]
	s_cbranch_execnz .LBB115_31
; %bb.32:                               ;   in Loop: Header=BB115_29 Depth=1
	s_or_b64 exec, exec, s[16:17]
	s_branch .LBB115_28
.LBB115_33:
                                        ; implicit-def: $vgpr3
                                        ; implicit-def: $vgpr2
.LBB115_34:
	v_cmp_gt_i32_e32 vcc, s9, v0
	s_and_saveexec_b64 s[0:1], vcc
	s_cbranch_execz .LBB115_37
; %bb.35:
	s_load_dword s2, s[4:5], 0x38
	s_load_dwordx2 s[0:1], s[4:5], 0x20
	s_ashr_i32 s3, s6, 31
	s_load_dword s4, s[4:5], 0x4c
	v_mov_b32_e32 v4, s13
	s_waitcnt lgkmcnt(0)
	v_mul_f32_e32 v1, s2, v3
	s_mul_i32 s1, s6, s1
	s_mul_hi_u32 s2, s6, s0
	s_add_i32 s1, s2, s1
	s_mul_i32 s3, s3, s0
	s_add_i32 s5, s1, s3
	s_mul_i32 s2, s6, s0
	s_and_b32 s3, s4, 0xffff
	s_mov_b64 s[0:1], 0
	v_mov_b32_e32 v3, s5
	v_mov_b32_e32 v5, s15
.LBB115_36:                             ; =>This Inner Loop Header: Depth=1
	v_ashrrev_i32_e32 v7, 31, v0
	v_add_co_u32_e32 v6, vcc, s2, v0
	v_addc_co_u32_e32 v7, vcc, v3, v7, vcc
	v_add_u32_e32 v0, s3, v0
	v_cmp_le_i32_e32 vcc, s9, v0
	v_lshlrev_b64 v[6:7], 2, v[6:7]
	s_or_b64 s[0:1], vcc, s[0:1]
	v_add_co_u32_e32 v8, vcc, s12, v6
	v_addc_co_u32_e32 v9, vcc, v4, v7, vcc
	v_add_co_u32_e32 v6, vcc, s14, v6
	v_addc_co_u32_e32 v7, vcc, v5, v7, vcc
	global_store_dword v[8:9], v1, off
	global_store_dword v[6:7], v2, off
	s_andn2_b64 exec, exec, s[0:1]
	s_cbranch_execnz .LBB115_36
.LBB115_37:
	s_endpgm
	.section	.rodata,"a",@progbits
	.p2align	6, 0x0
	.amdhsa_kernel _ZN5aiter19grouped_topk_kernelIfDv2_fLi8ELb0ELb0ELb1EEEvPT_PKS2_PfPimiiiif
		.amdhsa_group_segment_fixed_size 0
		.amdhsa_private_segment_fixed_size 0
		.amdhsa_kernarg_size 320
		.amdhsa_user_sgpr_count 6
		.amdhsa_user_sgpr_private_segment_buffer 1
		.amdhsa_user_sgpr_dispatch_ptr 0
		.amdhsa_user_sgpr_queue_ptr 0
		.amdhsa_user_sgpr_kernarg_segment_ptr 1
		.amdhsa_user_sgpr_dispatch_id 0
		.amdhsa_user_sgpr_flat_scratch_init 0
		.amdhsa_user_sgpr_kernarg_preload_length 0
		.amdhsa_user_sgpr_kernarg_preload_offset 0
		.amdhsa_user_sgpr_private_segment_size 0
		.amdhsa_uses_dynamic_stack 0
		.amdhsa_system_sgpr_private_segment_wavefront_offset 0
		.amdhsa_system_sgpr_workgroup_id_x 1
		.amdhsa_system_sgpr_workgroup_id_y 0
		.amdhsa_system_sgpr_workgroup_id_z 0
		.amdhsa_system_sgpr_workgroup_info 0
		.amdhsa_system_vgpr_workitem_id 0
		.amdhsa_next_free_vgpr 14
		.amdhsa_next_free_sgpr 24
		.amdhsa_accum_offset 16
		.amdhsa_reserve_vcc 1
		.amdhsa_reserve_flat_scratch 0
		.amdhsa_float_round_mode_32 0
		.amdhsa_float_round_mode_16_64 0
		.amdhsa_float_denorm_mode_32 3
		.amdhsa_float_denorm_mode_16_64 3
		.amdhsa_dx10_clamp 1
		.amdhsa_ieee_mode 1
		.amdhsa_fp16_overflow 0
		.amdhsa_tg_split 0
		.amdhsa_exception_fp_ieee_invalid_op 0
		.amdhsa_exception_fp_denorm_src 0
		.amdhsa_exception_fp_ieee_div_zero 0
		.amdhsa_exception_fp_ieee_overflow 0
		.amdhsa_exception_fp_ieee_underflow 0
		.amdhsa_exception_fp_ieee_inexact 0
		.amdhsa_exception_int_div_zero 0
	.end_amdhsa_kernel
	.section	.text._ZN5aiter19grouped_topk_kernelIfDv2_fLi8ELb0ELb0ELb1EEEvPT_PKS2_PfPimiiiif,"axG",@progbits,_ZN5aiter19grouped_topk_kernelIfDv2_fLi8ELb0ELb0ELb1EEEvPT_PKS2_PfPimiiiif,comdat
.Lfunc_end115:
	.size	_ZN5aiter19grouped_topk_kernelIfDv2_fLi8ELb0ELb0ELb1EEEvPT_PKS2_PfPimiiiif, .Lfunc_end115-_ZN5aiter19grouped_topk_kernelIfDv2_fLi8ELb0ELb0ELb1EEEvPT_PKS2_PfPimiiiif
                                        ; -- End function
	.section	.AMDGPU.csdata,"",@progbits
; Kernel info:
; codeLenInByte = 2488
; NumSgprs: 28
; NumVgprs: 14
; NumAgprs: 0
; TotalNumVgprs: 14
; ScratchSize: 0
; MemoryBound: 0
; FloatMode: 240
; IeeeMode: 1
; LDSByteSize: 0 bytes/workgroup (compile time only)
; SGPRBlocks: 3
; VGPRBlocks: 1
; NumSGPRsForWavesPerEU: 28
; NumVGPRsForWavesPerEU: 14
; AccumOffset: 16
; Occupancy: 8
; WaveLimiterHint : 0
; COMPUTE_PGM_RSRC2:SCRATCH_EN: 0
; COMPUTE_PGM_RSRC2:USER_SGPR: 6
; COMPUTE_PGM_RSRC2:TRAP_HANDLER: 0
; COMPUTE_PGM_RSRC2:TGID_X_EN: 1
; COMPUTE_PGM_RSRC2:TGID_Y_EN: 0
; COMPUTE_PGM_RSRC2:TGID_Z_EN: 0
; COMPUTE_PGM_RSRC2:TIDIG_COMP_CNT: 0
; COMPUTE_PGM_RSRC3_GFX90A:ACCUM_OFFSET: 3
; COMPUTE_PGM_RSRC3_GFX90A:TG_SPLIT: 0
	.section	.text._ZN5aiter19grouped_topk_kernelIN3c104HalfEDv2_fLi8ELb0ELb0ELb1EEEvPT_PKS4_PfPimiiiif,"axG",@progbits,_ZN5aiter19grouped_topk_kernelIN3c104HalfEDv2_fLi8ELb0ELb0ELb1EEEvPT_PKS4_PfPimiiiif,comdat
	.protected	_ZN5aiter19grouped_topk_kernelIN3c104HalfEDv2_fLi8ELb0ELb0ELb1EEEvPT_PKS4_PfPimiiiif ; -- Begin function _ZN5aiter19grouped_topk_kernelIN3c104HalfEDv2_fLi8ELb0ELb0ELb1EEEvPT_PKS4_PfPimiiiif
	.globl	_ZN5aiter19grouped_topk_kernelIN3c104HalfEDv2_fLi8ELb0ELb0ELb1EEEvPT_PKS4_PfPimiiiif
	.p2align	8
	.type	_ZN5aiter19grouped_topk_kernelIN3c104HalfEDv2_fLi8ELb0ELb0ELb1EEEvPT_PKS4_PfPimiiiif,@function
_ZN5aiter19grouped_topk_kernelIN3c104HalfEDv2_fLi8ELb0ELb0ELb1EEEvPT_PKS4_PfPimiiiif: ; @_ZN5aiter19grouped_topk_kernelIN3c104HalfEDv2_fLi8ELb0ELb0ELb1EEEvPT_PKS4_PfPimiiiif
; %bb.0:
	s_load_dwordx4 s[8:11], s[4:5], 0x28
	s_load_dwordx4 s[12:15], s[4:5], 0x10
	v_mov_b32_e32 v1, 0xff800000
	s_waitcnt lgkmcnt(0)
	v_cmp_gt_i32_e32 vcc, s8, v0
	s_and_saveexec_b64 s[2:3], vcc
	s_cbranch_execz .LBB116_4
; %bb.1:
	s_load_dword s0, s[4:5], 0x4c
	s_load_dwordx2 s[16:17], s[4:5], 0x0
	s_mul_i32 s7, s6, s8
	v_lshl_add_u32 v2, v0, 2, 0
	s_mov_b64 s[18:19], 0
	s_waitcnt lgkmcnt(0)
	s_and_b32 s11, s0, 0xffff
	s_lshl_b32 s20, s11, 2
	v_mov_b32_e32 v1, 0xff800000
	v_mov_b32_e32 v3, s17
	;; [unrolled: 1-line block ×3, first 2 shown]
.LBB116_2:                              ; =>This Inner Loop Header: Depth=1
	v_add_u32_e32 v6, s7, v4
	v_ashrrev_i32_e32 v7, 31, v6
	v_lshlrev_b64 v[6:7], 1, v[6:7]
	v_add_co_u32_e64 v6, s[0:1], s16, v6
	v_addc_co_u32_e64 v7, s[0:1], v3, v7, s[0:1]
	global_load_ushort v5, v[6:7], off
	v_add_u32_e32 v4, s11, v4
	v_cmp_le_i32_e64 s[0:1], s8, v4
	s_or_b64 s[18:19], s[0:1], s[18:19]
	s_waitcnt vmcnt(0)
	v_cvt_f32_f16_e32 v5, v5
	v_cmp_lt_f32_e64 s[0:1], v1, v5
	ds_write_b32 v2, v5
	v_cndmask_b32_e64 v1, v1, v5, s[0:1]
	v_add_u32_e32 v2, s20, v2
	s_andn2_b64 exec, exec, s[18:19]
	s_cbranch_execnz .LBB116_2
; %bb.3:
	s_or_b64 exec, exec, s[18:19]
.LBB116_4:
	s_or_b64 exec, exec, s[2:3]
	v_mov_b32_dpp v2, v1 quad_perm:[1,0,3,2] row_mask:0xf bank_mask:0xf
	v_cmp_lt_f32_e64 s[0:1], v1, v2
	v_cndmask_b32_e64 v1, v1, v2, s[0:1]
	v_bfrev_b32_e32 v3, 0.5
	s_waitcnt lgkmcnt(0)
	v_mov_b32_dpp v2, v1 quad_perm:[2,3,0,1] row_mask:0xf bank_mask:0xf
	v_cmp_lt_f32_e64 s[0:1], v1, v2
	v_cndmask_b32_e64 v1, v1, v2, s[0:1]
	s_barrier
	s_nop 0
	v_mov_b32_dpp v2, v1 row_half_mirror row_mask:0xf bank_mask:0xf
	v_cmp_lt_f32_e64 s[0:1], v1, v2
	v_cndmask_b32_e64 v1, v1, v2, s[0:1]
	s_nop 1
	v_mov_b32_dpp v2, v1 row_mirror row_mask:0xf bank_mask:0xf
	v_cmp_lt_f32_e64 s[0:1], v1, v2
	v_cndmask_b32_e64 v1, v1, v2, s[0:1]
	s_nop 1
	v_mov_b32_dpp v2, v1 row_bcast:15 row_mask:0xf bank_mask:0xf
	v_cmp_lt_f32_e64 s[0:1], v1, v2
	v_cndmask_b32_e64 v1, v1, v2, s[0:1]
	s_nop 1
	v_mov_b32_dpp v2, v1 row_bcast:31 row_mask:0xf bank_mask:0xf
	v_cmp_lt_f32_e64 s[0:1], v1, v2
	v_cndmask_b32_e64 v2, v1, v2, s[0:1]
	v_mbcnt_lo_u32_b32 v1, -1, 0
	v_mbcnt_hi_u32_b32 v1, -1, v1
	v_lshl_or_b32 v1, v1, 2, v3
	ds_bpermute_b32 v3, v1, v2
	v_mov_b32_e32 v2, 0
	s_and_saveexec_b64 s[2:3], vcc
	s_cbranch_execz .LBB116_8
; %bb.5:
	s_load_dword s0, s[4:5], 0x4c
	v_lshl_add_u32 v4, v0, 2, 0
	s_mov_b64 s[16:17], 0
	v_mov_b32_e32 v2, 0
	s_mov_b32 s7, 0x3fb8aa3b
	s_waitcnt lgkmcnt(0)
	s_and_b32 s11, s0, 0xffff
	s_lshl_b32 s18, s11, 2
	s_mov_b32 s19, 0xc2ce8ed0
	s_mov_b32 s20, 0x42b17218
	v_mov_b32_e32 v5, 0x7f800000
	v_mov_b32_e32 v6, v0
.LBB116_6:                              ; =>This Inner Loop Header: Depth=1
	ds_read_b32 v7, v4
	v_add_u32_e32 v6, s11, v6
	s_waitcnt lgkmcnt(0)
	v_sub_f32_e32 v7, v7, v3
	v_mul_f32_e32 v8, 0x3fb8aa3b, v7
	v_fma_f32 v9, v7, s7, -v8
	v_rndne_f32_e32 v10, v8
	v_fmac_f32_e32 v9, 0x32a5705f, v7
	v_sub_f32_e32 v8, v8, v10
	v_add_f32_e32 v8, v8, v9
	v_cvt_i32_f32_e32 v10, v10
	v_exp_f32_e32 v8, v8
	v_cmp_ngt_f32_e64 s[0:1], s19, v7
	v_ldexp_f32 v8, v8, v10
	v_cndmask_b32_e64 v8, 0, v8, s[0:1]
	v_cmp_nlt_f32_e64 s[0:1], s20, v7
	v_cndmask_b32_e64 v7, v5, v8, s[0:1]
	v_cmp_le_i32_e64 s[0:1], s8, v6
	ds_write_b32 v4, v7
	v_add_f32_e32 v2, v2, v7
	s_or_b64 s[16:17], s[0:1], s[16:17]
	v_add_u32_e32 v4, s18, v4
	s_andn2_b64 exec, exec, s[16:17]
	s_cbranch_execnz .LBB116_6
; %bb.7:
	s_or_b64 exec, exec, s[16:17]
.LBB116_8:
	s_or_b64 exec, exec, s[2:3]
	s_waitcnt lgkmcnt(0)
	v_mov_b32_dpp v3, v2 quad_perm:[1,0,3,2] row_mask:0xf bank_mask:0xf
	v_add_f32_e32 v2, v2, v3
	s_barrier
	s_nop 0
	v_mov_b32_dpp v3, v2 quad_perm:[2,3,0,1] row_mask:0xf bank_mask:0xf
	v_add_f32_e32 v2, v2, v3
	s_nop 1
	v_mov_b32_dpp v3, v2 row_half_mirror row_mask:0xf bank_mask:0xf
	v_add_f32_e32 v2, v2, v3
	s_nop 1
	v_mov_b32_dpp v3, v2 row_mirror row_mask:0xf bank_mask:0xf
	v_add_f32_e32 v2, v2, v3
	s_nop 1
	v_mov_b32_dpp v3, v2 row_bcast:15 row_mask:0xf bank_mask:0xf
	v_add_f32_e32 v2, v2, v3
	s_nop 1
	v_mov_b32_dpp v3, v2 row_bcast:31 row_mask:0xf bank_mask:0xf
	v_add_f32_e32 v2, v2, v3
	ds_bpermute_b32 v1, v1, v2
	s_and_saveexec_b64 s[0:1], vcc
	s_cbranch_execz .LBB116_11
; %bb.9:
	s_load_dword s7, s[4:5], 0x4c
	v_lshl_add_u32 v2, v0, 2, 0
	s_mov_b64 s[2:3], 0
	v_mov_b32_e32 v3, v0
	s_waitcnt lgkmcnt(0)
	s_and_b32 s7, s7, 0xffff
	s_lshl_b32 s11, s7, 2
.LBB116_10:                             ; =>This Inner Loop Header: Depth=1
	ds_read_b32 v4, v2
	v_add_u32_e32 v3, s7, v3
	v_cmp_le_i32_e32 vcc, s8, v3
	s_or_b64 s[2:3], vcc, s[2:3]
	s_waitcnt lgkmcnt(0)
	v_div_scale_f32 v5, s[16:17], v1, v1, v4
	v_rcp_f32_e32 v6, v5
	v_div_scale_f32 v7, vcc, v4, v1, v4
	v_fma_f32 v8, -v5, v6, 1.0
	v_fmac_f32_e32 v6, v8, v6
	v_mul_f32_e32 v8, v7, v6
	v_fma_f32 v9, -v5, v8, v7
	v_fmac_f32_e32 v8, v9, v6
	v_fma_f32 v5, -v5, v8, v7
	v_div_fmas_f32 v5, v5, v6, v8
	v_div_fixup_f32 v4, v5, v1, v4
	ds_write_b32 v2, v4
	v_add_u32_e32 v2, s11, v2
	s_andn2_b64 exec, exec, s[2:3]
	s_cbranch_execnz .LBB116_10
.LBB116_11:
	s_or_b64 exec, exec, s[0:1]
	s_ashr_i32 s0, s8, 31
	s_lshr_b32 s0, s0, 29
	s_add_i32 s0, s8, s0
	s_ashr_i32 s11, s0, 3
	s_lshl_b32 s0, s8, 2
	s_add_i32 s7, s0, 0
	v_cmp_gt_u32_e32 vcc, 8, v0
	s_waitcnt lgkmcnt(0)
	s_barrier
	s_and_saveexec_b64 s[2:3], vcc
	s_cbranch_execz .LBB116_18
; %bb.12:
	s_load_dword s0, s[4:5], 0x4c
	v_mul_lo_u32 v1, v0, s11
	v_lshl_add_u32 v1, v1, 2, 0
	s_waitcnt lgkmcnt(0)
	s_and_b32 s20, s0, 0xffff
	s_cmp_gt_i32 s8, 7
	s_cselect_b64 s[0:1], -1, 0
	s_mul_i32 s16, s11, s20
	v_cndmask_b32_e64 v2, 0, 1, s[0:1]
	s_lshl_b32 s21, s16, 2
	s_mov_b64 s[16:17], 0
	v_cmp_ne_u32_e64 s[0:1], 1, v2
	v_mov_b32_e32 v2, v0
	s_branch .LBB116_14
.LBB116_13:                             ;   in Loop: Header=BB116_14 Depth=1
	v_lshl_add_u32 v4, v2, 2, s7
	v_add_u32_e32 v2, s20, v2
	v_cmp_lt_u32_e32 vcc, 7, v2
	s_or_b64 s[16:17], vcc, s[16:17]
	v_add_u32_e32 v1, s21, v1
	ds_write_b32 v4, v3
	s_andn2_b64 exec, exec, s[16:17]
	s_cbranch_execz .LBB116_18
.LBB116_14:                             ; =>This Loop Header: Depth=1
                                        ;     Child Loop BB116_16 Depth 2
	s_and_b64 vcc, exec, s[0:1]
	v_mov_b32_e32 v3, 0xff800000
	s_cbranch_vccnz .LBB116_13
; %bb.15:                               ;   in Loop: Header=BB116_14 Depth=1
	v_mul_lo_u32 v4, v2, s11
	v_add_u32_e32 v5, s11, v4
	s_mov_b64 s[18:19], 0
	v_mov_b32_e32 v3, 0xff800000
	v_mov_b32_e32 v6, v1
.LBB116_16:                             ;   Parent Loop BB116_14 Depth=1
                                        ; =>  This Inner Loop Header: Depth=2
	ds_read_b32 v7, v6
	v_add_u32_e32 v4, 1, v4
	v_cmp_ge_i32_e32 vcc, v4, v5
	s_or_b64 s[18:19], vcc, s[18:19]
	v_add_u32_e32 v6, 4, v6
	s_waitcnt lgkmcnt(0)
	v_cmp_gt_f32_e32 vcc, v7, v3
	v_cndmask_b32_e32 v3, v3, v7, vcc
	s_andn2_b64 exec, exec, s[18:19]
	s_cbranch_execnz .LBB116_16
; %bb.17:                               ;   in Loop: Header=BB116_14 Depth=1
	s_or_b64 exec, exec, s[18:19]
	s_branch .LBB116_13
.LBB116_18:
	s_or_b64 exec, exec, s[2:3]
	s_cmp_lt_i32 s10, 1
	s_waitcnt lgkmcnt(0)
	s_barrier
	s_cbranch_scc1 .LBB116_21
; %bb.19:
	v_mov_b32_e32 v1, s7
	s_mov_b32 s0, 0xff800000
	v_mov_b32_e32 v2, 0xff800000
.LBB116_20:                             ; =>This Inner Loop Header: Depth=1
	ds_read2_b32 v[4:5], v1 offset1:1
	ds_read2_b32 v[6:7], v1 offset0:2 offset1:3
	ds_read2_b32 v[8:9], v1 offset0:4 offset1:5
	;; [unrolled: 1-line block ×3, first 2 shown]
	s_waitcnt lgkmcnt(3)
	v_cmp_nlg_f32_e32 vcc, s0, v4
	v_cndmask_b32_e64 v3, 0, 1, vcc
	v_cmp_lg_f32_e32 vcc, s0, v4
	v_readfirstlane_b32 s1, v3
	v_cndmask_b32_e32 v3, v2, v4, vcc
	v_cmp_gt_f32_e32 vcc, v5, v3
	s_lshl_b32 s1, s1, 3
	v_cndmask_b32_e32 v3, v3, v5, vcc
	s_and_b64 s[2:3], vcc, exec
	s_waitcnt lgkmcnt(2)
	v_cmp_gt_f32_e32 vcc, v6, v3
	v_cndmask_b32_e32 v3, v3, v6, vcc
	s_cselect_b32 s1, 1, s1
	s_and_b64 s[2:3], vcc, exec
	v_cmp_gt_f32_e32 vcc, v7, v3
	v_cndmask_b32_e32 v3, v3, v7, vcc
	s_cselect_b32 s1, 2, s1
	s_and_b64 s[2:3], vcc, exec
	s_waitcnt lgkmcnt(1)
	v_cmp_gt_f32_e32 vcc, v8, v3
	v_cndmask_b32_e32 v3, v3, v8, vcc
	s_cselect_b32 s1, 3, s1
	s_and_b64 s[2:3], vcc, exec
	v_cmp_gt_f32_e32 vcc, v9, v3
	v_cndmask_b32_e32 v3, v3, v9, vcc
	s_cselect_b32 s1, 4, s1
	s_and_b64 s[2:3], vcc, exec
	s_waitcnt lgkmcnt(0)
	v_cmp_gt_f32_e32 vcc, v10, v3
	v_cndmask_b32_e32 v3, v3, v10, vcc
	s_cselect_b32 s1, 5, s1
	s_and_b64 s[2:3], vcc, exec
	v_cmp_ngt_f32_e32 vcc, v11, v3
	s_cselect_b32 s1, 6, s1
	s_and_b64 s[2:3], vcc, exec
	s_cselect_b32 s1, s1, 7
	s_lshl_b32 s1, s1, 2
	s_add_i32 s1, s7, s1
	s_add_i32 s10, s10, -1
	v_mov_b32_e32 v3, s1
	s_cmp_lg_u32 s10, 0
	ds_write_b32 v3, v2
	s_cbranch_scc1 .LBB116_20
.LBB116_21:
	s_lshr_b32 s0, s8, 31
	s_add_i32 s0, s8, s0
	s_ashr_i32 s8, s0, 1
	v_cmp_gt_i32_e32 vcc, s8, v0
	v_lshlrev_b32_e32 v1, 1, v0
	v_lshl_add_u32 v4, v0, 3, 0
	s_and_saveexec_b64 s[2:3], vcc
	s_cbranch_execz .LBB116_26
; %bb.22:
	s_abs_i32 s18, s11
	v_cvt_f32_u32_e32 v2, s18
	s_load_dword s0, s[4:5], 0x4c
	s_sub_i32 s1, 0, s18
	s_ashr_i32 s19, s11, 31
	v_rcp_iflag_f32_e32 v2, v2
	v_lshlrev_b32_e32 v5, 1, v0
	s_waitcnt lgkmcnt(0)
	s_and_b32 s20, s0, 0xffff
	v_lshl_add_u32 v6, v0, 3, 0
	v_mul_f32_e32 v2, 0x4f7ffffe, v2
	v_cvt_u32_f32_e32 v2, v2
	s_mov_b64 s[10:11], 0
	s_lshl_b32 s21, s20, 1
	s_lshl_b32 s22, s20, 3
	v_mul_lo_u32 v3, s1, v2
	v_mul_hi_u32 v3, v2, v3
	v_add_u32_e32 v7, v2, v3
	s_mov_b32 s23, 0xff800000
	v_mov_b32_e32 v2, 0xff800000
	v_mov_b32_e32 v8, v0
	s_branch .LBB116_24
.LBB116_23:                             ;   in Loop: Header=BB116_24 Depth=1
	s_or_b64 exec, exec, s[16:17]
	v_add_u32_e32 v8, s20, v8
	v_cmp_le_i32_e64 s[0:1], s8, v8
	v_add_u32_e32 v5, s21, v5
	s_or_b64 s[10:11], s[0:1], s[10:11]
	v_add_u32_e32 v6, s22, v6
	s_andn2_b64 exec, exec, s[10:11]
	s_cbranch_execz .LBB116_26
.LBB116_24:                             ; =>This Inner Loop Header: Depth=1
	v_mul_hi_u32 v3, v5, v7
	v_mul_lo_u32 v9, v3, s18
	v_sub_u32_e32 v9, v5, v9
	v_add_u32_e32 v10, 1, v3
	v_cmp_le_u32_e64 s[0:1], s18, v9
	v_cndmask_b32_e64 v3, v3, v10, s[0:1]
	v_subrev_u32_e32 v10, s18, v9
	v_cndmask_b32_e64 v9, v9, v10, s[0:1]
	v_add_u32_e32 v10, 1, v3
	v_cmp_le_u32_e64 s[0:1], s18, v9
	v_cndmask_b32_e64 v3, v3, v10, s[0:1]
	v_xor_b32_e32 v3, s19, v3
	v_subrev_u32_e32 v3, s19, v3
	v_lshl_add_u32 v3, v3, 2, s7
	ds_read_b32 v3, v3
	s_waitcnt lgkmcnt(0)
	v_cmp_neq_f32_e64 s[0:1], s23, v3
	s_and_saveexec_b64 s[16:17], s[0:1]
	s_cbranch_execz .LBB116_23
; %bb.25:                               ;   in Loop: Header=BB116_24 Depth=1
	v_mov_b32_e32 v3, v2
	ds_write_b64 v6, v[2:3]
	s_branch .LBB116_23
.LBB116_26:
	s_or_b64 exec, exec, s[2:3]
	s_cmp_lt_i32 s9, 1
	s_waitcnt lgkmcnt(0)
	s_barrier
	s_cbranch_scc1 .LBB116_33
; %bb.27:
	s_add_u32 s2, s4, 64
	s_addc_u32 s3, s5, 0
	s_mov_b32 s7, 0
	v_mov_b32_e32 v5, 0xff800000
                                        ; implicit-def: $vgpr3
                                        ; implicit-def: $vgpr2
	s_branch .LBB116_29
.LBB116_28:                             ;   in Loop: Header=BB116_29 Depth=1
	s_or_b64 exec, exec, s[10:11]
	v_mov_b32_dpp v9, v7 quad_perm:[1,0,3,2] row_mask:0xf bank_mask:0xf
	v_cmp_lt_f32_e64 s[0:1], v7, v9
	v_cndmask_b32_e64 v7, v7, v9, s[0:1]
	v_mov_b32_dpp v8, v6 quad_perm:[1,0,3,2] row_mask:0xf bank_mask:0xf
	v_cndmask_b32_e64 v6, v6, v8, s[0:1]
	v_mov_b32_dpp v9, v7 quad_perm:[2,3,0,1] row_mask:0xf bank_mask:0xf
	v_cmp_gt_f32_e64 s[0:1], v9, v7
	v_cndmask_b32_e64 v7, v7, v9, s[0:1]
	v_mov_b32_dpp v8, v6 quad_perm:[2,3,0,1] row_mask:0xf bank_mask:0xf
	v_cndmask_b32_e64 v6, v6, v8, s[0:1]
	v_mov_b32_dpp v9, v7 row_half_mirror row_mask:0xf bank_mask:0xf
	v_cmp_gt_f32_e64 s[0:1], v9, v7
	v_cndmask_b32_e64 v7, v7, v9, s[0:1]
	v_mov_b32_dpp v8, v6 row_half_mirror row_mask:0xf bank_mask:0xf
	v_cndmask_b32_e64 v6, v6, v8, s[0:1]
	v_mov_b32_dpp v9, v7 row_mirror row_mask:0xf bank_mask:0xf
	v_cmp_gt_f32_e64 s[0:1], v9, v7
	v_cndmask_b32_e64 v7, v7, v9, s[0:1]
	v_mov_b32_dpp v8, v6 row_mirror row_mask:0xf bank_mask:0xf
	v_cndmask_b32_e64 v6, v6, v8, s[0:1]
	v_mov_b32_dpp v9, v7 row_bcast:15 row_mask:0xf bank_mask:0xf
	v_cmp_gt_f32_e64 s[0:1], v9, v7
	v_mov_b32_dpp v8, v6 row_bcast:15 row_mask:0xf bank_mask:0xf
	v_cndmask_b32_e64 v7, v7, v9, s[0:1]
	v_cndmask_b32_e64 v6, v6, v8, s[0:1]
	s_nop 0
	v_mov_b32_dpp v9, v7 row_bcast:31 row_mask:0xf bank_mask:0xf
	v_mov_b32_dpp v8, v6 row_bcast:31 row_mask:0xf bank_mask:0xf
	v_cmp_gt_f32_e64 s[0:1], v9, v7
	v_cndmask_b32_e64 v6, v6, v8, s[0:1]
	v_cndmask_b32_e64 v7, v7, v9, s[0:1]
	v_readlane_b32 s0, v6, 63
	s_lshl_b32 s1, s0, 2
	s_add_i32 s1, s1, 0
	v_mov_b32_e32 v6, s1
	v_readlane_b32 s10, v7, 63
	ds_write_b32 v6, v5
	v_mov_b32_e32 v6, s0
	v_cmp_eq_u32_e64 s[0:1], s7, v0
	v_cndmask_b32_e64 v2, v2, v6, s[0:1]
	v_mov_b32_e32 v6, s10
	s_add_i32 s7, s7, 1
	s_cmp_eq_u32 s7, s9
	v_cndmask_b32_e64 v3, v3, v6, s[0:1]
	s_cbranch_scc1 .LBB116_34
.LBB116_29:                             ; =>This Loop Header: Depth=1
                                        ;     Child Loop BB116_31 Depth 2
	v_mov_b32_e32 v6, s7
	v_mov_b32_e32 v7, 0xff800000
	s_and_saveexec_b64 s[10:11], vcc
	s_cbranch_execz .LBB116_28
; %bb.30:                               ;   in Loop: Header=BB116_29 Depth=1
	s_load_dword s0, s[2:3], 0xc
	s_mov_b64 s[16:17], 0
	v_mov_b32_e32 v6, s7
	v_mov_b32_e32 v7, 0xff800000
	;; [unrolled: 1-line block ×3, first 2 shown]
	s_waitcnt lgkmcnt(0)
	s_and_b32 s18, s0, 0xffff
	s_lshl_b32 s19, s18, 1
	s_lshl_b32 s20, s18, 3
	v_mov_b32_e32 v9, v1
	v_mov_b32_e32 v10, v0
.LBB116_31:                             ;   Parent Loop BB116_29 Depth=1
                                        ; =>  This Inner Loop Header: Depth=2
	ds_read_b64 v[12:13], v8
	v_add_u32_e32 v10, s18, v10
	v_cmp_le_i32_e64 s[0:1], s8, v10
	s_or_b64 s[16:17], s[0:1], s[16:17]
	v_add_u32_e32 v11, 1, v9
	s_waitcnt lgkmcnt(0)
	v_cmp_gt_f32_e64 s[0:1], v12, v7
	v_cndmask_b32_e64 v7, v7, v12, s[0:1]
	v_cndmask_b32_e64 v6, v6, v9, s[0:1]
	v_cmp_gt_f32_e64 s[0:1], v13, v7
	v_add_u32_e32 v8, s20, v8
	v_cndmask_b32_e64 v7, v7, v13, s[0:1]
	v_add_u32_e32 v9, s19, v9
	v_cndmask_b32_e64 v6, v6, v11, s[0:1]
	s_andn2_b64 exec, exec, s[16:17]
	s_cbranch_execnz .LBB116_31
; %bb.32:                               ;   in Loop: Header=BB116_29 Depth=1
	s_or_b64 exec, exec, s[16:17]
	s_branch .LBB116_28
.LBB116_33:
                                        ; implicit-def: $vgpr3
                                        ; implicit-def: $vgpr2
.LBB116_34:
	v_cmp_gt_i32_e32 vcc, s9, v0
	s_and_saveexec_b64 s[0:1], vcc
	s_cbranch_execz .LBB116_37
; %bb.35:
	s_load_dword s2, s[4:5], 0x38
	s_load_dwordx2 s[0:1], s[4:5], 0x20
	s_ashr_i32 s3, s6, 31
	s_load_dword s4, s[4:5], 0x4c
	v_mov_b32_e32 v4, s13
	s_waitcnt lgkmcnt(0)
	v_mul_f32_e32 v1, s2, v3
	s_mul_i32 s1, s6, s1
	s_mul_hi_u32 s2, s6, s0
	s_add_i32 s1, s2, s1
	s_mul_i32 s3, s3, s0
	s_add_i32 s5, s1, s3
	s_mul_i32 s2, s6, s0
	s_and_b32 s3, s4, 0xffff
	s_mov_b64 s[0:1], 0
	v_mov_b32_e32 v3, s5
	v_mov_b32_e32 v5, s15
.LBB116_36:                             ; =>This Inner Loop Header: Depth=1
	v_ashrrev_i32_e32 v7, 31, v0
	v_add_co_u32_e32 v6, vcc, s2, v0
	v_addc_co_u32_e32 v7, vcc, v3, v7, vcc
	v_add_u32_e32 v0, s3, v0
	v_cmp_le_i32_e32 vcc, s9, v0
	v_lshlrev_b64 v[6:7], 2, v[6:7]
	s_or_b64 s[0:1], vcc, s[0:1]
	v_add_co_u32_e32 v8, vcc, s12, v6
	v_addc_co_u32_e32 v9, vcc, v4, v7, vcc
	v_add_co_u32_e32 v6, vcc, s14, v6
	v_addc_co_u32_e32 v7, vcc, v5, v7, vcc
	global_store_dword v[8:9], v1, off
	global_store_dword v[6:7], v2, off
	s_andn2_b64 exec, exec, s[0:1]
	s_cbranch_execnz .LBB116_36
.LBB116_37:
	s_endpgm
	.section	.rodata,"a",@progbits
	.p2align	6, 0x0
	.amdhsa_kernel _ZN5aiter19grouped_topk_kernelIN3c104HalfEDv2_fLi8ELb0ELb0ELb1EEEvPT_PKS4_PfPimiiiif
		.amdhsa_group_segment_fixed_size 0
		.amdhsa_private_segment_fixed_size 0
		.amdhsa_kernarg_size 320
		.amdhsa_user_sgpr_count 6
		.amdhsa_user_sgpr_private_segment_buffer 1
		.amdhsa_user_sgpr_dispatch_ptr 0
		.amdhsa_user_sgpr_queue_ptr 0
		.amdhsa_user_sgpr_kernarg_segment_ptr 1
		.amdhsa_user_sgpr_dispatch_id 0
		.amdhsa_user_sgpr_flat_scratch_init 0
		.amdhsa_user_sgpr_kernarg_preload_length 0
		.amdhsa_user_sgpr_kernarg_preload_offset 0
		.amdhsa_user_sgpr_private_segment_size 0
		.amdhsa_uses_dynamic_stack 0
		.amdhsa_system_sgpr_private_segment_wavefront_offset 0
		.amdhsa_system_sgpr_workgroup_id_x 1
		.amdhsa_system_sgpr_workgroup_id_y 0
		.amdhsa_system_sgpr_workgroup_id_z 0
		.amdhsa_system_sgpr_workgroup_info 0
		.amdhsa_system_vgpr_workitem_id 0
		.amdhsa_next_free_vgpr 14
		.amdhsa_next_free_sgpr 24
		.amdhsa_accum_offset 16
		.amdhsa_reserve_vcc 1
		.amdhsa_reserve_flat_scratch 0
		.amdhsa_float_round_mode_32 0
		.amdhsa_float_round_mode_16_64 0
		.amdhsa_float_denorm_mode_32 3
		.amdhsa_float_denorm_mode_16_64 3
		.amdhsa_dx10_clamp 1
		.amdhsa_ieee_mode 1
		.amdhsa_fp16_overflow 0
		.amdhsa_tg_split 0
		.amdhsa_exception_fp_ieee_invalid_op 0
		.amdhsa_exception_fp_denorm_src 0
		.amdhsa_exception_fp_ieee_div_zero 0
		.amdhsa_exception_fp_ieee_overflow 0
		.amdhsa_exception_fp_ieee_underflow 0
		.amdhsa_exception_fp_ieee_inexact 0
		.amdhsa_exception_int_div_zero 0
	.end_amdhsa_kernel
	.section	.text._ZN5aiter19grouped_topk_kernelIN3c104HalfEDv2_fLi8ELb0ELb0ELb1EEEvPT_PKS4_PfPimiiiif,"axG",@progbits,_ZN5aiter19grouped_topk_kernelIN3c104HalfEDv2_fLi8ELb0ELb0ELb1EEEvPT_PKS4_PfPimiiiif,comdat
.Lfunc_end116:
	.size	_ZN5aiter19grouped_topk_kernelIN3c104HalfEDv2_fLi8ELb0ELb0ELb1EEEvPT_PKS4_PfPimiiiif, .Lfunc_end116-_ZN5aiter19grouped_topk_kernelIN3c104HalfEDv2_fLi8ELb0ELb0ELb1EEEvPT_PKS4_PfPimiiiif
                                        ; -- End function
	.section	.AMDGPU.csdata,"",@progbits
; Kernel info:
; codeLenInByte = 2492
; NumSgprs: 28
; NumVgprs: 14
; NumAgprs: 0
; TotalNumVgprs: 14
; ScratchSize: 0
; MemoryBound: 0
; FloatMode: 240
; IeeeMode: 1
; LDSByteSize: 0 bytes/workgroup (compile time only)
; SGPRBlocks: 3
; VGPRBlocks: 1
; NumSGPRsForWavesPerEU: 28
; NumVGPRsForWavesPerEU: 14
; AccumOffset: 16
; Occupancy: 8
; WaveLimiterHint : 0
; COMPUTE_PGM_RSRC2:SCRATCH_EN: 0
; COMPUTE_PGM_RSRC2:USER_SGPR: 6
; COMPUTE_PGM_RSRC2:TRAP_HANDLER: 0
; COMPUTE_PGM_RSRC2:TGID_X_EN: 1
; COMPUTE_PGM_RSRC2:TGID_Y_EN: 0
; COMPUTE_PGM_RSRC2:TGID_Z_EN: 0
; COMPUTE_PGM_RSRC2:TIDIG_COMP_CNT: 0
; COMPUTE_PGM_RSRC3_GFX90A:ACCUM_OFFSET: 3
; COMPUTE_PGM_RSRC3_GFX90A:TG_SPLIT: 0
	.section	.text._ZN5aiter19grouped_topk_kernelIN3c108BFloat16EDv2_fLi8ELb0ELb0ELb1EEEvPT_PKS4_PfPimiiiif,"axG",@progbits,_ZN5aiter19grouped_topk_kernelIN3c108BFloat16EDv2_fLi8ELb0ELb0ELb1EEEvPT_PKS4_PfPimiiiif,comdat
	.protected	_ZN5aiter19grouped_topk_kernelIN3c108BFloat16EDv2_fLi8ELb0ELb0ELb1EEEvPT_PKS4_PfPimiiiif ; -- Begin function _ZN5aiter19grouped_topk_kernelIN3c108BFloat16EDv2_fLi8ELb0ELb0ELb1EEEvPT_PKS4_PfPimiiiif
	.globl	_ZN5aiter19grouped_topk_kernelIN3c108BFloat16EDv2_fLi8ELb0ELb0ELb1EEEvPT_PKS4_PfPimiiiif
	.p2align	8
	.type	_ZN5aiter19grouped_topk_kernelIN3c108BFloat16EDv2_fLi8ELb0ELb0ELb1EEEvPT_PKS4_PfPimiiiif,@function
_ZN5aiter19grouped_topk_kernelIN3c108BFloat16EDv2_fLi8ELb0ELb0ELb1EEEvPT_PKS4_PfPimiiiif: ; @_ZN5aiter19grouped_topk_kernelIN3c108BFloat16EDv2_fLi8ELb0ELb0ELb1EEEvPT_PKS4_PfPimiiiif
; %bb.0:
	s_load_dwordx4 s[8:11], s[4:5], 0x28
	s_load_dwordx4 s[12:15], s[4:5], 0x10
	v_mov_b32_e32 v1, 0xff800000
	s_waitcnt lgkmcnt(0)
	v_cmp_gt_i32_e32 vcc, s8, v0
	s_and_saveexec_b64 s[2:3], vcc
	s_cbranch_execz .LBB117_4
; %bb.1:
	s_load_dword s0, s[4:5], 0x4c
	s_load_dwordx2 s[16:17], s[4:5], 0x0
	s_mul_i32 s7, s6, s8
	v_lshl_add_u32 v2, v0, 2, 0
	s_mov_b64 s[18:19], 0
	s_waitcnt lgkmcnt(0)
	s_and_b32 s11, s0, 0xffff
	s_lshl_b32 s20, s11, 2
	v_mov_b32_e32 v1, 0xff800000
	v_mov_b32_e32 v3, s17
	;; [unrolled: 1-line block ×3, first 2 shown]
.LBB117_2:                              ; =>This Inner Loop Header: Depth=1
	v_add_u32_e32 v6, s7, v4
	v_ashrrev_i32_e32 v7, 31, v6
	v_lshlrev_b64 v[6:7], 1, v[6:7]
	v_add_co_u32_e64 v6, s[0:1], s16, v6
	v_addc_co_u32_e64 v7, s[0:1], v3, v7, s[0:1]
	global_load_ushort v5, v[6:7], off
	v_add_u32_e32 v4, s11, v4
	v_cmp_le_i32_e64 s[0:1], s8, v4
	s_or_b64 s[18:19], s[0:1], s[18:19]
	s_waitcnt vmcnt(0)
	v_lshrrev_b16_e32 v6, 8, v5
	v_and_b32_e32 v5, 0xff, v5
	v_lshlrev_b32_e32 v5, 16, v5
	v_lshl_or_b32 v5, v6, 24, v5
	v_cmp_lt_f32_e64 s[0:1], v1, v5
	ds_write_b32 v2, v5
	v_cndmask_b32_e64 v1, v1, v5, s[0:1]
	v_add_u32_e32 v2, s20, v2
	s_andn2_b64 exec, exec, s[18:19]
	s_cbranch_execnz .LBB117_2
; %bb.3:
	s_or_b64 exec, exec, s[18:19]
.LBB117_4:
	s_or_b64 exec, exec, s[2:3]
	v_mov_b32_dpp v2, v1 quad_perm:[1,0,3,2] row_mask:0xf bank_mask:0xf
	v_cmp_lt_f32_e64 s[0:1], v1, v2
	v_cndmask_b32_e64 v1, v1, v2, s[0:1]
	v_bfrev_b32_e32 v3, 0.5
	s_waitcnt lgkmcnt(0)
	v_mov_b32_dpp v2, v1 quad_perm:[2,3,0,1] row_mask:0xf bank_mask:0xf
	v_cmp_lt_f32_e64 s[0:1], v1, v2
	v_cndmask_b32_e64 v1, v1, v2, s[0:1]
	s_barrier
	s_nop 0
	v_mov_b32_dpp v2, v1 row_half_mirror row_mask:0xf bank_mask:0xf
	v_cmp_lt_f32_e64 s[0:1], v1, v2
	v_cndmask_b32_e64 v1, v1, v2, s[0:1]
	s_nop 1
	v_mov_b32_dpp v2, v1 row_mirror row_mask:0xf bank_mask:0xf
	v_cmp_lt_f32_e64 s[0:1], v1, v2
	v_cndmask_b32_e64 v1, v1, v2, s[0:1]
	s_nop 1
	v_mov_b32_dpp v2, v1 row_bcast:15 row_mask:0xf bank_mask:0xf
	v_cmp_lt_f32_e64 s[0:1], v1, v2
	v_cndmask_b32_e64 v1, v1, v2, s[0:1]
	s_nop 1
	v_mov_b32_dpp v2, v1 row_bcast:31 row_mask:0xf bank_mask:0xf
	v_cmp_lt_f32_e64 s[0:1], v1, v2
	v_cndmask_b32_e64 v2, v1, v2, s[0:1]
	v_mbcnt_lo_u32_b32 v1, -1, 0
	v_mbcnt_hi_u32_b32 v1, -1, v1
	v_lshl_or_b32 v1, v1, 2, v3
	ds_bpermute_b32 v3, v1, v2
	v_mov_b32_e32 v2, 0
	s_and_saveexec_b64 s[2:3], vcc
	s_cbranch_execz .LBB117_8
; %bb.5:
	s_load_dword s0, s[4:5], 0x4c
	v_lshl_add_u32 v4, v0, 2, 0
	s_mov_b64 s[16:17], 0
	v_mov_b32_e32 v2, 0
	s_mov_b32 s7, 0x3fb8aa3b
	s_waitcnt lgkmcnt(0)
	s_and_b32 s11, s0, 0xffff
	s_lshl_b32 s18, s11, 2
	s_mov_b32 s19, 0xc2ce8ed0
	s_mov_b32 s20, 0x42b17218
	v_mov_b32_e32 v5, 0x7f800000
	v_mov_b32_e32 v6, v0
.LBB117_6:                              ; =>This Inner Loop Header: Depth=1
	ds_read_b32 v7, v4
	v_add_u32_e32 v6, s11, v6
	s_waitcnt lgkmcnt(0)
	v_sub_f32_e32 v7, v7, v3
	v_mul_f32_e32 v8, 0x3fb8aa3b, v7
	v_fma_f32 v9, v7, s7, -v8
	v_rndne_f32_e32 v10, v8
	v_fmac_f32_e32 v9, 0x32a5705f, v7
	v_sub_f32_e32 v8, v8, v10
	v_add_f32_e32 v8, v8, v9
	v_cvt_i32_f32_e32 v10, v10
	v_exp_f32_e32 v8, v8
	v_cmp_ngt_f32_e64 s[0:1], s19, v7
	v_ldexp_f32 v8, v8, v10
	v_cndmask_b32_e64 v8, 0, v8, s[0:1]
	v_cmp_nlt_f32_e64 s[0:1], s20, v7
	v_cndmask_b32_e64 v7, v5, v8, s[0:1]
	v_cmp_le_i32_e64 s[0:1], s8, v6
	ds_write_b32 v4, v7
	v_add_f32_e32 v2, v2, v7
	s_or_b64 s[16:17], s[0:1], s[16:17]
	v_add_u32_e32 v4, s18, v4
	s_andn2_b64 exec, exec, s[16:17]
	s_cbranch_execnz .LBB117_6
; %bb.7:
	s_or_b64 exec, exec, s[16:17]
.LBB117_8:
	s_or_b64 exec, exec, s[2:3]
	s_waitcnt lgkmcnt(0)
	v_mov_b32_dpp v3, v2 quad_perm:[1,0,3,2] row_mask:0xf bank_mask:0xf
	v_add_f32_e32 v2, v2, v3
	s_barrier
	s_nop 0
	v_mov_b32_dpp v3, v2 quad_perm:[2,3,0,1] row_mask:0xf bank_mask:0xf
	v_add_f32_e32 v2, v2, v3
	s_nop 1
	v_mov_b32_dpp v3, v2 row_half_mirror row_mask:0xf bank_mask:0xf
	v_add_f32_e32 v2, v2, v3
	s_nop 1
	v_mov_b32_dpp v3, v2 row_mirror row_mask:0xf bank_mask:0xf
	v_add_f32_e32 v2, v2, v3
	s_nop 1
	v_mov_b32_dpp v3, v2 row_bcast:15 row_mask:0xf bank_mask:0xf
	v_add_f32_e32 v2, v2, v3
	s_nop 1
	v_mov_b32_dpp v3, v2 row_bcast:31 row_mask:0xf bank_mask:0xf
	v_add_f32_e32 v2, v2, v3
	ds_bpermute_b32 v1, v1, v2
	s_and_saveexec_b64 s[0:1], vcc
	s_cbranch_execz .LBB117_11
; %bb.9:
	s_load_dword s7, s[4:5], 0x4c
	v_lshl_add_u32 v2, v0, 2, 0
	s_mov_b64 s[2:3], 0
	v_mov_b32_e32 v3, v0
	s_waitcnt lgkmcnt(0)
	s_and_b32 s7, s7, 0xffff
	s_lshl_b32 s11, s7, 2
.LBB117_10:                             ; =>This Inner Loop Header: Depth=1
	ds_read_b32 v4, v2
	v_add_u32_e32 v3, s7, v3
	v_cmp_le_i32_e32 vcc, s8, v3
	s_or_b64 s[2:3], vcc, s[2:3]
	s_waitcnt lgkmcnt(0)
	v_div_scale_f32 v5, s[16:17], v1, v1, v4
	v_rcp_f32_e32 v6, v5
	v_div_scale_f32 v7, vcc, v4, v1, v4
	v_fma_f32 v8, -v5, v6, 1.0
	v_fmac_f32_e32 v6, v8, v6
	v_mul_f32_e32 v8, v7, v6
	v_fma_f32 v9, -v5, v8, v7
	v_fmac_f32_e32 v8, v9, v6
	v_fma_f32 v5, -v5, v8, v7
	v_div_fmas_f32 v5, v5, v6, v8
	v_div_fixup_f32 v4, v5, v1, v4
	ds_write_b32 v2, v4
	v_add_u32_e32 v2, s11, v2
	s_andn2_b64 exec, exec, s[2:3]
	s_cbranch_execnz .LBB117_10
.LBB117_11:
	s_or_b64 exec, exec, s[0:1]
	s_ashr_i32 s0, s8, 31
	s_lshr_b32 s0, s0, 29
	s_add_i32 s0, s8, s0
	s_ashr_i32 s11, s0, 3
	s_lshl_b32 s0, s8, 2
	s_add_i32 s7, s0, 0
	v_cmp_gt_u32_e32 vcc, 8, v0
	s_waitcnt lgkmcnt(0)
	s_barrier
	s_and_saveexec_b64 s[2:3], vcc
	s_cbranch_execz .LBB117_18
; %bb.12:
	s_load_dword s0, s[4:5], 0x4c
	v_mul_lo_u32 v1, v0, s11
	v_lshl_add_u32 v1, v1, 2, 0
	s_waitcnt lgkmcnt(0)
	s_and_b32 s20, s0, 0xffff
	s_cmp_gt_i32 s8, 7
	s_cselect_b64 s[0:1], -1, 0
	s_mul_i32 s16, s11, s20
	v_cndmask_b32_e64 v2, 0, 1, s[0:1]
	s_lshl_b32 s21, s16, 2
	s_mov_b64 s[16:17], 0
	v_cmp_ne_u32_e64 s[0:1], 1, v2
	v_mov_b32_e32 v2, v0
	s_branch .LBB117_14
.LBB117_13:                             ;   in Loop: Header=BB117_14 Depth=1
	v_lshl_add_u32 v4, v2, 2, s7
	v_add_u32_e32 v2, s20, v2
	v_cmp_lt_u32_e32 vcc, 7, v2
	s_or_b64 s[16:17], vcc, s[16:17]
	v_add_u32_e32 v1, s21, v1
	ds_write_b32 v4, v3
	s_andn2_b64 exec, exec, s[16:17]
	s_cbranch_execz .LBB117_18
.LBB117_14:                             ; =>This Loop Header: Depth=1
                                        ;     Child Loop BB117_16 Depth 2
	s_and_b64 vcc, exec, s[0:1]
	v_mov_b32_e32 v3, 0xff800000
	s_cbranch_vccnz .LBB117_13
; %bb.15:                               ;   in Loop: Header=BB117_14 Depth=1
	v_mul_lo_u32 v4, v2, s11
	v_add_u32_e32 v5, s11, v4
	s_mov_b64 s[18:19], 0
	v_mov_b32_e32 v3, 0xff800000
	v_mov_b32_e32 v6, v1
.LBB117_16:                             ;   Parent Loop BB117_14 Depth=1
                                        ; =>  This Inner Loop Header: Depth=2
	ds_read_b32 v7, v6
	v_add_u32_e32 v4, 1, v4
	v_cmp_ge_i32_e32 vcc, v4, v5
	s_or_b64 s[18:19], vcc, s[18:19]
	v_add_u32_e32 v6, 4, v6
	s_waitcnt lgkmcnt(0)
	v_cmp_gt_f32_e32 vcc, v7, v3
	v_cndmask_b32_e32 v3, v3, v7, vcc
	s_andn2_b64 exec, exec, s[18:19]
	s_cbranch_execnz .LBB117_16
; %bb.17:                               ;   in Loop: Header=BB117_14 Depth=1
	s_or_b64 exec, exec, s[18:19]
	s_branch .LBB117_13
.LBB117_18:
	s_or_b64 exec, exec, s[2:3]
	s_cmp_lt_i32 s10, 1
	s_waitcnt lgkmcnt(0)
	s_barrier
	s_cbranch_scc1 .LBB117_21
; %bb.19:
	v_mov_b32_e32 v1, s7
	s_mov_b32 s0, 0xff800000
	v_mov_b32_e32 v2, 0xff800000
.LBB117_20:                             ; =>This Inner Loop Header: Depth=1
	ds_read2_b32 v[4:5], v1 offset1:1
	ds_read2_b32 v[6:7], v1 offset0:2 offset1:3
	ds_read2_b32 v[8:9], v1 offset0:4 offset1:5
	;; [unrolled: 1-line block ×3, first 2 shown]
	s_waitcnt lgkmcnt(3)
	v_cmp_nlg_f32_e32 vcc, s0, v4
	v_cndmask_b32_e64 v3, 0, 1, vcc
	v_cmp_lg_f32_e32 vcc, s0, v4
	v_readfirstlane_b32 s1, v3
	v_cndmask_b32_e32 v3, v2, v4, vcc
	v_cmp_gt_f32_e32 vcc, v5, v3
	s_lshl_b32 s1, s1, 3
	v_cndmask_b32_e32 v3, v3, v5, vcc
	s_and_b64 s[2:3], vcc, exec
	s_waitcnt lgkmcnt(2)
	v_cmp_gt_f32_e32 vcc, v6, v3
	v_cndmask_b32_e32 v3, v3, v6, vcc
	s_cselect_b32 s1, 1, s1
	s_and_b64 s[2:3], vcc, exec
	v_cmp_gt_f32_e32 vcc, v7, v3
	v_cndmask_b32_e32 v3, v3, v7, vcc
	s_cselect_b32 s1, 2, s1
	s_and_b64 s[2:3], vcc, exec
	s_waitcnt lgkmcnt(1)
	v_cmp_gt_f32_e32 vcc, v8, v3
	v_cndmask_b32_e32 v3, v3, v8, vcc
	s_cselect_b32 s1, 3, s1
	s_and_b64 s[2:3], vcc, exec
	v_cmp_gt_f32_e32 vcc, v9, v3
	v_cndmask_b32_e32 v3, v3, v9, vcc
	s_cselect_b32 s1, 4, s1
	s_and_b64 s[2:3], vcc, exec
	s_waitcnt lgkmcnt(0)
	v_cmp_gt_f32_e32 vcc, v10, v3
	v_cndmask_b32_e32 v3, v3, v10, vcc
	s_cselect_b32 s1, 5, s1
	s_and_b64 s[2:3], vcc, exec
	v_cmp_ngt_f32_e32 vcc, v11, v3
	s_cselect_b32 s1, 6, s1
	s_and_b64 s[2:3], vcc, exec
	s_cselect_b32 s1, s1, 7
	s_lshl_b32 s1, s1, 2
	s_add_i32 s1, s7, s1
	s_add_i32 s10, s10, -1
	v_mov_b32_e32 v3, s1
	s_cmp_lg_u32 s10, 0
	ds_write_b32 v3, v2
	s_cbranch_scc1 .LBB117_20
.LBB117_21:
	s_lshr_b32 s0, s8, 31
	s_add_i32 s0, s8, s0
	s_ashr_i32 s8, s0, 1
	v_cmp_gt_i32_e32 vcc, s8, v0
	v_lshlrev_b32_e32 v1, 1, v0
	v_lshl_add_u32 v4, v0, 3, 0
	s_and_saveexec_b64 s[2:3], vcc
	s_cbranch_execz .LBB117_26
; %bb.22:
	s_abs_i32 s18, s11
	v_cvt_f32_u32_e32 v2, s18
	s_load_dword s0, s[4:5], 0x4c
	s_sub_i32 s1, 0, s18
	s_ashr_i32 s19, s11, 31
	v_rcp_iflag_f32_e32 v2, v2
	v_lshlrev_b32_e32 v5, 1, v0
	s_waitcnt lgkmcnt(0)
	s_and_b32 s20, s0, 0xffff
	v_lshl_add_u32 v6, v0, 3, 0
	v_mul_f32_e32 v2, 0x4f7ffffe, v2
	v_cvt_u32_f32_e32 v2, v2
	s_mov_b64 s[10:11], 0
	s_lshl_b32 s21, s20, 1
	s_lshl_b32 s22, s20, 3
	v_mul_lo_u32 v3, s1, v2
	v_mul_hi_u32 v3, v2, v3
	v_add_u32_e32 v7, v2, v3
	s_mov_b32 s23, 0xff800000
	v_mov_b32_e32 v2, 0xff800000
	v_mov_b32_e32 v8, v0
	s_branch .LBB117_24
.LBB117_23:                             ;   in Loop: Header=BB117_24 Depth=1
	s_or_b64 exec, exec, s[16:17]
	v_add_u32_e32 v8, s20, v8
	v_cmp_le_i32_e64 s[0:1], s8, v8
	v_add_u32_e32 v5, s21, v5
	s_or_b64 s[10:11], s[0:1], s[10:11]
	v_add_u32_e32 v6, s22, v6
	s_andn2_b64 exec, exec, s[10:11]
	s_cbranch_execz .LBB117_26
.LBB117_24:                             ; =>This Inner Loop Header: Depth=1
	v_mul_hi_u32 v3, v5, v7
	v_mul_lo_u32 v9, v3, s18
	v_sub_u32_e32 v9, v5, v9
	v_add_u32_e32 v10, 1, v3
	v_cmp_le_u32_e64 s[0:1], s18, v9
	v_cndmask_b32_e64 v3, v3, v10, s[0:1]
	v_subrev_u32_e32 v10, s18, v9
	v_cndmask_b32_e64 v9, v9, v10, s[0:1]
	v_add_u32_e32 v10, 1, v3
	v_cmp_le_u32_e64 s[0:1], s18, v9
	v_cndmask_b32_e64 v3, v3, v10, s[0:1]
	v_xor_b32_e32 v3, s19, v3
	v_subrev_u32_e32 v3, s19, v3
	v_lshl_add_u32 v3, v3, 2, s7
	ds_read_b32 v3, v3
	s_waitcnt lgkmcnt(0)
	v_cmp_neq_f32_e64 s[0:1], s23, v3
	s_and_saveexec_b64 s[16:17], s[0:1]
	s_cbranch_execz .LBB117_23
; %bb.25:                               ;   in Loop: Header=BB117_24 Depth=1
	v_mov_b32_e32 v3, v2
	ds_write_b64 v6, v[2:3]
	s_branch .LBB117_23
.LBB117_26:
	s_or_b64 exec, exec, s[2:3]
	s_cmp_lt_i32 s9, 1
	s_waitcnt lgkmcnt(0)
	s_barrier
	s_cbranch_scc1 .LBB117_33
; %bb.27:
	s_add_u32 s2, s4, 64
	s_addc_u32 s3, s5, 0
	s_mov_b32 s7, 0
	v_mov_b32_e32 v5, 0xff800000
                                        ; implicit-def: $vgpr3
                                        ; implicit-def: $vgpr2
	s_branch .LBB117_29
.LBB117_28:                             ;   in Loop: Header=BB117_29 Depth=1
	s_or_b64 exec, exec, s[10:11]
	v_mov_b32_dpp v9, v7 quad_perm:[1,0,3,2] row_mask:0xf bank_mask:0xf
	v_cmp_lt_f32_e64 s[0:1], v7, v9
	v_cndmask_b32_e64 v7, v7, v9, s[0:1]
	v_mov_b32_dpp v8, v6 quad_perm:[1,0,3,2] row_mask:0xf bank_mask:0xf
	v_cndmask_b32_e64 v6, v6, v8, s[0:1]
	v_mov_b32_dpp v9, v7 quad_perm:[2,3,0,1] row_mask:0xf bank_mask:0xf
	v_cmp_gt_f32_e64 s[0:1], v9, v7
	v_cndmask_b32_e64 v7, v7, v9, s[0:1]
	v_mov_b32_dpp v8, v6 quad_perm:[2,3,0,1] row_mask:0xf bank_mask:0xf
	v_cndmask_b32_e64 v6, v6, v8, s[0:1]
	v_mov_b32_dpp v9, v7 row_half_mirror row_mask:0xf bank_mask:0xf
	v_cmp_gt_f32_e64 s[0:1], v9, v7
	v_cndmask_b32_e64 v7, v7, v9, s[0:1]
	v_mov_b32_dpp v8, v6 row_half_mirror row_mask:0xf bank_mask:0xf
	v_cndmask_b32_e64 v6, v6, v8, s[0:1]
	v_mov_b32_dpp v9, v7 row_mirror row_mask:0xf bank_mask:0xf
	v_cmp_gt_f32_e64 s[0:1], v9, v7
	v_cndmask_b32_e64 v7, v7, v9, s[0:1]
	v_mov_b32_dpp v8, v6 row_mirror row_mask:0xf bank_mask:0xf
	v_cndmask_b32_e64 v6, v6, v8, s[0:1]
	v_mov_b32_dpp v9, v7 row_bcast:15 row_mask:0xf bank_mask:0xf
	v_cmp_gt_f32_e64 s[0:1], v9, v7
	v_mov_b32_dpp v8, v6 row_bcast:15 row_mask:0xf bank_mask:0xf
	v_cndmask_b32_e64 v7, v7, v9, s[0:1]
	v_cndmask_b32_e64 v6, v6, v8, s[0:1]
	s_nop 0
	v_mov_b32_dpp v9, v7 row_bcast:31 row_mask:0xf bank_mask:0xf
	v_mov_b32_dpp v8, v6 row_bcast:31 row_mask:0xf bank_mask:0xf
	v_cmp_gt_f32_e64 s[0:1], v9, v7
	v_cndmask_b32_e64 v6, v6, v8, s[0:1]
	v_cndmask_b32_e64 v7, v7, v9, s[0:1]
	v_readlane_b32 s0, v6, 63
	s_lshl_b32 s1, s0, 2
	s_add_i32 s1, s1, 0
	v_mov_b32_e32 v6, s1
	v_readlane_b32 s10, v7, 63
	ds_write_b32 v6, v5
	v_mov_b32_e32 v6, s0
	v_cmp_eq_u32_e64 s[0:1], s7, v0
	v_cndmask_b32_e64 v2, v2, v6, s[0:1]
	v_mov_b32_e32 v6, s10
	s_add_i32 s7, s7, 1
	s_cmp_eq_u32 s7, s9
	v_cndmask_b32_e64 v3, v3, v6, s[0:1]
	s_cbranch_scc1 .LBB117_34
.LBB117_29:                             ; =>This Loop Header: Depth=1
                                        ;     Child Loop BB117_31 Depth 2
	v_mov_b32_e32 v6, s7
	v_mov_b32_e32 v7, 0xff800000
	s_and_saveexec_b64 s[10:11], vcc
	s_cbranch_execz .LBB117_28
; %bb.30:                               ;   in Loop: Header=BB117_29 Depth=1
	s_load_dword s0, s[2:3], 0xc
	s_mov_b64 s[16:17], 0
	v_mov_b32_e32 v6, s7
	v_mov_b32_e32 v7, 0xff800000
	;; [unrolled: 1-line block ×3, first 2 shown]
	s_waitcnt lgkmcnt(0)
	s_and_b32 s18, s0, 0xffff
	s_lshl_b32 s19, s18, 1
	s_lshl_b32 s20, s18, 3
	v_mov_b32_e32 v9, v1
	v_mov_b32_e32 v10, v0
.LBB117_31:                             ;   Parent Loop BB117_29 Depth=1
                                        ; =>  This Inner Loop Header: Depth=2
	ds_read_b64 v[12:13], v8
	v_add_u32_e32 v10, s18, v10
	v_cmp_le_i32_e64 s[0:1], s8, v10
	s_or_b64 s[16:17], s[0:1], s[16:17]
	v_add_u32_e32 v11, 1, v9
	s_waitcnt lgkmcnt(0)
	v_cmp_gt_f32_e64 s[0:1], v12, v7
	v_cndmask_b32_e64 v7, v7, v12, s[0:1]
	v_cndmask_b32_e64 v6, v6, v9, s[0:1]
	v_cmp_gt_f32_e64 s[0:1], v13, v7
	v_add_u32_e32 v8, s20, v8
	v_cndmask_b32_e64 v7, v7, v13, s[0:1]
	v_add_u32_e32 v9, s19, v9
	v_cndmask_b32_e64 v6, v6, v11, s[0:1]
	s_andn2_b64 exec, exec, s[16:17]
	s_cbranch_execnz .LBB117_31
; %bb.32:                               ;   in Loop: Header=BB117_29 Depth=1
	s_or_b64 exec, exec, s[16:17]
	s_branch .LBB117_28
.LBB117_33:
                                        ; implicit-def: $vgpr3
                                        ; implicit-def: $vgpr2
.LBB117_34:
	v_cmp_gt_i32_e32 vcc, s9, v0
	s_and_saveexec_b64 s[0:1], vcc
	s_cbranch_execz .LBB117_37
; %bb.35:
	s_load_dword s2, s[4:5], 0x38
	s_load_dwordx2 s[0:1], s[4:5], 0x20
	s_ashr_i32 s3, s6, 31
	s_load_dword s4, s[4:5], 0x4c
	v_mov_b32_e32 v4, s13
	s_waitcnt lgkmcnt(0)
	v_mul_f32_e32 v1, s2, v3
	s_mul_i32 s1, s6, s1
	s_mul_hi_u32 s2, s6, s0
	s_add_i32 s1, s2, s1
	s_mul_i32 s3, s3, s0
	s_add_i32 s5, s1, s3
	s_mul_i32 s2, s6, s0
	s_and_b32 s3, s4, 0xffff
	s_mov_b64 s[0:1], 0
	v_mov_b32_e32 v3, s5
	v_mov_b32_e32 v5, s15
.LBB117_36:                             ; =>This Inner Loop Header: Depth=1
	v_ashrrev_i32_e32 v7, 31, v0
	v_add_co_u32_e32 v6, vcc, s2, v0
	v_addc_co_u32_e32 v7, vcc, v3, v7, vcc
	v_add_u32_e32 v0, s3, v0
	v_cmp_le_i32_e32 vcc, s9, v0
	v_lshlrev_b64 v[6:7], 2, v[6:7]
	s_or_b64 s[0:1], vcc, s[0:1]
	v_add_co_u32_e32 v8, vcc, s12, v6
	v_addc_co_u32_e32 v9, vcc, v4, v7, vcc
	v_add_co_u32_e32 v6, vcc, s14, v6
	v_addc_co_u32_e32 v7, vcc, v5, v7, vcc
	global_store_dword v[8:9], v1, off
	global_store_dword v[6:7], v2, off
	s_andn2_b64 exec, exec, s[0:1]
	s_cbranch_execnz .LBB117_36
.LBB117_37:
	s_endpgm
	.section	.rodata,"a",@progbits
	.p2align	6, 0x0
	.amdhsa_kernel _ZN5aiter19grouped_topk_kernelIN3c108BFloat16EDv2_fLi8ELb0ELb0ELb1EEEvPT_PKS4_PfPimiiiif
		.amdhsa_group_segment_fixed_size 0
		.amdhsa_private_segment_fixed_size 0
		.amdhsa_kernarg_size 320
		.amdhsa_user_sgpr_count 6
		.amdhsa_user_sgpr_private_segment_buffer 1
		.amdhsa_user_sgpr_dispatch_ptr 0
		.amdhsa_user_sgpr_queue_ptr 0
		.amdhsa_user_sgpr_kernarg_segment_ptr 1
		.amdhsa_user_sgpr_dispatch_id 0
		.amdhsa_user_sgpr_flat_scratch_init 0
		.amdhsa_user_sgpr_kernarg_preload_length 0
		.amdhsa_user_sgpr_kernarg_preload_offset 0
		.amdhsa_user_sgpr_private_segment_size 0
		.amdhsa_uses_dynamic_stack 0
		.amdhsa_system_sgpr_private_segment_wavefront_offset 0
		.amdhsa_system_sgpr_workgroup_id_x 1
		.amdhsa_system_sgpr_workgroup_id_y 0
		.amdhsa_system_sgpr_workgroup_id_z 0
		.amdhsa_system_sgpr_workgroup_info 0
		.amdhsa_system_vgpr_workitem_id 0
		.amdhsa_next_free_vgpr 14
		.amdhsa_next_free_sgpr 24
		.amdhsa_accum_offset 16
		.amdhsa_reserve_vcc 1
		.amdhsa_reserve_flat_scratch 0
		.amdhsa_float_round_mode_32 0
		.amdhsa_float_round_mode_16_64 0
		.amdhsa_float_denorm_mode_32 3
		.amdhsa_float_denorm_mode_16_64 3
		.amdhsa_dx10_clamp 1
		.amdhsa_ieee_mode 1
		.amdhsa_fp16_overflow 0
		.amdhsa_tg_split 0
		.amdhsa_exception_fp_ieee_invalid_op 0
		.amdhsa_exception_fp_denorm_src 0
		.amdhsa_exception_fp_ieee_div_zero 0
		.amdhsa_exception_fp_ieee_overflow 0
		.amdhsa_exception_fp_ieee_underflow 0
		.amdhsa_exception_fp_ieee_inexact 0
		.amdhsa_exception_int_div_zero 0
	.end_amdhsa_kernel
	.section	.text._ZN5aiter19grouped_topk_kernelIN3c108BFloat16EDv2_fLi8ELb0ELb0ELb1EEEvPT_PKS4_PfPimiiiif,"axG",@progbits,_ZN5aiter19grouped_topk_kernelIN3c108BFloat16EDv2_fLi8ELb0ELb0ELb1EEEvPT_PKS4_PfPimiiiif,comdat
.Lfunc_end117:
	.size	_ZN5aiter19grouped_topk_kernelIN3c108BFloat16EDv2_fLi8ELb0ELb0ELb1EEEvPT_PKS4_PfPimiiiif, .Lfunc_end117-_ZN5aiter19grouped_topk_kernelIN3c108BFloat16EDv2_fLi8ELb0ELb0ELb1EEEvPT_PKS4_PfPimiiiif
                                        ; -- End function
	.section	.AMDGPU.csdata,"",@progbits
; Kernel info:
; codeLenInByte = 2512
; NumSgprs: 28
; NumVgprs: 14
; NumAgprs: 0
; TotalNumVgprs: 14
; ScratchSize: 0
; MemoryBound: 0
; FloatMode: 240
; IeeeMode: 1
; LDSByteSize: 0 bytes/workgroup (compile time only)
; SGPRBlocks: 3
; VGPRBlocks: 1
; NumSGPRsForWavesPerEU: 28
; NumVGPRsForWavesPerEU: 14
; AccumOffset: 16
; Occupancy: 8
; WaveLimiterHint : 0
; COMPUTE_PGM_RSRC2:SCRATCH_EN: 0
; COMPUTE_PGM_RSRC2:USER_SGPR: 6
; COMPUTE_PGM_RSRC2:TRAP_HANDLER: 0
; COMPUTE_PGM_RSRC2:TGID_X_EN: 1
; COMPUTE_PGM_RSRC2:TGID_Y_EN: 0
; COMPUTE_PGM_RSRC2:TGID_Z_EN: 0
; COMPUTE_PGM_RSRC2:TIDIG_COMP_CNT: 0
; COMPUTE_PGM_RSRC3_GFX90A:ACCUM_OFFSET: 3
; COMPUTE_PGM_RSRC3_GFX90A:TG_SPLIT: 0
	.section	.text._ZN5aiter19grouped_topk_kernelIfDv2_fLi8ELb0ELb0ELb0EEEvPT_PKS2_PfPimiiiif,"axG",@progbits,_ZN5aiter19grouped_topk_kernelIfDv2_fLi8ELb0ELb0ELb0EEEvPT_PKS2_PfPimiiiif,comdat
	.protected	_ZN5aiter19grouped_topk_kernelIfDv2_fLi8ELb0ELb0ELb0EEEvPT_PKS2_PfPimiiiif ; -- Begin function _ZN5aiter19grouped_topk_kernelIfDv2_fLi8ELb0ELb0ELb0EEEvPT_PKS2_PfPimiiiif
	.globl	_ZN5aiter19grouped_topk_kernelIfDv2_fLi8ELb0ELb0ELb0EEEvPT_PKS2_PfPimiiiif
	.p2align	8
	.type	_ZN5aiter19grouped_topk_kernelIfDv2_fLi8ELb0ELb0ELb0EEEvPT_PKS2_PfPimiiiif,@function
_ZN5aiter19grouped_topk_kernelIfDv2_fLi8ELb0ELb0ELb0EEEvPT_PKS2_PfPimiiiif: ; @_ZN5aiter19grouped_topk_kernelIfDv2_fLi8ELb0ELb0ELb0EEEvPT_PKS2_PfPimiiiif
; %bb.0:
	s_load_dwordx4 s[8:11], s[4:5], 0x28
	s_load_dwordx4 s[12:15], s[4:5], 0x10
	s_waitcnt lgkmcnt(0)
	s_lshr_b32 s0, s8, 31
	s_add_i32 s0, s8, s0
	s_ashr_i32 s7, s0, 1
	v_cmp_gt_i32_e64 s[0:1], s7, v0
	s_and_saveexec_b64 s[16:17], s[0:1]
	s_cbranch_execz .LBB118_3
; %bb.1:
	s_load_dword s11, s[4:5], 0x4c
	s_load_dwordx2 s[2:3], s[4:5], 0x0
	s_mul_i32 s18, s6, s8
	s_ashr_i32 s19, s18, 31
	s_lshl_b64 s[18:19], s[18:19], 2
	s_waitcnt lgkmcnt(0)
	s_and_b32 s11, s11, 0xffff
	s_add_u32 s2, s2, s18
	v_lshlrev_b32_e32 v1, 3, v0
	s_addc_u32 s3, s3, s19
	s_mov_b32 s24, 0
	v_mov_b32_e32 v3, s3
	v_add_co_u32_e32 v2, vcc, s2, v1
	v_addc_co_u32_e32 v3, vcc, 0, v3, vcc
	s_lshl_b32 s20, s11, 3
	v_add_u32_e32 v1, 0, v1
	s_mov_b64 s[18:19], 0
	s_mov_b32 s21, 0xbfb8aa3b
	s_mov_b32 s22, 0x42ce8ed0
	;; [unrolled: 1-line block ×3, first 2 shown]
	v_mov_b32_e32 v4, 0x7f800000
	v_mov_b32_e32 v5, s24
	;; [unrolled: 1-line block ×3, first 2 shown]
.LBB118_2:                              ; =>This Inner Loop Header: Depth=1
	global_load_dwordx2 v[8:9], v[2:3], off
	v_add_co_u32_e32 v2, vcc, s20, v2
	v_add_u32_e32 v6, s11, v6
	v_addc_co_u32_e32 v3, vcc, v3, v5, vcc
	v_cmp_le_i32_e32 vcc, s7, v6
	s_or_b64 s[18:19], vcc, s[18:19]
	s_waitcnt vmcnt(0)
	v_mul_f32_e32 v7, 0xbfb8aa3b, v9
	v_mul_f32_e32 v10, 0xbfb8aa3b, v8
	v_rndne_f32_e32 v11, v7
	v_fma_f32 v12, v9, s21, -v7
	v_rndne_f32_e32 v13, v10
	v_fma_f32 v14, v8, s21, -v10
	v_sub_f32_e32 v7, v7, v11
	v_fmac_f32_e32 v12, 0xb2a5705f, v9
	v_sub_f32_e32 v10, v10, v13
	v_fmac_f32_e32 v14, 0xb2a5705f, v8
	v_add_f32_e32 v7, v7, v12
	v_add_f32_e32 v10, v10, v14
	v_cvt_i32_f32_e32 v11, v11
	v_cvt_i32_f32_e32 v13, v13
	v_exp_f32_e32 v7, v7
	v_exp_f32_e32 v10, v10
	v_cmp_nlt_f32_e32 vcc, s22, v8
	v_cmp_nlt_f32_e64 s[2:3], s22, v9
	v_ldexp_f32 v7, v7, v11
	v_ldexp_f32 v10, v10, v13
	v_cndmask_b32_e64 v7, 0, v7, s[2:3]
	v_cndmask_b32_e32 v10, 0, v10, vcc
	v_cmp_ngt_f32_e32 vcc, s23, v8
	v_cmp_ngt_f32_e64 s[2:3], s23, v9
	v_cndmask_b32_e64 v9, v4, v7, s[2:3]
	v_cndmask_b32_e32 v8, v4, v10, vcc
	v_pk_add_f32 v[8:9], v[8:9], 1.0 op_sel_hi:[1,0]
	v_div_scale_f32 v7, s[2:3], v9, v9, 1.0
	v_div_scale_f32 v11, s[2:3], v8, v8, 1.0
	v_rcp_f32_e32 v13, v7
	v_rcp_f32_e32 v14, v11
	v_div_scale_f32 v10, vcc, 1.0, v9, 1.0
	v_fma_f32 v15, -v7, v13, 1.0
	v_fma_f32 v16, -v11, v14, 1.0
	v_fmac_f32_e32 v13, v15, v13
	v_div_scale_f32 v12, s[2:3], 1.0, v8, 1.0
	v_fmac_f32_e32 v14, v16, v14
	v_mul_f32_e32 v15, v10, v13
	v_mul_f32_e32 v16, v12, v14
	v_fma_f32 v17, -v7, v15, v10
	v_fma_f32 v18, -v11, v16, v12
	v_fmac_f32_e32 v15, v17, v13
	v_fmac_f32_e32 v16, v18, v14
	v_fma_f32 v7, -v7, v15, v10
	v_fma_f32 v10, -v11, v16, v12
	v_div_fmas_f32 v7, v7, v13, v15
	s_mov_b64 vcc, s[2:3]
	v_div_fixup_f32 v9, v7, v9, 1.0
	v_div_fmas_f32 v7, v10, v14, v16
	v_div_fixup_f32 v8, v7, v8, 1.0
	ds_write_b64 v1, v[8:9]
	v_add_u32_e32 v1, s20, v1
	s_andn2_b64 exec, exec, s[18:19]
	s_cbranch_execnz .LBB118_2
.LBB118_3:
	s_or_b64 exec, exec, s[16:17]
	s_ashr_i32 s2, s8, 31
	s_lshr_b32 s2, s2, 29
	s_add_i32 s2, s8, s2
	s_ashr_i32 s11, s2, 3
	s_lshl_b32 s2, s8, 2
	s_add_i32 s22, s2, 0
	v_cmp_gt_u32_e32 vcc, 8, v0
	s_waitcnt lgkmcnt(0)
	s_barrier
	s_and_saveexec_b64 s[16:17], vcc
	s_cbranch_execz .LBB118_10
; %bb.4:
	s_load_dword s2, s[4:5], 0x4c
	v_mul_lo_u32 v1, v0, s11
	v_lshl_add_u32 v1, v1, 2, 0
	s_mov_b64 s[18:19], 0
	s_waitcnt lgkmcnt(0)
	s_and_b32 s23, s2, 0xffff
	s_cmp_gt_i32 s8, 7
	s_cselect_b64 s[2:3], -1, 0
	s_mul_i32 s8, s11, s23
	v_cndmask_b32_e64 v2, 0, 1, s[2:3]
	s_lshl_b32 s8, s8, 2
	v_cmp_ne_u32_e64 s[2:3], 1, v2
	v_mov_b32_e32 v2, v0
	s_branch .LBB118_6
.LBB118_5:                              ;   in Loop: Header=BB118_6 Depth=1
	v_lshl_add_u32 v4, v2, 2, s22
	v_add_u32_e32 v2, s23, v2
	v_cmp_lt_u32_e32 vcc, 7, v2
	s_or_b64 s[18:19], vcc, s[18:19]
	v_add_u32_e32 v1, s8, v1
	ds_write_b32 v4, v3
	s_andn2_b64 exec, exec, s[18:19]
	s_cbranch_execz .LBB118_10
.LBB118_6:                              ; =>This Loop Header: Depth=1
                                        ;     Child Loop BB118_8 Depth 2
	s_and_b64 vcc, exec, s[2:3]
	v_mov_b32_e32 v3, 0xff800000
	s_cbranch_vccnz .LBB118_5
; %bb.7:                                ;   in Loop: Header=BB118_6 Depth=1
	v_mul_lo_u32 v4, v2, s11
	v_add_u32_e32 v5, s11, v4
	s_mov_b64 s[20:21], 0
	v_mov_b32_e32 v3, 0xff800000
	v_mov_b32_e32 v6, v1
.LBB118_8:                              ;   Parent Loop BB118_6 Depth=1
                                        ; =>  This Inner Loop Header: Depth=2
	ds_read_b32 v7, v6
	v_add_u32_e32 v4, 1, v4
	v_cmp_ge_i32_e32 vcc, v4, v5
	s_or_b64 s[20:21], vcc, s[20:21]
	v_add_u32_e32 v6, 4, v6
	s_waitcnt lgkmcnt(0)
	v_cmp_gt_f32_e32 vcc, v7, v3
	v_cndmask_b32_e32 v3, v3, v7, vcc
	s_andn2_b64 exec, exec, s[20:21]
	s_cbranch_execnz .LBB118_8
; %bb.9:                                ;   in Loop: Header=BB118_6 Depth=1
	s_or_b64 exec, exec, s[20:21]
	s_branch .LBB118_5
.LBB118_10:
	s_or_b64 exec, exec, s[16:17]
	s_cmp_lt_i32 s10, 1
	s_waitcnt lgkmcnt(0)
	s_barrier
	s_cbranch_scc1 .LBB118_13
; %bb.11:
	v_mov_b32_e32 v1, s22
	s_mov_b32 s2, 0xff800000
	v_mov_b32_e32 v2, 0xff800000
.LBB118_12:                             ; =>This Inner Loop Header: Depth=1
	ds_read2_b32 v[4:5], v1 offset1:1
	ds_read2_b32 v[6:7], v1 offset0:2 offset1:3
	ds_read2_b32 v[8:9], v1 offset0:4 offset1:5
	;; [unrolled: 1-line block ×3, first 2 shown]
	s_waitcnt lgkmcnt(3)
	v_cmp_nlg_f32_e32 vcc, s2, v4
	v_cndmask_b32_e64 v3, 0, 1, vcc
	v_cmp_lg_f32_e32 vcc, s2, v4
	v_readfirstlane_b32 s3, v3
	v_cndmask_b32_e32 v3, v2, v4, vcc
	v_cmp_gt_f32_e32 vcc, v5, v3
	s_lshl_b32 s3, s3, 3
	v_cndmask_b32_e32 v3, v3, v5, vcc
	s_and_b64 s[16:17], vcc, exec
	s_waitcnt lgkmcnt(2)
	v_cmp_gt_f32_e32 vcc, v6, v3
	v_cndmask_b32_e32 v3, v3, v6, vcc
	s_cselect_b32 s3, 1, s3
	s_and_b64 s[16:17], vcc, exec
	v_cmp_gt_f32_e32 vcc, v7, v3
	v_cndmask_b32_e32 v3, v3, v7, vcc
	s_cselect_b32 s3, 2, s3
	s_and_b64 s[16:17], vcc, exec
	s_waitcnt lgkmcnt(1)
	v_cmp_gt_f32_e32 vcc, v8, v3
	v_cndmask_b32_e32 v3, v3, v8, vcc
	s_cselect_b32 s3, 3, s3
	s_and_b64 s[16:17], vcc, exec
	v_cmp_gt_f32_e32 vcc, v9, v3
	v_cndmask_b32_e32 v3, v3, v9, vcc
	s_cselect_b32 s3, 4, s3
	s_and_b64 s[16:17], vcc, exec
	s_waitcnt lgkmcnt(0)
	v_cmp_gt_f32_e32 vcc, v10, v3
	v_cndmask_b32_e32 v3, v3, v10, vcc
	s_cselect_b32 s3, 5, s3
	s_and_b64 s[16:17], vcc, exec
	v_cmp_ngt_f32_e32 vcc, v11, v3
	s_cselect_b32 s3, 6, s3
	s_and_b64 s[16:17], vcc, exec
	s_cselect_b32 s3, s3, 7
	s_lshl_b32 s3, s3, 2
	s_add_i32 s3, s22, s3
	s_add_i32 s10, s10, -1
	v_mov_b32_e32 v3, s3
	s_cmp_lg_u32 s10, 0
	ds_write_b32 v3, v2
	s_cbranch_scc1 .LBB118_12
.LBB118_13:
	v_lshlrev_b32_e32 v1, 1, v0
	v_lshl_add_u32 v4, v0, 3, 0
	s_and_saveexec_b64 s[2:3], s[0:1]
	s_cbranch_execz .LBB118_18
; %bb.14:
	s_abs_i32 s8, s11
	v_cvt_f32_u32_e32 v2, s8
	s_load_dword s16, s[4:5], 0x4c
	s_sub_i32 s17, 0, s8
	s_ashr_i32 s18, s11, 31
	v_rcp_iflag_f32_e32 v2, v2
	v_lshlrev_b32_e32 v5, 1, v0
	s_waitcnt lgkmcnt(0)
	s_and_b32 s19, s16, 0xffff
	v_lshl_add_u32 v6, v0, 3, 0
	v_mul_f32_e32 v2, 0x4f7ffffe, v2
	v_cvt_u32_f32_e32 v2, v2
	s_mov_b64 s[10:11], 0
	s_lshl_b32 s20, s19, 1
	s_lshl_b32 s21, s19, 3
	v_mul_lo_u32 v3, s17, v2
	v_mul_hi_u32 v3, v2, v3
	v_add_u32_e32 v7, v2, v3
	s_mov_b32 s23, 0xff800000
	v_mov_b32_e32 v2, 0xff800000
	v_mov_b32_e32 v8, v0
	s_branch .LBB118_16
.LBB118_15:                             ;   in Loop: Header=BB118_16 Depth=1
	s_or_b64 exec, exec, s[16:17]
	v_add_u32_e32 v8, s19, v8
	v_cmp_le_i32_e32 vcc, s7, v8
	v_add_u32_e32 v5, s20, v5
	s_or_b64 s[10:11], vcc, s[10:11]
	v_add_u32_e32 v6, s21, v6
	s_andn2_b64 exec, exec, s[10:11]
	s_cbranch_execz .LBB118_18
.LBB118_16:                             ; =>This Inner Loop Header: Depth=1
	v_mul_hi_u32 v3, v5, v7
	v_mul_lo_u32 v9, v3, s8
	v_sub_u32_e32 v9, v5, v9
	v_add_u32_e32 v10, 1, v3
	v_cmp_le_u32_e32 vcc, s8, v9
	v_cndmask_b32_e32 v3, v3, v10, vcc
	v_subrev_u32_e32 v10, s8, v9
	v_cndmask_b32_e32 v9, v9, v10, vcc
	v_add_u32_e32 v10, 1, v3
	v_cmp_le_u32_e32 vcc, s8, v9
	v_cndmask_b32_e32 v3, v3, v10, vcc
	v_xor_b32_e32 v3, s18, v3
	v_subrev_u32_e32 v3, s18, v3
	v_lshl_add_u32 v3, v3, 2, s22
	ds_read_b32 v3, v3
	s_waitcnt lgkmcnt(0)
	v_cmp_neq_f32_e32 vcc, s23, v3
	s_and_saveexec_b64 s[16:17], vcc
	s_cbranch_execz .LBB118_15
; %bb.17:                               ;   in Loop: Header=BB118_16 Depth=1
	v_mov_b32_e32 v3, v2
	ds_write_b64 v6, v[2:3]
	s_branch .LBB118_15
.LBB118_18:
	s_or_b64 exec, exec, s[2:3]
	s_cmp_lt_i32 s9, 1
	s_waitcnt lgkmcnt(0)
	s_barrier
	s_cbranch_scc1 .LBB118_25
; %bb.19:
	s_add_u32 s2, s4, 64
	s_addc_u32 s3, s5, 0
	s_mov_b32 s8, 0
	v_mov_b32_e32 v5, 0xff800000
                                        ; implicit-def: $vgpr3
                                        ; implicit-def: $vgpr2
	s_branch .LBB118_21
.LBB118_20:                             ;   in Loop: Header=BB118_21 Depth=1
	s_or_b64 exec, exec, s[10:11]
	v_mov_b32_dpp v9, v7 quad_perm:[1,0,3,2] row_mask:0xf bank_mask:0xf
	v_cmp_lt_f32_e32 vcc, v7, v9
	v_cndmask_b32_e32 v7, v7, v9, vcc
	v_mov_b32_dpp v8, v6 quad_perm:[1,0,3,2] row_mask:0xf bank_mask:0xf
	v_cndmask_b32_e32 v6, v6, v8, vcc
	v_mov_b32_dpp v9, v7 quad_perm:[2,3,0,1] row_mask:0xf bank_mask:0xf
	v_cmp_gt_f32_e32 vcc, v9, v7
	v_cndmask_b32_e32 v7, v7, v9, vcc
	v_mov_b32_dpp v8, v6 quad_perm:[2,3,0,1] row_mask:0xf bank_mask:0xf
	v_cndmask_b32_e32 v6, v6, v8, vcc
	v_mov_b32_dpp v9, v7 row_half_mirror row_mask:0xf bank_mask:0xf
	v_cmp_gt_f32_e32 vcc, v9, v7
	v_cndmask_b32_e32 v7, v7, v9, vcc
	v_mov_b32_dpp v8, v6 row_half_mirror row_mask:0xf bank_mask:0xf
	v_cndmask_b32_e32 v6, v6, v8, vcc
	v_mov_b32_dpp v9, v7 row_mirror row_mask:0xf bank_mask:0xf
	v_cmp_gt_f32_e32 vcc, v9, v7
	v_cndmask_b32_e32 v7, v7, v9, vcc
	v_mov_b32_dpp v8, v6 row_mirror row_mask:0xf bank_mask:0xf
	v_cndmask_b32_e32 v6, v6, v8, vcc
	v_mov_b32_dpp v9, v7 row_bcast:15 row_mask:0xf bank_mask:0xf
	v_cmp_gt_f32_e32 vcc, v9, v7
	v_mov_b32_dpp v8, v6 row_bcast:15 row_mask:0xf bank_mask:0xf
	v_cndmask_b32_e32 v7, v7, v9, vcc
	v_cndmask_b32_e32 v6, v6, v8, vcc
	s_nop 0
	v_mov_b32_dpp v9, v7 row_bcast:31 row_mask:0xf bank_mask:0xf
	v_mov_b32_dpp v8, v6 row_bcast:31 row_mask:0xf bank_mask:0xf
	v_cmp_gt_f32_e32 vcc, v9, v7
	v_cndmask_b32_e32 v6, v6, v8, vcc
	v_readlane_b32 s11, v6, 63
	s_lshl_b32 s16, s11, 2
	s_add_i32 s16, s16, 0
	v_cndmask_b32_e32 v7, v7, v9, vcc
	v_mov_b32_e32 v6, s16
	v_readlane_b32 s10, v7, 63
	ds_write_b32 v6, v5
	v_mov_b32_e32 v6, s11
	v_cmp_eq_u32_e32 vcc, s8, v0
	v_cndmask_b32_e32 v2, v2, v6, vcc
	v_mov_b32_e32 v6, s10
	s_add_i32 s8, s8, 1
	s_cmp_eq_u32 s8, s9
	v_cndmask_b32_e32 v3, v3, v6, vcc
	s_cbranch_scc1 .LBB118_26
.LBB118_21:                             ; =>This Loop Header: Depth=1
                                        ;     Child Loop BB118_23 Depth 2
	v_mov_b32_e32 v6, s8
	v_mov_b32_e32 v7, 0xff800000
	s_and_saveexec_b64 s[10:11], s[0:1]
	s_cbranch_execz .LBB118_20
; %bb.22:                               ;   in Loop: Header=BB118_21 Depth=1
	s_load_dword s18, s[2:3], 0xc
	s_mov_b64 s[16:17], 0
	v_mov_b32_e32 v6, s8
	v_mov_b32_e32 v7, 0xff800000
	v_mov_b32_e32 v8, v4
	s_waitcnt lgkmcnt(0)
	s_and_b32 s18, s18, 0xffff
	s_lshl_b32 s19, s18, 1
	s_lshl_b32 s20, s18, 3
	v_mov_b32_e32 v9, v1
	v_mov_b32_e32 v10, v0
.LBB118_23:                             ;   Parent Loop BB118_21 Depth=1
                                        ; =>  This Inner Loop Header: Depth=2
	ds_read_b64 v[12:13], v8
	v_add_u32_e32 v10, s18, v10
	v_cmp_le_i32_e32 vcc, s7, v10
	s_or_b64 s[16:17], vcc, s[16:17]
	v_add_u32_e32 v11, 1, v9
	s_waitcnt lgkmcnt(0)
	v_cmp_gt_f32_e32 vcc, v12, v7
	v_cndmask_b32_e32 v7, v7, v12, vcc
	v_cndmask_b32_e32 v6, v6, v9, vcc
	v_cmp_gt_f32_e32 vcc, v13, v7
	v_add_u32_e32 v8, s20, v8
	v_cndmask_b32_e32 v7, v7, v13, vcc
	v_add_u32_e32 v9, s19, v9
	v_cndmask_b32_e32 v6, v6, v11, vcc
	s_andn2_b64 exec, exec, s[16:17]
	s_cbranch_execnz .LBB118_23
; %bb.24:                               ;   in Loop: Header=BB118_21 Depth=1
	s_or_b64 exec, exec, s[16:17]
	s_branch .LBB118_20
.LBB118_25:
                                        ; implicit-def: $vgpr3
                                        ; implicit-def: $vgpr2
.LBB118_26:
	v_cmp_gt_i32_e32 vcc, s9, v0
	s_and_saveexec_b64 s[0:1], vcc
	s_cbranch_execz .LBB118_29
; %bb.27:
	s_load_dword s2, s[4:5], 0x38
	s_load_dwordx2 s[0:1], s[4:5], 0x20
	s_ashr_i32 s3, s6, 31
	s_load_dword s4, s[4:5], 0x4c
	v_mov_b32_e32 v4, s13
	s_waitcnt lgkmcnt(0)
	v_mul_f32_e32 v1, s2, v3
	s_mul_i32 s1, s6, s1
	s_mul_hi_u32 s2, s6, s0
	s_add_i32 s1, s2, s1
	s_mul_i32 s3, s3, s0
	s_add_i32 s5, s1, s3
	s_mul_i32 s2, s6, s0
	s_and_b32 s3, s4, 0xffff
	s_mov_b64 s[0:1], 0
	v_mov_b32_e32 v3, s5
	v_mov_b32_e32 v5, s15
.LBB118_28:                             ; =>This Inner Loop Header: Depth=1
	v_ashrrev_i32_e32 v7, 31, v0
	v_add_co_u32_e32 v6, vcc, s2, v0
	v_addc_co_u32_e32 v7, vcc, v3, v7, vcc
	v_add_u32_e32 v0, s3, v0
	v_cmp_le_i32_e32 vcc, s9, v0
	v_lshlrev_b64 v[6:7], 2, v[6:7]
	s_or_b64 s[0:1], vcc, s[0:1]
	v_add_co_u32_e32 v8, vcc, s12, v6
	v_addc_co_u32_e32 v9, vcc, v4, v7, vcc
	v_add_co_u32_e32 v6, vcc, s14, v6
	v_addc_co_u32_e32 v7, vcc, v5, v7, vcc
	global_store_dword v[8:9], v1, off
	global_store_dword v[6:7], v2, off
	s_andn2_b64 exec, exec, s[0:1]
	s_cbranch_execnz .LBB118_28
.LBB118_29:
	s_endpgm
	.section	.rodata,"a",@progbits
	.p2align	6, 0x0
	.amdhsa_kernel _ZN5aiter19grouped_topk_kernelIfDv2_fLi8ELb0ELb0ELb0EEEvPT_PKS2_PfPimiiiif
		.amdhsa_group_segment_fixed_size 0
		.amdhsa_private_segment_fixed_size 0
		.amdhsa_kernarg_size 320
		.amdhsa_user_sgpr_count 6
		.amdhsa_user_sgpr_private_segment_buffer 1
		.amdhsa_user_sgpr_dispatch_ptr 0
		.amdhsa_user_sgpr_queue_ptr 0
		.amdhsa_user_sgpr_kernarg_segment_ptr 1
		.amdhsa_user_sgpr_dispatch_id 0
		.amdhsa_user_sgpr_flat_scratch_init 0
		.amdhsa_user_sgpr_kernarg_preload_length 0
		.amdhsa_user_sgpr_kernarg_preload_offset 0
		.amdhsa_user_sgpr_private_segment_size 0
		.amdhsa_uses_dynamic_stack 0
		.amdhsa_system_sgpr_private_segment_wavefront_offset 0
		.amdhsa_system_sgpr_workgroup_id_x 1
		.amdhsa_system_sgpr_workgroup_id_y 0
		.amdhsa_system_sgpr_workgroup_id_z 0
		.amdhsa_system_sgpr_workgroup_info 0
		.amdhsa_system_vgpr_workitem_id 0
		.amdhsa_next_free_vgpr 19
		.amdhsa_next_free_sgpr 25
		.amdhsa_accum_offset 20
		.amdhsa_reserve_vcc 1
		.amdhsa_reserve_flat_scratch 0
		.amdhsa_float_round_mode_32 0
		.amdhsa_float_round_mode_16_64 0
		.amdhsa_float_denorm_mode_32 3
		.amdhsa_float_denorm_mode_16_64 3
		.amdhsa_dx10_clamp 1
		.amdhsa_ieee_mode 1
		.amdhsa_fp16_overflow 0
		.amdhsa_tg_split 0
		.amdhsa_exception_fp_ieee_invalid_op 0
		.amdhsa_exception_fp_denorm_src 0
		.amdhsa_exception_fp_ieee_div_zero 0
		.amdhsa_exception_fp_ieee_overflow 0
		.amdhsa_exception_fp_ieee_underflow 0
		.amdhsa_exception_fp_ieee_inexact 0
		.amdhsa_exception_int_div_zero 0
	.end_amdhsa_kernel
	.section	.text._ZN5aiter19grouped_topk_kernelIfDv2_fLi8ELb0ELb0ELb0EEEvPT_PKS2_PfPimiiiif,"axG",@progbits,_ZN5aiter19grouped_topk_kernelIfDv2_fLi8ELb0ELb0ELb0EEEvPT_PKS2_PfPimiiiif,comdat
.Lfunc_end118:
	.size	_ZN5aiter19grouped_topk_kernelIfDv2_fLi8ELb0ELb0ELb0EEEvPT_PKS2_PfPimiiiif, .Lfunc_end118-_ZN5aiter19grouped_topk_kernelIfDv2_fLi8ELb0ELb0ELb0EEEvPT_PKS2_PfPimiiiif
                                        ; -- End function
	.section	.AMDGPU.csdata,"",@progbits
; Kernel info:
; codeLenInByte = 1940
; NumSgprs: 29
; NumVgprs: 19
; NumAgprs: 0
; TotalNumVgprs: 19
; ScratchSize: 0
; MemoryBound: 0
; FloatMode: 240
; IeeeMode: 1
; LDSByteSize: 0 bytes/workgroup (compile time only)
; SGPRBlocks: 3
; VGPRBlocks: 2
; NumSGPRsForWavesPerEU: 29
; NumVGPRsForWavesPerEU: 19
; AccumOffset: 20
; Occupancy: 8
; WaveLimiterHint : 0
; COMPUTE_PGM_RSRC2:SCRATCH_EN: 0
; COMPUTE_PGM_RSRC2:USER_SGPR: 6
; COMPUTE_PGM_RSRC2:TRAP_HANDLER: 0
; COMPUTE_PGM_RSRC2:TGID_X_EN: 1
; COMPUTE_PGM_RSRC2:TGID_Y_EN: 0
; COMPUTE_PGM_RSRC2:TGID_Z_EN: 0
; COMPUTE_PGM_RSRC2:TIDIG_COMP_CNT: 0
; COMPUTE_PGM_RSRC3_GFX90A:ACCUM_OFFSET: 4
; COMPUTE_PGM_RSRC3_GFX90A:TG_SPLIT: 0
	.section	.text._ZN5aiter19grouped_topk_kernelIN3c104HalfEDv2_fLi8ELb0ELb0ELb0EEEvPT_PKS4_PfPimiiiif,"axG",@progbits,_ZN5aiter19grouped_topk_kernelIN3c104HalfEDv2_fLi8ELb0ELb0ELb0EEEvPT_PKS4_PfPimiiiif,comdat
	.protected	_ZN5aiter19grouped_topk_kernelIN3c104HalfEDv2_fLi8ELb0ELb0ELb0EEEvPT_PKS4_PfPimiiiif ; -- Begin function _ZN5aiter19grouped_topk_kernelIN3c104HalfEDv2_fLi8ELb0ELb0ELb0EEEvPT_PKS4_PfPimiiiif
	.globl	_ZN5aiter19grouped_topk_kernelIN3c104HalfEDv2_fLi8ELb0ELb0ELb0EEEvPT_PKS4_PfPimiiiif
	.p2align	8
	.type	_ZN5aiter19grouped_topk_kernelIN3c104HalfEDv2_fLi8ELb0ELb0ELb0EEEvPT_PKS4_PfPimiiiif,@function
_ZN5aiter19grouped_topk_kernelIN3c104HalfEDv2_fLi8ELb0ELb0ELb0EEEvPT_PKS4_PfPimiiiif: ; @_ZN5aiter19grouped_topk_kernelIN3c104HalfEDv2_fLi8ELb0ELb0ELb0EEEvPT_PKS4_PfPimiiiif
; %bb.0:
	s_load_dwordx4 s[8:11], s[4:5], 0x28
	s_load_dwordx4 s[12:15], s[4:5], 0x10
	v_lshl_add_u32 v1, v0, 3, 0
	s_waitcnt lgkmcnt(0)
	s_lshr_b32 s0, s8, 31
	s_add_i32 s0, s8, s0
	s_ashr_i32 s7, s0, 1
	v_cmp_gt_i32_e64 s[0:1], s7, v0
	s_and_saveexec_b64 s[16:17], s[0:1]
	s_cbranch_execz .LBB119_3
; %bb.1:
	s_load_dword s11, s[4:5], 0x4c
	s_load_dwordx2 s[2:3], s[4:5], 0x0
	s_mul_i32 s18, s6, s8
	s_ashr_i32 s19, s18, 31
	s_lshl_b64 s[18:19], s[18:19], 1
	s_waitcnt lgkmcnt(0)
	s_and_b32 s11, s11, 0xffff
	s_add_u32 s2, s2, s18
	v_lshlrev_b32_e32 v2, 2, v0
	s_addc_u32 s3, s3, s19
	s_mov_b32 s26, 0
	v_mov_b32_e32 v3, s3
	v_add_co_u32_e32 v2, vcc, s2, v2
	v_addc_co_u32_e32 v3, vcc, 0, v3, vcc
	s_lshl_b32 s20, s11, 2
	v_lshl_add_u32 v4, v0, 3, 0
	s_lshl_b32 s21, s11, 3
	s_mov_b64 s[18:19], 0
	s_mov_b32 s22, 0x3fb8aa3b
	s_mov_b32 s23, 0x32a5705f
	;; [unrolled: 1-line block ×4, first 2 shown]
	v_mov_b32_e32 v5, 0x7f800000
	v_mov_b32_e32 v6, s26
	;; [unrolled: 1-line block ×3, first 2 shown]
.LBB119_2:                              ; =>This Inner Loop Header: Depth=1
	global_load_dword v8, v[2:3], off
	v_add_co_u32_e32 v2, vcc, s20, v2
	v_add_u32_e32 v7, s11, v7
	v_addc_co_u32_e32 v3, vcc, v3, v6, vcc
	v_cmp_le_i32_e32 vcc, s7, v7
	s_or_b64 s[18:19], vcc, s[18:19]
	s_waitcnt vmcnt(0)
	v_cvt_f32_f16_e64 v9, -v8
	v_cvt_f32_f16_sdwa v10, -v8 dst_sel:DWORD dst_unused:UNUSED_PAD src0_sel:WORD_1
	v_mul_f32_e32 v11, 0x3fb8aa3b, v9
	v_mul_f32_e32 v12, 0x3fb8aa3b, v10
	v_rndne_f32_e32 v13, v11
	v_fma_mix_f32 v14, -v8, s22, -v11 op_sel_hi:[1,0,0]
	v_rndne_f32_e32 v15, v12
	v_fma_mix_f32 v16, -v8, s22, -v12 op_sel:[1,0,0] op_sel_hi:[1,0,0]
	v_sub_f32_e32 v11, v11, v13
	v_fma_mix_f32 v14, -v8, s23, v14 op_sel_hi:[1,0,0]
	v_sub_f32_e32 v12, v12, v15
	v_fma_mix_f32 v8, -v8, s23, v16 op_sel:[1,0,0] op_sel_hi:[1,0,0]
	v_add_f32_e32 v11, v11, v14
	v_add_f32_e32 v8, v12, v8
	v_cvt_i32_f32_e32 v13, v13
	v_cvt_i32_f32_e32 v15, v15
	v_exp_f32_e32 v11, v11
	v_exp_f32_e32 v8, v8
	v_cmp_ngt_f32_e32 vcc, s24, v10
	v_cmp_ngt_f32_e64 s[2:3], s24, v9
	v_ldexp_f32 v11, v11, v13
	v_ldexp_f32 v8, v8, v15
	v_cndmask_b32_e64 v11, 0, v11, s[2:3]
	v_cndmask_b32_e32 v12, 0, v8, vcc
	v_cmp_nlt_f32_e32 vcc, s25, v10
	v_cmp_nlt_f32_e64 s[2:3], s25, v9
	v_cndmask_b32_e64 v8, v5, v11, s[2:3]
	v_cndmask_b32_e32 v9, v5, v12, vcc
	v_pk_add_f32 v[8:9], v[8:9], 1.0 op_sel_hi:[1,0]
	v_div_scale_f32 v10, s[2:3], v9, v9, 1.0
	v_div_scale_f32 v12, s[2:3], v8, v8, 1.0
	v_rcp_f32_e32 v14, v10
	v_rcp_f32_e32 v15, v12
	v_div_scale_f32 v11, vcc, 1.0, v9, 1.0
	v_fma_f32 v16, -v10, v14, 1.0
	v_fma_f32 v17, -v12, v15, 1.0
	v_fmac_f32_e32 v14, v16, v14
	v_div_scale_f32 v13, s[2:3], 1.0, v8, 1.0
	v_fmac_f32_e32 v15, v17, v15
	v_mul_f32_e32 v16, v11, v14
	v_mul_f32_e32 v17, v13, v15
	v_fma_f32 v18, -v10, v16, v11
	v_fma_f32 v19, -v12, v17, v13
	v_fmac_f32_e32 v16, v18, v14
	v_fmac_f32_e32 v17, v19, v15
	v_fma_f32 v10, -v10, v16, v11
	v_fma_f32 v11, -v12, v17, v13
	v_div_fmas_f32 v10, v10, v14, v16
	s_mov_b64 vcc, s[2:3]
	v_div_fixup_f32 v9, v10, v9, 1.0
	v_div_fmas_f32 v10, v11, v15, v17
	v_div_fixup_f32 v8, v10, v8, 1.0
	ds_write_b64 v4, v[8:9]
	v_add_u32_e32 v4, s21, v4
	s_andn2_b64 exec, exec, s[18:19]
	s_cbranch_execnz .LBB119_2
.LBB119_3:
	s_or_b64 exec, exec, s[16:17]
	s_ashr_i32 s2, s8, 31
	s_lshr_b32 s2, s2, 29
	s_add_i32 s2, s8, s2
	s_ashr_i32 s11, s2, 3
	s_lshl_b32 s2, s8, 2
	s_add_i32 s22, s2, 0
	v_cmp_gt_u32_e32 vcc, 8, v0
	s_waitcnt lgkmcnt(0)
	s_barrier
	s_and_saveexec_b64 s[16:17], vcc
	s_cbranch_execz .LBB119_10
; %bb.4:
	s_load_dword s2, s[4:5], 0x4c
	v_mul_lo_u32 v2, v0, s11
	v_lshl_add_u32 v2, v2, 2, 0
	s_mov_b64 s[18:19], 0
	s_waitcnt lgkmcnt(0)
	s_and_b32 s23, s2, 0xffff
	s_cmp_gt_i32 s8, 7
	s_cselect_b64 s[2:3], -1, 0
	s_mul_i32 s8, s11, s23
	v_cndmask_b32_e64 v3, 0, 1, s[2:3]
	s_lshl_b32 s8, s8, 2
	v_cmp_ne_u32_e64 s[2:3], 1, v3
	v_mov_b32_e32 v3, v0
	s_branch .LBB119_6
.LBB119_5:                              ;   in Loop: Header=BB119_6 Depth=1
	v_lshl_add_u32 v5, v3, 2, s22
	v_add_u32_e32 v3, s23, v3
	v_cmp_lt_u32_e32 vcc, 7, v3
	s_or_b64 s[18:19], vcc, s[18:19]
	v_add_u32_e32 v2, s8, v2
	ds_write_b32 v5, v4
	s_andn2_b64 exec, exec, s[18:19]
	s_cbranch_execz .LBB119_10
.LBB119_6:                              ; =>This Loop Header: Depth=1
                                        ;     Child Loop BB119_8 Depth 2
	s_and_b64 vcc, exec, s[2:3]
	v_mov_b32_e32 v4, 0xff800000
	s_cbranch_vccnz .LBB119_5
; %bb.7:                                ;   in Loop: Header=BB119_6 Depth=1
	v_mul_lo_u32 v5, v3, s11
	v_add_u32_e32 v6, s11, v5
	s_mov_b64 s[20:21], 0
	v_mov_b32_e32 v4, 0xff800000
	v_mov_b32_e32 v7, v2
.LBB119_8:                              ;   Parent Loop BB119_6 Depth=1
                                        ; =>  This Inner Loop Header: Depth=2
	ds_read_b32 v8, v7
	v_add_u32_e32 v5, 1, v5
	v_cmp_ge_i32_e32 vcc, v5, v6
	s_or_b64 s[20:21], vcc, s[20:21]
	v_add_u32_e32 v7, 4, v7
	s_waitcnt lgkmcnt(0)
	v_cmp_gt_f32_e32 vcc, v8, v4
	v_cndmask_b32_e32 v4, v4, v8, vcc
	s_andn2_b64 exec, exec, s[20:21]
	s_cbranch_execnz .LBB119_8
; %bb.9:                                ;   in Loop: Header=BB119_6 Depth=1
	s_or_b64 exec, exec, s[20:21]
	s_branch .LBB119_5
.LBB119_10:
	s_or_b64 exec, exec, s[16:17]
	s_cmp_lt_i32 s10, 1
	s_waitcnt lgkmcnt(0)
	s_barrier
	s_cbranch_scc1 .LBB119_13
; %bb.11:
	v_mov_b32_e32 v2, s22
	s_mov_b32 s2, 0xff800000
	v_mov_b32_e32 v3, 0xff800000
.LBB119_12:                             ; =>This Inner Loop Header: Depth=1
	ds_read2_b32 v[4:5], v2 offset1:1
	ds_read2_b32 v[6:7], v2 offset0:2 offset1:3
	ds_read2_b32 v[8:9], v2 offset0:4 offset1:5
	;; [unrolled: 1-line block ×3, first 2 shown]
	s_waitcnt lgkmcnt(3)
	v_cmp_nlg_f32_e32 vcc, s2, v4
	v_cndmask_b32_e64 v12, 0, 1, vcc
	v_cmp_lg_f32_e32 vcc, s2, v4
	v_cndmask_b32_e32 v4, v3, v4, vcc
	v_readfirstlane_b32 s3, v12
	v_cmp_gt_f32_e32 vcc, v5, v4
	s_lshl_b32 s3, s3, 3
	v_cndmask_b32_e32 v4, v4, v5, vcc
	s_and_b64 s[16:17], vcc, exec
	s_waitcnt lgkmcnt(2)
	v_cmp_gt_f32_e32 vcc, v6, v4
	v_cndmask_b32_e32 v4, v4, v6, vcc
	s_cselect_b32 s3, 1, s3
	s_and_b64 s[16:17], vcc, exec
	v_cmp_gt_f32_e32 vcc, v7, v4
	v_cndmask_b32_e32 v4, v4, v7, vcc
	s_cselect_b32 s3, 2, s3
	s_and_b64 s[16:17], vcc, exec
	s_waitcnt lgkmcnt(1)
	v_cmp_gt_f32_e32 vcc, v8, v4
	v_cndmask_b32_e32 v4, v4, v8, vcc
	s_cselect_b32 s3, 3, s3
	s_and_b64 s[16:17], vcc, exec
	v_cmp_gt_f32_e32 vcc, v9, v4
	v_cndmask_b32_e32 v4, v4, v9, vcc
	s_cselect_b32 s3, 4, s3
	s_and_b64 s[16:17], vcc, exec
	s_waitcnt lgkmcnt(0)
	v_cmp_gt_f32_e32 vcc, v10, v4
	v_cndmask_b32_e32 v4, v4, v10, vcc
	s_cselect_b32 s3, 5, s3
	s_and_b64 s[16:17], vcc, exec
	v_cmp_ngt_f32_e32 vcc, v11, v4
	s_cselect_b32 s3, 6, s3
	s_and_b64 s[16:17], vcc, exec
	s_cselect_b32 s3, s3, 7
	s_lshl_b32 s3, s3, 2
	s_add_i32 s3, s22, s3
	s_add_i32 s10, s10, -1
	v_mov_b32_e32 v4, s3
	s_cmp_lg_u32 s10, 0
	ds_write_b32 v4, v3
	s_cbranch_scc1 .LBB119_12
.LBB119_13:
	v_lshlrev_b32_e32 v4, 1, v0
	s_and_saveexec_b64 s[2:3], s[0:1]
	s_cbranch_execz .LBB119_18
; %bb.14:
	s_abs_i32 s8, s11
	v_cvt_f32_u32_e32 v2, s8
	s_load_dword s16, s[4:5], 0x4c
	s_sub_i32 s17, 0, s8
	s_ashr_i32 s18, s11, 31
	v_rcp_iflag_f32_e32 v2, v2
	v_lshlrev_b32_e32 v5, 1, v0
	s_waitcnt lgkmcnt(0)
	s_and_b32 s19, s16, 0xffff
	v_lshl_add_u32 v6, v0, 3, 0
	v_mul_f32_e32 v2, 0x4f7ffffe, v2
	v_cvt_u32_f32_e32 v2, v2
	s_mov_b64 s[10:11], 0
	s_lshl_b32 s20, s19, 1
	s_lshl_b32 s21, s19, 3
	v_mul_lo_u32 v3, s17, v2
	v_mul_hi_u32 v3, v2, v3
	v_add_u32_e32 v7, v2, v3
	s_mov_b32 s23, 0xff800000
	v_mov_b32_e32 v2, 0xff800000
	v_mov_b32_e32 v8, v0
	s_branch .LBB119_16
.LBB119_15:                             ;   in Loop: Header=BB119_16 Depth=1
	s_or_b64 exec, exec, s[16:17]
	v_add_u32_e32 v8, s19, v8
	v_cmp_le_i32_e32 vcc, s7, v8
	v_add_u32_e32 v5, s20, v5
	s_or_b64 s[10:11], vcc, s[10:11]
	v_add_u32_e32 v6, s21, v6
	s_andn2_b64 exec, exec, s[10:11]
	s_cbranch_execz .LBB119_18
.LBB119_16:                             ; =>This Inner Loop Header: Depth=1
	v_mul_hi_u32 v3, v5, v7
	v_mul_lo_u32 v9, v3, s8
	v_sub_u32_e32 v9, v5, v9
	v_add_u32_e32 v10, 1, v3
	v_cmp_le_u32_e32 vcc, s8, v9
	v_cndmask_b32_e32 v3, v3, v10, vcc
	v_subrev_u32_e32 v10, s8, v9
	v_cndmask_b32_e32 v9, v9, v10, vcc
	v_add_u32_e32 v10, 1, v3
	v_cmp_le_u32_e32 vcc, s8, v9
	v_cndmask_b32_e32 v3, v3, v10, vcc
	v_xor_b32_e32 v3, s18, v3
	v_subrev_u32_e32 v3, s18, v3
	v_lshl_add_u32 v3, v3, 2, s22
	ds_read_b32 v3, v3
	s_waitcnt lgkmcnt(0)
	v_cmp_neq_f32_e32 vcc, s23, v3
	s_and_saveexec_b64 s[16:17], vcc
	s_cbranch_execz .LBB119_15
; %bb.17:                               ;   in Loop: Header=BB119_16 Depth=1
	v_mov_b32_e32 v3, v2
	ds_write_b64 v6, v[2:3]
	s_branch .LBB119_15
.LBB119_18:
	s_or_b64 exec, exec, s[2:3]
	s_cmp_lt_i32 s9, 1
	s_waitcnt lgkmcnt(0)
	s_barrier
	s_cbranch_scc1 .LBB119_25
; %bb.19:
	s_add_u32 s2, s4, 64
	s_addc_u32 s3, s5, 0
	s_mov_b32 s8, 0
	v_mov_b32_e32 v5, 0xff800000
                                        ; implicit-def: $vgpr3
                                        ; implicit-def: $vgpr2
	s_branch .LBB119_21
.LBB119_20:                             ;   in Loop: Header=BB119_21 Depth=1
	s_or_b64 exec, exec, s[10:11]
	v_mov_b32_dpp v9, v7 quad_perm:[1,0,3,2] row_mask:0xf bank_mask:0xf
	v_cmp_lt_f32_e32 vcc, v7, v9
	v_cndmask_b32_e32 v7, v7, v9, vcc
	v_mov_b32_dpp v8, v6 quad_perm:[1,0,3,2] row_mask:0xf bank_mask:0xf
	v_cndmask_b32_e32 v6, v6, v8, vcc
	v_mov_b32_dpp v9, v7 quad_perm:[2,3,0,1] row_mask:0xf bank_mask:0xf
	v_cmp_gt_f32_e32 vcc, v9, v7
	v_cndmask_b32_e32 v7, v7, v9, vcc
	v_mov_b32_dpp v8, v6 quad_perm:[2,3,0,1] row_mask:0xf bank_mask:0xf
	v_cndmask_b32_e32 v6, v6, v8, vcc
	v_mov_b32_dpp v9, v7 row_half_mirror row_mask:0xf bank_mask:0xf
	v_cmp_gt_f32_e32 vcc, v9, v7
	v_cndmask_b32_e32 v7, v7, v9, vcc
	v_mov_b32_dpp v8, v6 row_half_mirror row_mask:0xf bank_mask:0xf
	v_cndmask_b32_e32 v6, v6, v8, vcc
	v_mov_b32_dpp v9, v7 row_mirror row_mask:0xf bank_mask:0xf
	v_cmp_gt_f32_e32 vcc, v9, v7
	v_cndmask_b32_e32 v7, v7, v9, vcc
	v_mov_b32_dpp v8, v6 row_mirror row_mask:0xf bank_mask:0xf
	v_cndmask_b32_e32 v6, v6, v8, vcc
	v_mov_b32_dpp v9, v7 row_bcast:15 row_mask:0xf bank_mask:0xf
	v_cmp_gt_f32_e32 vcc, v9, v7
	v_mov_b32_dpp v8, v6 row_bcast:15 row_mask:0xf bank_mask:0xf
	v_cndmask_b32_e32 v7, v7, v9, vcc
	v_cndmask_b32_e32 v6, v6, v8, vcc
	s_nop 0
	v_mov_b32_dpp v9, v7 row_bcast:31 row_mask:0xf bank_mask:0xf
	v_mov_b32_dpp v8, v6 row_bcast:31 row_mask:0xf bank_mask:0xf
	v_cmp_gt_f32_e32 vcc, v9, v7
	v_cndmask_b32_e32 v6, v6, v8, vcc
	v_readlane_b32 s11, v6, 63
	s_lshl_b32 s16, s11, 2
	s_add_i32 s16, s16, 0
	v_cndmask_b32_e32 v7, v7, v9, vcc
	v_mov_b32_e32 v6, s16
	v_readlane_b32 s10, v7, 63
	ds_write_b32 v6, v5
	v_mov_b32_e32 v6, s11
	v_cmp_eq_u32_e32 vcc, s8, v0
	v_cndmask_b32_e32 v2, v2, v6, vcc
	v_mov_b32_e32 v6, s10
	s_add_i32 s8, s8, 1
	s_cmp_eq_u32 s8, s9
	v_cndmask_b32_e32 v3, v3, v6, vcc
	s_cbranch_scc1 .LBB119_26
.LBB119_21:                             ; =>This Loop Header: Depth=1
                                        ;     Child Loop BB119_23 Depth 2
	v_mov_b32_e32 v6, s8
	v_mov_b32_e32 v7, 0xff800000
	s_and_saveexec_b64 s[10:11], s[0:1]
	s_cbranch_execz .LBB119_20
; %bb.22:                               ;   in Loop: Header=BB119_21 Depth=1
	s_load_dword s18, s[2:3], 0xc
	s_mov_b64 s[16:17], 0
	v_mov_b32_e32 v6, s8
	v_mov_b32_e32 v7, 0xff800000
	;; [unrolled: 1-line block ×3, first 2 shown]
	s_waitcnt lgkmcnt(0)
	s_and_b32 s18, s18, 0xffff
	s_lshl_b32 s19, s18, 1
	s_lshl_b32 s20, s18, 3
	v_mov_b32_e32 v9, v4
	v_mov_b32_e32 v10, v0
.LBB119_23:                             ;   Parent Loop BB119_21 Depth=1
                                        ; =>  This Inner Loop Header: Depth=2
	ds_read_b64 v[12:13], v8
	v_add_u32_e32 v10, s18, v10
	v_cmp_le_i32_e32 vcc, s7, v10
	s_or_b64 s[16:17], vcc, s[16:17]
	v_add_u32_e32 v11, 1, v9
	s_waitcnt lgkmcnt(0)
	v_cmp_gt_f32_e32 vcc, v12, v7
	v_cndmask_b32_e32 v7, v7, v12, vcc
	v_cndmask_b32_e32 v6, v6, v9, vcc
	v_cmp_gt_f32_e32 vcc, v13, v7
	v_add_u32_e32 v8, s20, v8
	v_cndmask_b32_e32 v7, v7, v13, vcc
	v_add_u32_e32 v9, s19, v9
	v_cndmask_b32_e32 v6, v6, v11, vcc
	s_andn2_b64 exec, exec, s[16:17]
	s_cbranch_execnz .LBB119_23
; %bb.24:                               ;   in Loop: Header=BB119_21 Depth=1
	s_or_b64 exec, exec, s[16:17]
	s_branch .LBB119_20
.LBB119_25:
                                        ; implicit-def: $vgpr3
                                        ; implicit-def: $vgpr2
.LBB119_26:
	v_cmp_gt_i32_e32 vcc, s9, v0
	s_and_saveexec_b64 s[0:1], vcc
	s_cbranch_execz .LBB119_29
; %bb.27:
	s_load_dword s2, s[4:5], 0x38
	s_load_dwordx2 s[0:1], s[4:5], 0x20
	s_ashr_i32 s3, s6, 31
	s_load_dword s4, s[4:5], 0x4c
	v_mov_b32_e32 v4, s13
	s_waitcnt lgkmcnt(0)
	v_mul_f32_e32 v1, s2, v3
	s_mul_i32 s1, s6, s1
	s_mul_hi_u32 s2, s6, s0
	s_add_i32 s1, s2, s1
	s_mul_i32 s3, s3, s0
	s_add_i32 s5, s1, s3
	s_mul_i32 s2, s6, s0
	s_and_b32 s3, s4, 0xffff
	s_mov_b64 s[0:1], 0
	v_mov_b32_e32 v3, s5
	v_mov_b32_e32 v5, s15
.LBB119_28:                             ; =>This Inner Loop Header: Depth=1
	v_ashrrev_i32_e32 v7, 31, v0
	v_add_co_u32_e32 v6, vcc, s2, v0
	v_addc_co_u32_e32 v7, vcc, v3, v7, vcc
	v_add_u32_e32 v0, s3, v0
	v_cmp_le_i32_e32 vcc, s9, v0
	v_lshlrev_b64 v[6:7], 2, v[6:7]
	s_or_b64 s[0:1], vcc, s[0:1]
	v_add_co_u32_e32 v8, vcc, s12, v6
	v_addc_co_u32_e32 v9, vcc, v4, v7, vcc
	v_add_co_u32_e32 v6, vcc, s14, v6
	v_addc_co_u32_e32 v7, vcc, v5, v7, vcc
	global_store_dword v[8:9], v1, off
	global_store_dword v[6:7], v2, off
	s_andn2_b64 exec, exec, s[0:1]
	s_cbranch_execnz .LBB119_28
.LBB119_29:
	s_endpgm
	.section	.rodata,"a",@progbits
	.p2align	6, 0x0
	.amdhsa_kernel _ZN5aiter19grouped_topk_kernelIN3c104HalfEDv2_fLi8ELb0ELb0ELb0EEEvPT_PKS4_PfPimiiiif
		.amdhsa_group_segment_fixed_size 0
		.amdhsa_private_segment_fixed_size 0
		.amdhsa_kernarg_size 320
		.amdhsa_user_sgpr_count 6
		.amdhsa_user_sgpr_private_segment_buffer 1
		.amdhsa_user_sgpr_dispatch_ptr 0
		.amdhsa_user_sgpr_queue_ptr 0
		.amdhsa_user_sgpr_kernarg_segment_ptr 1
		.amdhsa_user_sgpr_dispatch_id 0
		.amdhsa_user_sgpr_flat_scratch_init 0
		.amdhsa_user_sgpr_kernarg_preload_length 0
		.amdhsa_user_sgpr_kernarg_preload_offset 0
		.amdhsa_user_sgpr_private_segment_size 0
		.amdhsa_uses_dynamic_stack 0
		.amdhsa_system_sgpr_private_segment_wavefront_offset 0
		.amdhsa_system_sgpr_workgroup_id_x 1
		.amdhsa_system_sgpr_workgroup_id_y 0
		.amdhsa_system_sgpr_workgroup_id_z 0
		.amdhsa_system_sgpr_workgroup_info 0
		.amdhsa_system_vgpr_workitem_id 0
		.amdhsa_next_free_vgpr 20
		.amdhsa_next_free_sgpr 27
		.amdhsa_accum_offset 20
		.amdhsa_reserve_vcc 1
		.amdhsa_reserve_flat_scratch 0
		.amdhsa_float_round_mode_32 0
		.amdhsa_float_round_mode_16_64 0
		.amdhsa_float_denorm_mode_32 3
		.amdhsa_float_denorm_mode_16_64 3
		.amdhsa_dx10_clamp 1
		.amdhsa_ieee_mode 1
		.amdhsa_fp16_overflow 0
		.amdhsa_tg_split 0
		.amdhsa_exception_fp_ieee_invalid_op 0
		.amdhsa_exception_fp_denorm_src 0
		.amdhsa_exception_fp_ieee_div_zero 0
		.amdhsa_exception_fp_ieee_overflow 0
		.amdhsa_exception_fp_ieee_underflow 0
		.amdhsa_exception_fp_ieee_inexact 0
		.amdhsa_exception_int_div_zero 0
	.end_amdhsa_kernel
	.section	.text._ZN5aiter19grouped_topk_kernelIN3c104HalfEDv2_fLi8ELb0ELb0ELb0EEEvPT_PKS4_PfPimiiiif,"axG",@progbits,_ZN5aiter19grouped_topk_kernelIN3c104HalfEDv2_fLi8ELb0ELb0ELb0EEEvPT_PKS4_PfPimiiiif,comdat
.Lfunc_end119:
	.size	_ZN5aiter19grouped_topk_kernelIN3c104HalfEDv2_fLi8ELb0ELb0ELb0EEEvPT_PKS4_PfPimiiiif, .Lfunc_end119-_ZN5aiter19grouped_topk_kernelIN3c104HalfEDv2_fLi8ELb0ELb0ELb0EEEvPT_PKS4_PfPimiiiif
                                        ; -- End function
	.section	.AMDGPU.csdata,"",@progbits
; Kernel info:
; codeLenInByte = 1972
; NumSgprs: 31
; NumVgprs: 20
; NumAgprs: 0
; TotalNumVgprs: 20
; ScratchSize: 0
; MemoryBound: 0
; FloatMode: 240
; IeeeMode: 1
; LDSByteSize: 0 bytes/workgroup (compile time only)
; SGPRBlocks: 3
; VGPRBlocks: 2
; NumSGPRsForWavesPerEU: 31
; NumVGPRsForWavesPerEU: 20
; AccumOffset: 20
; Occupancy: 8
; WaveLimiterHint : 0
; COMPUTE_PGM_RSRC2:SCRATCH_EN: 0
; COMPUTE_PGM_RSRC2:USER_SGPR: 6
; COMPUTE_PGM_RSRC2:TRAP_HANDLER: 0
; COMPUTE_PGM_RSRC2:TGID_X_EN: 1
; COMPUTE_PGM_RSRC2:TGID_Y_EN: 0
; COMPUTE_PGM_RSRC2:TGID_Z_EN: 0
; COMPUTE_PGM_RSRC2:TIDIG_COMP_CNT: 0
; COMPUTE_PGM_RSRC3_GFX90A:ACCUM_OFFSET: 4
; COMPUTE_PGM_RSRC3_GFX90A:TG_SPLIT: 0
	.section	.text._ZN5aiter19grouped_topk_kernelIN3c108BFloat16EDv2_fLi8ELb0ELb0ELb0EEEvPT_PKS4_PfPimiiiif,"axG",@progbits,_ZN5aiter19grouped_topk_kernelIN3c108BFloat16EDv2_fLi8ELb0ELb0ELb0EEEvPT_PKS4_PfPimiiiif,comdat
	.protected	_ZN5aiter19grouped_topk_kernelIN3c108BFloat16EDv2_fLi8ELb0ELb0ELb0EEEvPT_PKS4_PfPimiiiif ; -- Begin function _ZN5aiter19grouped_topk_kernelIN3c108BFloat16EDv2_fLi8ELb0ELb0ELb0EEEvPT_PKS4_PfPimiiiif
	.globl	_ZN5aiter19grouped_topk_kernelIN3c108BFloat16EDv2_fLi8ELb0ELb0ELb0EEEvPT_PKS4_PfPimiiiif
	.p2align	8
	.type	_ZN5aiter19grouped_topk_kernelIN3c108BFloat16EDv2_fLi8ELb0ELb0ELb0EEEvPT_PKS4_PfPimiiiif,@function
_ZN5aiter19grouped_topk_kernelIN3c108BFloat16EDv2_fLi8ELb0ELb0ELb0EEEvPT_PKS4_PfPimiiiif: ; @_ZN5aiter19grouped_topk_kernelIN3c108BFloat16EDv2_fLi8ELb0ELb0ELb0EEEvPT_PKS4_PfPimiiiif
; %bb.0:
	s_load_dwordx4 s[8:11], s[4:5], 0x28
	s_load_dwordx4 s[12:15], s[4:5], 0x10
	v_lshl_add_u32 v1, v0, 3, 0
	s_waitcnt lgkmcnt(0)
	s_lshr_b32 s0, s8, 31
	s_add_i32 s0, s8, s0
	s_ashr_i32 s7, s0, 1
	v_cmp_gt_i32_e64 s[0:1], s7, v0
	s_and_saveexec_b64 s[16:17], s[0:1]
	s_cbranch_execz .LBB120_3
; %bb.1:
	s_load_dword s11, s[4:5], 0x4c
	s_load_dwordx2 s[2:3], s[4:5], 0x0
	s_mul_i32 s18, s6, s8
	s_ashr_i32 s19, s18, 31
	s_lshl_b64 s[18:19], s[18:19], 1
	s_waitcnt lgkmcnt(0)
	s_and_b32 s11, s11, 0xffff
	s_add_u32 s2, s2, s18
	v_lshlrev_b32_e32 v2, 2, v0
	s_addc_u32 s3, s3, s19
	s_mov_b32 s25, 0
	v_mov_b32_e32 v3, s3
	v_add_co_u32_e32 v2, vcc, s2, v2
	v_addc_co_u32_e32 v3, vcc, 0, v3, vcc
	s_lshl_b32 s20, s11, 2
	v_lshl_add_u32 v4, v0, 3, 0
	s_lshl_b32 s21, s11, 3
	s_mov_b64 s[18:19], 0
	s_mov_b32 s22, 0xbfb8aa3b
	s_mov_b32 s23, 0x42ce8ed0
	;; [unrolled: 1-line block ×3, first 2 shown]
	v_mov_b32_e32 v5, 0x7f800000
	v_mov_b32_e32 v6, s25
	;; [unrolled: 1-line block ×3, first 2 shown]
.LBB120_2:                              ; =>This Inner Loop Header: Depth=1
	global_load_dword v8, v[2:3], off
	v_add_co_u32_e32 v2, vcc, s20, v2
	v_add_u32_e32 v7, s11, v7
	v_addc_co_u32_e32 v3, vcc, v3, v6, vcc
	v_cmp_le_i32_e32 vcc, s7, v7
	s_or_b64 s[18:19], vcc, s[18:19]
	s_waitcnt vmcnt(0)
	v_cvt_f32_u32_sdwa v9, v8 dst_sel:DWORD dst_unused:UNUSED_PAD src0_sel:WORD_1
	v_cvt_f32_u32_sdwa v8, v8 dst_sel:DWORD dst_unused:UNUSED_PAD src0_sel:WORD_0
	v_mul_f32_e32 v10, 0xbfb8aa3b, v9
	v_mul_f32_e32 v11, 0xbfb8aa3b, v8
	v_fma_f32 v12, v9, s22, -v10
	v_rndne_f32_e32 v13, v10
	v_fma_f32 v14, v8, s22, -v11
	v_rndne_f32_e32 v15, v11
	v_fmac_f32_e32 v12, 0xb2a5705f, v9
	v_sub_f32_e32 v10, v10, v13
	v_fmac_f32_e32 v14, 0xb2a5705f, v8
	v_sub_f32_e32 v11, v11, v15
	v_add_f32_e32 v10, v10, v12
	v_add_f32_e32 v11, v11, v14
	v_cvt_i32_f32_e32 v13, v13
	v_cvt_i32_f32_e32 v15, v15
	v_exp_f32_e32 v10, v10
	v_exp_f32_e32 v11, v11
	v_cmp_nlt_f32_e32 vcc, s23, v8
	v_cmp_nlt_f32_e64 s[2:3], s23, v9
	v_ldexp_f32 v10, v10, v13
	v_ldexp_f32 v11, v11, v15
	v_cndmask_b32_e64 v10, 0, v10, s[2:3]
	v_cndmask_b32_e32 v11, 0, v11, vcc
	v_cmp_ngt_f32_e32 vcc, s24, v8
	v_cmp_ngt_f32_e64 s[2:3], s24, v9
	v_cndmask_b32_e64 v9, v5, v10, s[2:3]
	v_cndmask_b32_e32 v8, v5, v11, vcc
	v_pk_add_f32 v[8:9], v[8:9], 1.0 op_sel_hi:[1,0]
	v_div_scale_f32 v10, s[2:3], v9, v9, 1.0
	v_div_scale_f32 v12, s[2:3], v8, v8, 1.0
	v_rcp_f32_e32 v14, v10
	v_rcp_f32_e32 v15, v12
	v_div_scale_f32 v11, vcc, 1.0, v9, 1.0
	v_fma_f32 v16, -v10, v14, 1.0
	v_fma_f32 v17, -v12, v15, 1.0
	v_fmac_f32_e32 v14, v16, v14
	v_div_scale_f32 v13, s[2:3], 1.0, v8, 1.0
	v_fmac_f32_e32 v15, v17, v15
	v_mul_f32_e32 v16, v11, v14
	v_mul_f32_e32 v17, v13, v15
	v_fma_f32 v18, -v10, v16, v11
	v_fma_f32 v19, -v12, v17, v13
	v_fmac_f32_e32 v16, v18, v14
	v_fmac_f32_e32 v17, v19, v15
	v_fma_f32 v10, -v10, v16, v11
	v_fma_f32 v11, -v12, v17, v13
	v_div_fmas_f32 v10, v10, v14, v16
	s_mov_b64 vcc, s[2:3]
	v_div_fixup_f32 v9, v10, v9, 1.0
	v_div_fmas_f32 v10, v11, v15, v17
	v_div_fixup_f32 v8, v10, v8, 1.0
	ds_write_b64 v4, v[8:9]
	v_add_u32_e32 v4, s21, v4
	s_andn2_b64 exec, exec, s[18:19]
	s_cbranch_execnz .LBB120_2
.LBB120_3:
	s_or_b64 exec, exec, s[16:17]
	s_ashr_i32 s2, s8, 31
	s_lshr_b32 s2, s2, 29
	s_add_i32 s2, s8, s2
	s_ashr_i32 s11, s2, 3
	s_lshl_b32 s2, s8, 2
	s_add_i32 s22, s2, 0
	v_cmp_gt_u32_e32 vcc, 8, v0
	s_waitcnt lgkmcnt(0)
	s_barrier
	s_and_saveexec_b64 s[16:17], vcc
	s_cbranch_execz .LBB120_10
; %bb.4:
	s_load_dword s2, s[4:5], 0x4c
	v_mul_lo_u32 v2, v0, s11
	v_lshl_add_u32 v2, v2, 2, 0
	s_mov_b64 s[18:19], 0
	s_waitcnt lgkmcnt(0)
	s_and_b32 s23, s2, 0xffff
	s_cmp_gt_i32 s8, 7
	s_cselect_b64 s[2:3], -1, 0
	s_mul_i32 s8, s11, s23
	v_cndmask_b32_e64 v3, 0, 1, s[2:3]
	s_lshl_b32 s8, s8, 2
	v_cmp_ne_u32_e64 s[2:3], 1, v3
	v_mov_b32_e32 v3, v0
	s_branch .LBB120_6
.LBB120_5:                              ;   in Loop: Header=BB120_6 Depth=1
	v_lshl_add_u32 v5, v3, 2, s22
	v_add_u32_e32 v3, s23, v3
	v_cmp_lt_u32_e32 vcc, 7, v3
	s_or_b64 s[18:19], vcc, s[18:19]
	v_add_u32_e32 v2, s8, v2
	ds_write_b32 v5, v4
	s_andn2_b64 exec, exec, s[18:19]
	s_cbranch_execz .LBB120_10
.LBB120_6:                              ; =>This Loop Header: Depth=1
                                        ;     Child Loop BB120_8 Depth 2
	s_and_b64 vcc, exec, s[2:3]
	v_mov_b32_e32 v4, 0xff800000
	s_cbranch_vccnz .LBB120_5
; %bb.7:                                ;   in Loop: Header=BB120_6 Depth=1
	v_mul_lo_u32 v5, v3, s11
	v_add_u32_e32 v6, s11, v5
	s_mov_b64 s[20:21], 0
	v_mov_b32_e32 v4, 0xff800000
	v_mov_b32_e32 v7, v2
.LBB120_8:                              ;   Parent Loop BB120_6 Depth=1
                                        ; =>  This Inner Loop Header: Depth=2
	ds_read_b32 v8, v7
	v_add_u32_e32 v5, 1, v5
	v_cmp_ge_i32_e32 vcc, v5, v6
	s_or_b64 s[20:21], vcc, s[20:21]
	v_add_u32_e32 v7, 4, v7
	s_waitcnt lgkmcnt(0)
	v_cmp_gt_f32_e32 vcc, v8, v4
	v_cndmask_b32_e32 v4, v4, v8, vcc
	s_andn2_b64 exec, exec, s[20:21]
	s_cbranch_execnz .LBB120_8
; %bb.9:                                ;   in Loop: Header=BB120_6 Depth=1
	s_or_b64 exec, exec, s[20:21]
	s_branch .LBB120_5
.LBB120_10:
	s_or_b64 exec, exec, s[16:17]
	s_cmp_lt_i32 s10, 1
	s_waitcnt lgkmcnt(0)
	s_barrier
	s_cbranch_scc1 .LBB120_13
; %bb.11:
	v_mov_b32_e32 v2, s22
	s_mov_b32 s2, 0xff800000
	v_mov_b32_e32 v3, 0xff800000
.LBB120_12:                             ; =>This Inner Loop Header: Depth=1
	ds_read2_b32 v[4:5], v2 offset1:1
	ds_read2_b32 v[6:7], v2 offset0:2 offset1:3
	ds_read2_b32 v[8:9], v2 offset0:4 offset1:5
	;; [unrolled: 1-line block ×3, first 2 shown]
	s_waitcnt lgkmcnt(3)
	v_cmp_nlg_f32_e32 vcc, s2, v4
	v_cndmask_b32_e64 v12, 0, 1, vcc
	v_cmp_lg_f32_e32 vcc, s2, v4
	v_cndmask_b32_e32 v4, v3, v4, vcc
	v_readfirstlane_b32 s3, v12
	v_cmp_gt_f32_e32 vcc, v5, v4
	s_lshl_b32 s3, s3, 3
	v_cndmask_b32_e32 v4, v4, v5, vcc
	s_and_b64 s[16:17], vcc, exec
	s_waitcnt lgkmcnt(2)
	v_cmp_gt_f32_e32 vcc, v6, v4
	v_cndmask_b32_e32 v4, v4, v6, vcc
	s_cselect_b32 s3, 1, s3
	s_and_b64 s[16:17], vcc, exec
	v_cmp_gt_f32_e32 vcc, v7, v4
	v_cndmask_b32_e32 v4, v4, v7, vcc
	s_cselect_b32 s3, 2, s3
	s_and_b64 s[16:17], vcc, exec
	s_waitcnt lgkmcnt(1)
	v_cmp_gt_f32_e32 vcc, v8, v4
	v_cndmask_b32_e32 v4, v4, v8, vcc
	s_cselect_b32 s3, 3, s3
	s_and_b64 s[16:17], vcc, exec
	v_cmp_gt_f32_e32 vcc, v9, v4
	v_cndmask_b32_e32 v4, v4, v9, vcc
	s_cselect_b32 s3, 4, s3
	s_and_b64 s[16:17], vcc, exec
	s_waitcnt lgkmcnt(0)
	v_cmp_gt_f32_e32 vcc, v10, v4
	v_cndmask_b32_e32 v4, v4, v10, vcc
	s_cselect_b32 s3, 5, s3
	s_and_b64 s[16:17], vcc, exec
	v_cmp_ngt_f32_e32 vcc, v11, v4
	s_cselect_b32 s3, 6, s3
	s_and_b64 s[16:17], vcc, exec
	s_cselect_b32 s3, s3, 7
	s_lshl_b32 s3, s3, 2
	s_add_i32 s3, s22, s3
	s_add_i32 s10, s10, -1
	v_mov_b32_e32 v4, s3
	s_cmp_lg_u32 s10, 0
	ds_write_b32 v4, v3
	s_cbranch_scc1 .LBB120_12
.LBB120_13:
	v_lshlrev_b32_e32 v4, 1, v0
	s_and_saveexec_b64 s[2:3], s[0:1]
	s_cbranch_execz .LBB120_18
; %bb.14:
	s_abs_i32 s8, s11
	v_cvt_f32_u32_e32 v2, s8
	s_load_dword s16, s[4:5], 0x4c
	s_sub_i32 s17, 0, s8
	s_ashr_i32 s18, s11, 31
	v_rcp_iflag_f32_e32 v2, v2
	v_lshlrev_b32_e32 v5, 1, v0
	s_waitcnt lgkmcnt(0)
	s_and_b32 s19, s16, 0xffff
	v_lshl_add_u32 v6, v0, 3, 0
	v_mul_f32_e32 v2, 0x4f7ffffe, v2
	v_cvt_u32_f32_e32 v2, v2
	s_mov_b64 s[10:11], 0
	s_lshl_b32 s20, s19, 1
	s_lshl_b32 s21, s19, 3
	v_mul_lo_u32 v3, s17, v2
	v_mul_hi_u32 v3, v2, v3
	v_add_u32_e32 v7, v2, v3
	s_mov_b32 s23, 0xff800000
	v_mov_b32_e32 v2, 0xff800000
	v_mov_b32_e32 v8, v0
	s_branch .LBB120_16
.LBB120_15:                             ;   in Loop: Header=BB120_16 Depth=1
	s_or_b64 exec, exec, s[16:17]
	v_add_u32_e32 v8, s19, v8
	v_cmp_le_i32_e32 vcc, s7, v8
	v_add_u32_e32 v5, s20, v5
	s_or_b64 s[10:11], vcc, s[10:11]
	v_add_u32_e32 v6, s21, v6
	s_andn2_b64 exec, exec, s[10:11]
	s_cbranch_execz .LBB120_18
.LBB120_16:                             ; =>This Inner Loop Header: Depth=1
	v_mul_hi_u32 v3, v5, v7
	v_mul_lo_u32 v9, v3, s8
	v_sub_u32_e32 v9, v5, v9
	v_add_u32_e32 v10, 1, v3
	v_cmp_le_u32_e32 vcc, s8, v9
	v_cndmask_b32_e32 v3, v3, v10, vcc
	v_subrev_u32_e32 v10, s8, v9
	v_cndmask_b32_e32 v9, v9, v10, vcc
	v_add_u32_e32 v10, 1, v3
	v_cmp_le_u32_e32 vcc, s8, v9
	v_cndmask_b32_e32 v3, v3, v10, vcc
	v_xor_b32_e32 v3, s18, v3
	v_subrev_u32_e32 v3, s18, v3
	v_lshl_add_u32 v3, v3, 2, s22
	ds_read_b32 v3, v3
	s_waitcnt lgkmcnt(0)
	v_cmp_neq_f32_e32 vcc, s23, v3
	s_and_saveexec_b64 s[16:17], vcc
	s_cbranch_execz .LBB120_15
; %bb.17:                               ;   in Loop: Header=BB120_16 Depth=1
	v_mov_b32_e32 v3, v2
	ds_write_b64 v6, v[2:3]
	s_branch .LBB120_15
.LBB120_18:
	s_or_b64 exec, exec, s[2:3]
	s_cmp_lt_i32 s9, 1
	s_waitcnt lgkmcnt(0)
	s_barrier
	s_cbranch_scc1 .LBB120_25
; %bb.19:
	s_add_u32 s2, s4, 64
	s_addc_u32 s3, s5, 0
	s_mov_b32 s8, 0
	v_mov_b32_e32 v5, 0xff800000
                                        ; implicit-def: $vgpr3
                                        ; implicit-def: $vgpr2
	s_branch .LBB120_21
.LBB120_20:                             ;   in Loop: Header=BB120_21 Depth=1
	s_or_b64 exec, exec, s[10:11]
	v_mov_b32_dpp v9, v7 quad_perm:[1,0,3,2] row_mask:0xf bank_mask:0xf
	v_cmp_lt_f32_e32 vcc, v7, v9
	v_cndmask_b32_e32 v7, v7, v9, vcc
	v_mov_b32_dpp v8, v6 quad_perm:[1,0,3,2] row_mask:0xf bank_mask:0xf
	v_cndmask_b32_e32 v6, v6, v8, vcc
	v_mov_b32_dpp v9, v7 quad_perm:[2,3,0,1] row_mask:0xf bank_mask:0xf
	v_cmp_gt_f32_e32 vcc, v9, v7
	v_cndmask_b32_e32 v7, v7, v9, vcc
	v_mov_b32_dpp v8, v6 quad_perm:[2,3,0,1] row_mask:0xf bank_mask:0xf
	v_cndmask_b32_e32 v6, v6, v8, vcc
	v_mov_b32_dpp v9, v7 row_half_mirror row_mask:0xf bank_mask:0xf
	v_cmp_gt_f32_e32 vcc, v9, v7
	v_cndmask_b32_e32 v7, v7, v9, vcc
	v_mov_b32_dpp v8, v6 row_half_mirror row_mask:0xf bank_mask:0xf
	v_cndmask_b32_e32 v6, v6, v8, vcc
	v_mov_b32_dpp v9, v7 row_mirror row_mask:0xf bank_mask:0xf
	v_cmp_gt_f32_e32 vcc, v9, v7
	v_cndmask_b32_e32 v7, v7, v9, vcc
	v_mov_b32_dpp v8, v6 row_mirror row_mask:0xf bank_mask:0xf
	v_cndmask_b32_e32 v6, v6, v8, vcc
	v_mov_b32_dpp v9, v7 row_bcast:15 row_mask:0xf bank_mask:0xf
	v_cmp_gt_f32_e32 vcc, v9, v7
	v_mov_b32_dpp v8, v6 row_bcast:15 row_mask:0xf bank_mask:0xf
	v_cndmask_b32_e32 v7, v7, v9, vcc
	v_cndmask_b32_e32 v6, v6, v8, vcc
	s_nop 0
	v_mov_b32_dpp v9, v7 row_bcast:31 row_mask:0xf bank_mask:0xf
	v_mov_b32_dpp v8, v6 row_bcast:31 row_mask:0xf bank_mask:0xf
	v_cmp_gt_f32_e32 vcc, v9, v7
	v_cndmask_b32_e32 v6, v6, v8, vcc
	v_readlane_b32 s11, v6, 63
	s_lshl_b32 s16, s11, 2
	s_add_i32 s16, s16, 0
	v_cndmask_b32_e32 v7, v7, v9, vcc
	v_mov_b32_e32 v6, s16
	v_readlane_b32 s10, v7, 63
	ds_write_b32 v6, v5
	v_mov_b32_e32 v6, s11
	v_cmp_eq_u32_e32 vcc, s8, v0
	v_cndmask_b32_e32 v2, v2, v6, vcc
	v_mov_b32_e32 v6, s10
	s_add_i32 s8, s8, 1
	s_cmp_eq_u32 s8, s9
	v_cndmask_b32_e32 v3, v3, v6, vcc
	s_cbranch_scc1 .LBB120_26
.LBB120_21:                             ; =>This Loop Header: Depth=1
                                        ;     Child Loop BB120_23 Depth 2
	v_mov_b32_e32 v6, s8
	v_mov_b32_e32 v7, 0xff800000
	s_and_saveexec_b64 s[10:11], s[0:1]
	s_cbranch_execz .LBB120_20
; %bb.22:                               ;   in Loop: Header=BB120_21 Depth=1
	s_load_dword s18, s[2:3], 0xc
	s_mov_b64 s[16:17], 0
	v_mov_b32_e32 v6, s8
	v_mov_b32_e32 v7, 0xff800000
	;; [unrolled: 1-line block ×3, first 2 shown]
	s_waitcnt lgkmcnt(0)
	s_and_b32 s18, s18, 0xffff
	s_lshl_b32 s19, s18, 1
	s_lshl_b32 s20, s18, 3
	v_mov_b32_e32 v9, v4
	v_mov_b32_e32 v10, v0
.LBB120_23:                             ;   Parent Loop BB120_21 Depth=1
                                        ; =>  This Inner Loop Header: Depth=2
	ds_read_b64 v[12:13], v8
	v_add_u32_e32 v10, s18, v10
	v_cmp_le_i32_e32 vcc, s7, v10
	s_or_b64 s[16:17], vcc, s[16:17]
	v_add_u32_e32 v11, 1, v9
	s_waitcnt lgkmcnt(0)
	v_cmp_gt_f32_e32 vcc, v12, v7
	v_cndmask_b32_e32 v7, v7, v12, vcc
	v_cndmask_b32_e32 v6, v6, v9, vcc
	v_cmp_gt_f32_e32 vcc, v13, v7
	v_add_u32_e32 v8, s20, v8
	v_cndmask_b32_e32 v7, v7, v13, vcc
	v_add_u32_e32 v9, s19, v9
	v_cndmask_b32_e32 v6, v6, v11, vcc
	s_andn2_b64 exec, exec, s[16:17]
	s_cbranch_execnz .LBB120_23
; %bb.24:                               ;   in Loop: Header=BB120_21 Depth=1
	s_or_b64 exec, exec, s[16:17]
	s_branch .LBB120_20
.LBB120_25:
                                        ; implicit-def: $vgpr3
                                        ; implicit-def: $vgpr2
.LBB120_26:
	v_cmp_gt_i32_e32 vcc, s9, v0
	s_and_saveexec_b64 s[0:1], vcc
	s_cbranch_execz .LBB120_29
; %bb.27:
	s_load_dword s2, s[4:5], 0x38
	s_load_dwordx2 s[0:1], s[4:5], 0x20
	s_ashr_i32 s3, s6, 31
	s_load_dword s4, s[4:5], 0x4c
	v_mov_b32_e32 v4, s13
	s_waitcnt lgkmcnt(0)
	v_mul_f32_e32 v1, s2, v3
	s_mul_i32 s1, s6, s1
	s_mul_hi_u32 s2, s6, s0
	s_add_i32 s1, s2, s1
	s_mul_i32 s3, s3, s0
	s_add_i32 s5, s1, s3
	s_mul_i32 s2, s6, s0
	s_and_b32 s3, s4, 0xffff
	s_mov_b64 s[0:1], 0
	v_mov_b32_e32 v3, s5
	v_mov_b32_e32 v5, s15
.LBB120_28:                             ; =>This Inner Loop Header: Depth=1
	v_ashrrev_i32_e32 v7, 31, v0
	v_add_co_u32_e32 v6, vcc, s2, v0
	v_addc_co_u32_e32 v7, vcc, v3, v7, vcc
	v_add_u32_e32 v0, s3, v0
	v_cmp_le_i32_e32 vcc, s9, v0
	v_lshlrev_b64 v[6:7], 2, v[6:7]
	s_or_b64 s[0:1], vcc, s[0:1]
	v_add_co_u32_e32 v8, vcc, s12, v6
	v_addc_co_u32_e32 v9, vcc, v4, v7, vcc
	v_add_co_u32_e32 v6, vcc, s14, v6
	v_addc_co_u32_e32 v7, vcc, v5, v7, vcc
	global_store_dword v[8:9], v1, off
	global_store_dword v[6:7], v2, off
	s_andn2_b64 exec, exec, s[0:1]
	s_cbranch_execnz .LBB120_28
.LBB120_29:
	s_endpgm
	.section	.rodata,"a",@progbits
	.p2align	6, 0x0
	.amdhsa_kernel _ZN5aiter19grouped_topk_kernelIN3c108BFloat16EDv2_fLi8ELb0ELb0ELb0EEEvPT_PKS4_PfPimiiiif
		.amdhsa_group_segment_fixed_size 0
		.amdhsa_private_segment_fixed_size 0
		.amdhsa_kernarg_size 320
		.amdhsa_user_sgpr_count 6
		.amdhsa_user_sgpr_private_segment_buffer 1
		.amdhsa_user_sgpr_dispatch_ptr 0
		.amdhsa_user_sgpr_queue_ptr 0
		.amdhsa_user_sgpr_kernarg_segment_ptr 1
		.amdhsa_user_sgpr_dispatch_id 0
		.amdhsa_user_sgpr_flat_scratch_init 0
		.amdhsa_user_sgpr_kernarg_preload_length 0
		.amdhsa_user_sgpr_kernarg_preload_offset 0
		.amdhsa_user_sgpr_private_segment_size 0
		.amdhsa_uses_dynamic_stack 0
		.amdhsa_system_sgpr_private_segment_wavefront_offset 0
		.amdhsa_system_sgpr_workgroup_id_x 1
		.amdhsa_system_sgpr_workgroup_id_y 0
		.amdhsa_system_sgpr_workgroup_id_z 0
		.amdhsa_system_sgpr_workgroup_info 0
		.amdhsa_system_vgpr_workitem_id 0
		.amdhsa_next_free_vgpr 20
		.amdhsa_next_free_sgpr 26
		.amdhsa_accum_offset 20
		.amdhsa_reserve_vcc 1
		.amdhsa_reserve_flat_scratch 0
		.amdhsa_float_round_mode_32 0
		.amdhsa_float_round_mode_16_64 0
		.amdhsa_float_denorm_mode_32 3
		.amdhsa_float_denorm_mode_16_64 3
		.amdhsa_dx10_clamp 1
		.amdhsa_ieee_mode 1
		.amdhsa_fp16_overflow 0
		.amdhsa_tg_split 0
		.amdhsa_exception_fp_ieee_invalid_op 0
		.amdhsa_exception_fp_denorm_src 0
		.amdhsa_exception_fp_ieee_div_zero 0
		.amdhsa_exception_fp_ieee_overflow 0
		.amdhsa_exception_fp_ieee_underflow 0
		.amdhsa_exception_fp_ieee_inexact 0
		.amdhsa_exception_int_div_zero 0
	.end_amdhsa_kernel
	.section	.text._ZN5aiter19grouped_topk_kernelIN3c108BFloat16EDv2_fLi8ELb0ELb0ELb0EEEvPT_PKS4_PfPimiiiif,"axG",@progbits,_ZN5aiter19grouped_topk_kernelIN3c108BFloat16EDv2_fLi8ELb0ELb0ELb0EEEvPT_PKS4_PfPimiiiif,comdat
.Lfunc_end120:
	.size	_ZN5aiter19grouped_topk_kernelIN3c108BFloat16EDv2_fLi8ELb0ELb0ELb0EEEvPT_PKS4_PfPimiiiif, .Lfunc_end120-_ZN5aiter19grouped_topk_kernelIN3c108BFloat16EDv2_fLi8ELb0ELb0ELb0EEEvPT_PKS4_PfPimiiiif
                                        ; -- End function
	.section	.AMDGPU.csdata,"",@progbits
; Kernel info:
; codeLenInByte = 1964
; NumSgprs: 30
; NumVgprs: 20
; NumAgprs: 0
; TotalNumVgprs: 20
; ScratchSize: 0
; MemoryBound: 0
; FloatMode: 240
; IeeeMode: 1
; LDSByteSize: 0 bytes/workgroup (compile time only)
; SGPRBlocks: 3
; VGPRBlocks: 2
; NumSGPRsForWavesPerEU: 30
; NumVGPRsForWavesPerEU: 20
; AccumOffset: 20
; Occupancy: 8
; WaveLimiterHint : 0
; COMPUTE_PGM_RSRC2:SCRATCH_EN: 0
; COMPUTE_PGM_RSRC2:USER_SGPR: 6
; COMPUTE_PGM_RSRC2:TRAP_HANDLER: 0
; COMPUTE_PGM_RSRC2:TGID_X_EN: 1
; COMPUTE_PGM_RSRC2:TGID_Y_EN: 0
; COMPUTE_PGM_RSRC2:TGID_Z_EN: 0
; COMPUTE_PGM_RSRC2:TIDIG_COMP_CNT: 0
; COMPUTE_PGM_RSRC3_GFX90A:ACCUM_OFFSET: 4
; COMPUTE_PGM_RSRC3_GFX90A:TG_SPLIT: 0
	.section	.text._ZN5aiter28grouped_topk_opt_sort_kernelIfDv2_fLi4ELb1ELb1ELb0EEEvPT_PKS2_PfPimiiiif,"axG",@progbits,_ZN5aiter28grouped_topk_opt_sort_kernelIfDv2_fLi4ELb1ELb1ELb0EEEvPT_PKS2_PfPimiiiif,comdat
	.protected	_ZN5aiter28grouped_topk_opt_sort_kernelIfDv2_fLi4ELb1ELb1ELb0EEEvPT_PKS2_PfPimiiiif ; -- Begin function _ZN5aiter28grouped_topk_opt_sort_kernelIfDv2_fLi4ELb1ELb1ELb0EEEvPT_PKS2_PfPimiiiif
	.globl	_ZN5aiter28grouped_topk_opt_sort_kernelIfDv2_fLi4ELb1ELb1ELb0EEEvPT_PKS2_PfPimiiiif
	.p2align	8
	.type	_ZN5aiter28grouped_topk_opt_sort_kernelIfDv2_fLi4ELb1ELb1ELb0EEEvPT_PKS2_PfPimiiiif,@function
_ZN5aiter28grouped_topk_opt_sort_kernelIfDv2_fLi4ELb1ELb1ELb0EEEvPT_PKS2_PfPimiiiif: ; @_ZN5aiter28grouped_topk_opt_sort_kernelIfDv2_fLi4ELb1ELb1ELb0EEEvPT_PKS2_PfPimiiiif
; %bb.0:
	s_load_dword s7, s[4:5], 0x28
	s_load_dwordx4 s[0:3], s[4:5], 0x0
	s_load_dword s8, s[4:5], 0x30
	v_lshlrev_b32_e32 v1, 3, v0
	v_mbcnt_lo_u32_b32 v6, -1, 0
	s_waitcnt lgkmcnt(0)
	s_mul_i32 s4, s6, s7
	s_ashr_i32 s5, s4, 31
	s_lshl_b64 s[4:5], s[4:5], 2
	s_add_u32 s0, s0, s4
	s_addc_u32 s1, s1, s5
	global_load_dwordx2 v[2:3], v1, s[0:1]
	global_load_dwordx2 v[4:5], v1, s[2:3]
	s_mov_b32 s0, 0x652b82fe
	v_mbcnt_hi_u32_b32 v6, -1, v6
	v_lshrrev_b32_e32 v7, 1, v0
	s_mov_b32 s1, 0xbff71547
	v_and_b32_e32 v15, 64, v6
	v_xor_b32_e32 v16, v7, v0
	v_and_b32_e32 v13, 2, v0
	s_mov_b32 s2, 0xc2fc0000
	v_mov_b32_e32 v10, 0xff800000
	v_mov_b32_e32 v11, 0x7f800000
	v_cmp_eq_u32_e32 vcc, 0, v13
	v_mov_b32_e32 v8, 0x42800000
	v_cndmask_b32_e32 v13, v10, v11, vcc
	v_mov_b32_e32 v9, 0x1f800000
	v_and_b32_e32 v14, 1, v0
	s_mov_b32 s3, 0xff800000
	v_lshlrev_b32_e32 v12, 4, v0
	v_add_u32_e32 v1, 0, v1
	s_waitcnt vmcnt(1)
	v_cvt_f64_f32_e32 v[6:7], v2
	v_cvt_f64_f32_e32 v[2:3], v3
	v_mul_f64 v[6:7], v[6:7], s[0:1]
	v_mul_f64 v[2:3], v[2:3], s[0:1]
	v_cvt_f32_f64_e32 v6, v[6:7]
	v_cvt_f32_f64_e32 v2, v[2:3]
	v_cmp_gt_f32_e32 vcc, s2, v6
	v_cmp_gt_f32_e64 s[0:1], s2, v2
	v_cndmask_b32_e32 v3, 0, v8, vcc
	v_cndmask_b32_e64 v7, 0, v8, s[0:1]
	v_add_f32_e32 v3, v6, v3
	v_add_f32_e32 v2, v2, v7
	v_exp_f32_e32 v3, v3
	v_exp_f32_e32 v2, v2
	v_cndmask_b32_e32 v6, 1.0, v9, vcc
	v_cndmask_b32_e64 v7, 1.0, v9, s[0:1]
	v_fma_f32 v3, v3, v6, 1.0
	v_fma_f32 v6, v2, v7, 1.0
	v_rcp_f32_e32 v2, v3
	v_rcp_f32_e32 v3, v6
	v_cmp_eq_u32_e32 vcc, 0, v14
	v_cndmask_b32_e32 v6, v10, v11, vcc
	v_and_or_b32 v7, v12, 48, v15
	s_waitcnt vmcnt(0)
	v_pk_add_f32 v[2:3], v[4:5], v[2:3]
	v_cmp_o_f32_e32 vcc, v3, v3
	v_cndmask_b32_e32 v3, v10, v3, vcc
	v_cmp_o_f32_e32 vcc, v2, v2
	v_cndmask_b32_e32 v2, v10, v2, vcc
	v_med3_f32 v4, v3, v2, s3
	v_max_f32_e32 v5, v3, v2
	v_lshlrev_b32_e32 v7, 2, v7
	v_add_f32_e32 v4, v5, v4
	ds_bpermute_b32 v4, v7, v4
	v_and_b32_e32 v5, 1, v16
	v_cmp_eq_u32_e32 vcc, 0, v5
	v_cndmask_b32_e32 v5, v10, v11, vcc
	v_lshlrev_b32_e32 v7, 2, v15
	s_waitcnt lgkmcnt(0)
	v_mov_b32_dpp v8, v4 quad_perm:[1,0,3,2] row_mask:0xf bank_mask:0xf bound_ctrl:1
	v_med3_f32 v5, v4, v8, v5
	ds_write_b64 v1, v[2:3]
	s_nop 0
	v_mov_b32_dpp v8, v5 quad_perm:[2,3,0,1] row_mask:0xf bank_mask:0xf bound_ctrl:1
	v_med3_f32 v5, v5, v8, v13
	s_nop 1
	v_mov_b32_dpp v8, v5 quad_perm:[1,0,3,2] row_mask:0xf bank_mask:0xf bound_ctrl:1
	v_med3_f32 v5, v5, v8, v6
	ds_bpermute_b32 v5, v7, v5 offset:12
	s_waitcnt lgkmcnt(0)
	v_cmp_gt_f32_e32 vcc, v4, v5
	v_cndmask_b32_e64 v1, 0, 1, vcc
	v_cmp_eq_f32_e64 s[0:1], v4, v5
	v_cndmask_b32_e64 v2, 0, 1, s[0:1]
	v_mov_b32_dpp v1, v1 row_shr:1 row_mask:0xf bank_mask:0xf bound_ctrl:1
	v_addc_co_u32_e64 v3, s[4:5], 0, v1, vcc
	v_mov_b32_dpp v2, v2 row_shr:1 row_mask:0xf bank_mask:0xf bound_ctrl:1
	s_nop 0
	v_mov_b32_dpp v3, v3 row_shr:2 row_mask:0xf bank_mask:0xf bound_ctrl:1
	v_cmp_ge_f32_e64 s[2:3], v4, v5
	v_addc_co_u32_e64 v4, s[4:5], 0, v2, s[0:1]
	v_addc_co_u32_e32 v1, vcc, v3, v1, vcc
	v_readlane_b32 s4, v1, 3
	v_mov_b32_e32 v3, s4
	v_addc_co_u32_e64 v2, vcc, v3, v2, s[0:1]
	s_nop 1
	v_add_u32_dpp v2, v4, v2 row_shr:2 row_mask:0xf bank_mask:0xf bound_ctrl:1
	v_cndmask_b32_e64 v1, v1, v2, s[0:1]
	v_cmp_ge_i32_e32 vcc, s8, v1
	s_and_b64 s[0:1], s[2:3], vcc
	v_cmp_gt_u32_e32 vcc, 4, v0
	s_and_b64 s[2:3], vcc, s[0:1]
	s_and_saveexec_b64 s[0:1], s[2:3]
	s_cbranch_execz .LBB121_2
; %bb.1:
	s_lshl_b32 s2, s7, 2
	s_add_i32 s2, s2, 0
	v_lshl_add_u32 v1, v1, 2, s2
	ds_write_b32 v1, v0 offset:12
.LBB121_2:
	s_or_b64 exec, exec, s[0:1]
	s_waitcnt lgkmcnt(0)
	s_barrier
	s_endpgm
	.section	.rodata,"a",@progbits
	.p2align	6, 0x0
	.amdhsa_kernel _ZN5aiter28grouped_topk_opt_sort_kernelIfDv2_fLi4ELb1ELb1ELb0EEEvPT_PKS2_PfPimiiiif
		.amdhsa_group_segment_fixed_size 0
		.amdhsa_private_segment_fixed_size 0
		.amdhsa_kernarg_size 60
		.amdhsa_user_sgpr_count 6
		.amdhsa_user_sgpr_private_segment_buffer 1
		.amdhsa_user_sgpr_dispatch_ptr 0
		.amdhsa_user_sgpr_queue_ptr 0
		.amdhsa_user_sgpr_kernarg_segment_ptr 1
		.amdhsa_user_sgpr_dispatch_id 0
		.amdhsa_user_sgpr_flat_scratch_init 0
		.amdhsa_user_sgpr_kernarg_preload_length 0
		.amdhsa_user_sgpr_kernarg_preload_offset 0
		.amdhsa_user_sgpr_private_segment_size 0
		.amdhsa_uses_dynamic_stack 0
		.amdhsa_system_sgpr_private_segment_wavefront_offset 0
		.amdhsa_system_sgpr_workgroup_id_x 1
		.amdhsa_system_sgpr_workgroup_id_y 0
		.amdhsa_system_sgpr_workgroup_id_z 0
		.amdhsa_system_sgpr_workgroup_info 0
		.amdhsa_system_vgpr_workitem_id 0
		.amdhsa_next_free_vgpr 17
		.amdhsa_next_free_sgpr 9
		.amdhsa_accum_offset 20
		.amdhsa_reserve_vcc 1
		.amdhsa_reserve_flat_scratch 0
		.amdhsa_float_round_mode_32 0
		.amdhsa_float_round_mode_16_64 0
		.amdhsa_float_denorm_mode_32 3
		.amdhsa_float_denorm_mode_16_64 3
		.amdhsa_dx10_clamp 1
		.amdhsa_ieee_mode 1
		.amdhsa_fp16_overflow 0
		.amdhsa_tg_split 0
		.amdhsa_exception_fp_ieee_invalid_op 0
		.amdhsa_exception_fp_denorm_src 0
		.amdhsa_exception_fp_ieee_div_zero 0
		.amdhsa_exception_fp_ieee_overflow 0
		.amdhsa_exception_fp_ieee_underflow 0
		.amdhsa_exception_fp_ieee_inexact 0
		.amdhsa_exception_int_div_zero 0
	.end_amdhsa_kernel
	.section	.text._ZN5aiter28grouped_topk_opt_sort_kernelIfDv2_fLi4ELb1ELb1ELb0EEEvPT_PKS2_PfPimiiiif,"axG",@progbits,_ZN5aiter28grouped_topk_opt_sort_kernelIfDv2_fLi4ELb1ELb1ELb0EEEvPT_PKS2_PfPimiiiif,comdat
.Lfunc_end121:
	.size	_ZN5aiter28grouped_topk_opt_sort_kernelIfDv2_fLi4ELb1ELb1ELb0EEEvPT_PKS2_PfPimiiiif, .Lfunc_end121-_ZN5aiter28grouped_topk_opt_sort_kernelIfDv2_fLi4ELb1ELb1ELb0EEEvPT_PKS2_PfPimiiiif
                                        ; -- End function
	.section	.AMDGPU.csdata,"",@progbits
; Kernel info:
; codeLenInByte = 652
; NumSgprs: 13
; NumVgprs: 17
; NumAgprs: 0
; TotalNumVgprs: 17
; ScratchSize: 0
; MemoryBound: 0
; FloatMode: 240
; IeeeMode: 1
; LDSByteSize: 0 bytes/workgroup (compile time only)
; SGPRBlocks: 1
; VGPRBlocks: 2
; NumSGPRsForWavesPerEU: 13
; NumVGPRsForWavesPerEU: 17
; AccumOffset: 20
; Occupancy: 8
; WaveLimiterHint : 0
; COMPUTE_PGM_RSRC2:SCRATCH_EN: 0
; COMPUTE_PGM_RSRC2:USER_SGPR: 6
; COMPUTE_PGM_RSRC2:TRAP_HANDLER: 0
; COMPUTE_PGM_RSRC2:TGID_X_EN: 1
; COMPUTE_PGM_RSRC2:TGID_Y_EN: 0
; COMPUTE_PGM_RSRC2:TGID_Z_EN: 0
; COMPUTE_PGM_RSRC2:TIDIG_COMP_CNT: 0
; COMPUTE_PGM_RSRC3_GFX90A:ACCUM_OFFSET: 4
; COMPUTE_PGM_RSRC3_GFX90A:TG_SPLIT: 0
	.section	.text._ZN5aiter28grouped_topk_opt_sort_kernelIN3c104HalfEDv2_fLi4ELb1ELb1ELb0EEEvPT_PKS4_PfPimiiiif,"axG",@progbits,_ZN5aiter28grouped_topk_opt_sort_kernelIN3c104HalfEDv2_fLi4ELb1ELb1ELb0EEEvPT_PKS4_PfPimiiiif,comdat
	.protected	_ZN5aiter28grouped_topk_opt_sort_kernelIN3c104HalfEDv2_fLi4ELb1ELb1ELb0EEEvPT_PKS4_PfPimiiiif ; -- Begin function _ZN5aiter28grouped_topk_opt_sort_kernelIN3c104HalfEDv2_fLi4ELb1ELb1ELb0EEEvPT_PKS4_PfPimiiiif
	.globl	_ZN5aiter28grouped_topk_opt_sort_kernelIN3c104HalfEDv2_fLi4ELb1ELb1ELb0EEEvPT_PKS4_PfPimiiiif
	.p2align	8
	.type	_ZN5aiter28grouped_topk_opt_sort_kernelIN3c104HalfEDv2_fLi4ELb1ELb1ELb0EEEvPT_PKS4_PfPimiiiif,@function
_ZN5aiter28grouped_topk_opt_sort_kernelIN3c104HalfEDv2_fLi4ELb1ELb1ELb0EEEvPT_PKS4_PfPimiiiif: ; @_ZN5aiter28grouped_topk_opt_sort_kernelIN3c104HalfEDv2_fLi4ELb1ELb1ELb0EEEvPT_PKS4_PfPimiiiif
; %bb.0:
	s_load_dword s7, s[4:5], 0x28
	s_load_dwordx4 s[0:3], s[4:5], 0x0
	s_load_dword s8, s[4:5], 0x30
	v_lshlrev_b32_e32 v1, 2, v0
	v_mbcnt_lo_u32_b32 v4, -1, 0
	s_waitcnt lgkmcnt(0)
	s_mul_i32 s4, s6, s7
	s_ashr_i32 s5, s4, 31
	s_lshl_b64 s[4:5], s[4:5], 1
	s_add_u32 s0, s0, s4
	s_addc_u32 s1, s1, s5
	global_load_dword v2, v1, s[0:1]
	global_load_dword v3, v1, s[2:3]
	v_mbcnt_hi_u32_b32 v4, -1, v4
	v_and_b32_e32 v6, 2, v0
	v_and_b32_e32 v13, 64, v4
	v_cmp_eq_u32_e32 vcc, 0, v6
	s_mov_b32 s0, 0x652b82fe
	v_lshrrev_b32_e32 v5, 1, v0
	s_mov_b32 s1, 0xbff71547
	v_xor_b32_e32 v14, v5, v0
	s_mov_b32 s2, 0xc2fc0000
	v_mov_b32_e32 v9, 0xff800000
	v_mov_b32_e32 v10, 0x7f800000
	;; [unrolled: 1-line block ×3, first 2 shown]
	v_cndmask_b32_e32 v15, v9, v10, vcc
	v_mov_b32_e32 v8, 0x1f800000
	v_and_b32_e32 v12, 1, v0
	s_mov_b32 s3, 0xff800000
	v_lshlrev_b32_e32 v11, 4, v0
	s_waitcnt vmcnt(1)
	v_cvt_f32_f16_e32 v4, v2
	v_cvt_f32_f16_sdwa v6, v2 dst_sel:DWORD dst_unused:UNUSED_PAD src0_sel:WORD_1
	s_waitcnt vmcnt(0)
	v_cvt_f32_f16_e32 v2, v3
	v_cvt_f32_f16_sdwa v3, v3 dst_sel:DWORD dst_unused:UNUSED_PAD src0_sel:WORD_1
	v_cvt_f64_f32_e32 v[4:5], v4
	v_cvt_f64_f32_e32 v[6:7], v6
	v_mul_f64 v[4:5], v[4:5], s[0:1]
	v_mul_f64 v[6:7], v[6:7], s[0:1]
	v_cvt_f32_f64_e32 v4, v[4:5]
	v_cvt_f32_f64_e32 v5, v[6:7]
	v_cmp_gt_f32_e32 vcc, s2, v4
	v_cmp_gt_f32_e64 s[0:1], s2, v5
	v_cndmask_b32_e32 v6, 0, v1, vcc
	v_cndmask_b32_e64 v1, 0, v1, s[0:1]
	v_add_f32_e32 v4, v4, v6
	v_add_f32_e32 v1, v5, v1
	v_exp_f32_e32 v4, v4
	v_exp_f32_e32 v1, v1
	v_cndmask_b32_e32 v5, 1.0, v8, vcc
	v_cndmask_b32_e64 v6, 1.0, v8, s[0:1]
	v_fma_f32 v4, v4, v5, 1.0
	v_fma_f32 v1, v1, v6, 1.0
	v_rcp_f32_e32 v4, v4
	v_rcp_f32_e32 v5, v1
	v_cmp_eq_u32_e32 vcc, 0, v12
	v_cndmask_b32_e32 v1, v9, v10, vcc
	v_and_or_b32 v6, v11, 48, v13
	v_pk_add_f32 v[2:3], v[4:5], v[2:3]
	v_cmp_o_f32_e32 vcc, v3, v3
	v_cndmask_b32_e32 v3, v9, v3, vcc
	v_cmp_o_f32_e32 vcc, v2, v2
	v_cndmask_b32_e32 v2, v9, v2, vcc
	v_med3_f32 v4, v3, v2, s3
	v_max_f32_e32 v5, v3, v2
	v_lshlrev_b32_e32 v6, 2, v6
	v_add_f32_e32 v4, v5, v4
	ds_bpermute_b32 v4, v6, v4
	v_and_b32_e32 v5, 1, v14
	v_cmp_eq_u32_e32 vcc, 0, v5
	v_cndmask_b32_e32 v5, v9, v10, vcc
	v_lshlrev_b32_e32 v6, 2, v13
	s_waitcnt lgkmcnt(0)
	v_mov_b32_dpp v7, v4 quad_perm:[1,0,3,2] row_mask:0xf bank_mask:0xf bound_ctrl:1
	v_med3_f32 v5, v4, v7, v5
	s_nop 1
	v_mov_b32_dpp v7, v5 quad_perm:[2,3,0,1] row_mask:0xf bank_mask:0xf bound_ctrl:1
	v_med3_f32 v5, v5, v7, v15
	s_nop 1
	v_mov_b32_dpp v7, v5 quad_perm:[1,0,3,2] row_mask:0xf bank_mask:0xf bound_ctrl:1
	v_med3_f32 v1, v5, v7, v1
	ds_bpermute_b32 v1, v6, v1 offset:12
	v_lshl_add_u32 v5, v0, 3, 0
	ds_write_b64 v5, v[2:3]
	s_waitcnt lgkmcnt(1)
	v_cmp_gt_f32_e32 vcc, v4, v1
	v_cndmask_b32_e64 v2, 0, 1, vcc
	v_cmp_eq_f32_e64 s[0:1], v4, v1
	v_cndmask_b32_e64 v3, 0, 1, s[0:1]
	v_cmp_ge_f32_e64 s[2:3], v4, v1
	v_mov_b32_dpp v1, v2 row_shr:1 row_mask:0xf bank_mask:0xf bound_ctrl:1
	v_mov_b32_dpp v2, v3 row_shr:1 row_mask:0xf bank_mask:0xf bound_ctrl:1
	v_addc_co_u32_e64 v3, s[4:5], 0, v1, vcc
	v_addc_co_u32_e64 v4, s[4:5], 0, v2, s[0:1]
	s_nop 0
	v_mov_b32_dpp v3, v3 row_shr:2 row_mask:0xf bank_mask:0xf bound_ctrl:1
	v_addc_co_u32_e32 v1, vcc, v3, v1, vcc
	v_readlane_b32 s4, v1, 3
	v_mov_b32_e32 v3, s4
	v_addc_co_u32_e64 v2, vcc, v3, v2, s[0:1]
	s_nop 1
	v_add_u32_dpp v2, v4, v2 row_shr:2 row_mask:0xf bank_mask:0xf bound_ctrl:1
	v_cndmask_b32_e64 v1, v1, v2, s[0:1]
	v_cmp_ge_i32_e32 vcc, s8, v1
	s_and_b64 s[0:1], s[2:3], vcc
	v_cmp_gt_u32_e32 vcc, 4, v0
	s_and_b64 s[2:3], vcc, s[0:1]
	s_and_saveexec_b64 s[0:1], s[2:3]
	s_cbranch_execz .LBB122_2
; %bb.1:
	s_lshl_b32 s2, s7, 2
	s_add_i32 s2, s2, 0
	v_lshl_add_u32 v1, v1, 2, s2
	ds_write_b32 v1, v0 offset:12
.LBB122_2:
	s_or_b64 exec, exec, s[0:1]
	s_waitcnt lgkmcnt(0)
	s_barrier
	s_endpgm
	.section	.rodata,"a",@progbits
	.p2align	6, 0x0
	.amdhsa_kernel _ZN5aiter28grouped_topk_opt_sort_kernelIN3c104HalfEDv2_fLi4ELb1ELb1ELb0EEEvPT_PKS4_PfPimiiiif
		.amdhsa_group_segment_fixed_size 0
		.amdhsa_private_segment_fixed_size 0
		.amdhsa_kernarg_size 60
		.amdhsa_user_sgpr_count 6
		.amdhsa_user_sgpr_private_segment_buffer 1
		.amdhsa_user_sgpr_dispatch_ptr 0
		.amdhsa_user_sgpr_queue_ptr 0
		.amdhsa_user_sgpr_kernarg_segment_ptr 1
		.amdhsa_user_sgpr_dispatch_id 0
		.amdhsa_user_sgpr_flat_scratch_init 0
		.amdhsa_user_sgpr_kernarg_preload_length 0
		.amdhsa_user_sgpr_kernarg_preload_offset 0
		.amdhsa_user_sgpr_private_segment_size 0
		.amdhsa_uses_dynamic_stack 0
		.amdhsa_system_sgpr_private_segment_wavefront_offset 0
		.amdhsa_system_sgpr_workgroup_id_x 1
		.amdhsa_system_sgpr_workgroup_id_y 0
		.amdhsa_system_sgpr_workgroup_id_z 0
		.amdhsa_system_sgpr_workgroup_info 0
		.amdhsa_system_vgpr_workitem_id 0
		.amdhsa_next_free_vgpr 16
		.amdhsa_next_free_sgpr 9
		.amdhsa_accum_offset 16
		.amdhsa_reserve_vcc 1
		.amdhsa_reserve_flat_scratch 0
		.amdhsa_float_round_mode_32 0
		.amdhsa_float_round_mode_16_64 0
		.amdhsa_float_denorm_mode_32 3
		.amdhsa_float_denorm_mode_16_64 3
		.amdhsa_dx10_clamp 1
		.amdhsa_ieee_mode 1
		.amdhsa_fp16_overflow 0
		.amdhsa_tg_split 0
		.amdhsa_exception_fp_ieee_invalid_op 0
		.amdhsa_exception_fp_denorm_src 0
		.amdhsa_exception_fp_ieee_div_zero 0
		.amdhsa_exception_fp_ieee_overflow 0
		.amdhsa_exception_fp_ieee_underflow 0
		.amdhsa_exception_fp_ieee_inexact 0
		.amdhsa_exception_int_div_zero 0
	.end_amdhsa_kernel
	.section	.text._ZN5aiter28grouped_topk_opt_sort_kernelIN3c104HalfEDv2_fLi4ELb1ELb1ELb0EEEvPT_PKS4_PfPimiiiif,"axG",@progbits,_ZN5aiter28grouped_topk_opt_sort_kernelIN3c104HalfEDv2_fLi4ELb1ELb1ELb0EEEvPT_PKS4_PfPimiiiif,comdat
.Lfunc_end122:
	.size	_ZN5aiter28grouped_topk_opt_sort_kernelIN3c104HalfEDv2_fLi4ELb1ELb1ELb0EEEvPT_PKS4_PfPimiiiif, .Lfunc_end122-_ZN5aiter28grouped_topk_opt_sort_kernelIN3c104HalfEDv2_fLi4ELb1ELb1ELb0EEEvPT_PKS4_PfPimiiiif
                                        ; -- End function
	.section	.AMDGPU.csdata,"",@progbits
; Kernel info:
; codeLenInByte = 680
; NumSgprs: 13
; NumVgprs: 16
; NumAgprs: 0
; TotalNumVgprs: 16
; ScratchSize: 0
; MemoryBound: 0
; FloatMode: 240
; IeeeMode: 1
; LDSByteSize: 0 bytes/workgroup (compile time only)
; SGPRBlocks: 1
; VGPRBlocks: 1
; NumSGPRsForWavesPerEU: 13
; NumVGPRsForWavesPerEU: 16
; AccumOffset: 16
; Occupancy: 8
; WaveLimiterHint : 0
; COMPUTE_PGM_RSRC2:SCRATCH_EN: 0
; COMPUTE_PGM_RSRC2:USER_SGPR: 6
; COMPUTE_PGM_RSRC2:TRAP_HANDLER: 0
; COMPUTE_PGM_RSRC2:TGID_X_EN: 1
; COMPUTE_PGM_RSRC2:TGID_Y_EN: 0
; COMPUTE_PGM_RSRC2:TGID_Z_EN: 0
; COMPUTE_PGM_RSRC2:TIDIG_COMP_CNT: 0
; COMPUTE_PGM_RSRC3_GFX90A:ACCUM_OFFSET: 3
; COMPUTE_PGM_RSRC3_GFX90A:TG_SPLIT: 0
	.section	.text._ZN5aiter28grouped_topk_opt_sort_kernelIN3c108BFloat16EDv2_fLi4ELb1ELb1ELb0EEEvPT_PKS4_PfPimiiiif,"axG",@progbits,_ZN5aiter28grouped_topk_opt_sort_kernelIN3c108BFloat16EDv2_fLi4ELb1ELb1ELb0EEEvPT_PKS4_PfPimiiiif,comdat
	.protected	_ZN5aiter28grouped_topk_opt_sort_kernelIN3c108BFloat16EDv2_fLi4ELb1ELb1ELb0EEEvPT_PKS4_PfPimiiiif ; -- Begin function _ZN5aiter28grouped_topk_opt_sort_kernelIN3c108BFloat16EDv2_fLi4ELb1ELb1ELb0EEEvPT_PKS4_PfPimiiiif
	.globl	_ZN5aiter28grouped_topk_opt_sort_kernelIN3c108BFloat16EDv2_fLi4ELb1ELb1ELb0EEEvPT_PKS4_PfPimiiiif
	.p2align	8
	.type	_ZN5aiter28grouped_topk_opt_sort_kernelIN3c108BFloat16EDv2_fLi4ELb1ELb1ELb0EEEvPT_PKS4_PfPimiiiif,@function
_ZN5aiter28grouped_topk_opt_sort_kernelIN3c108BFloat16EDv2_fLi4ELb1ELb1ELb0EEEvPT_PKS4_PfPimiiiif: ; @_ZN5aiter28grouped_topk_opt_sort_kernelIN3c108BFloat16EDv2_fLi4ELb1ELb1ELb0EEEvPT_PKS4_PfPimiiiif
; %bb.0:
	s_load_dword s7, s[4:5], 0x28
	s_load_dwordx4 s[0:3], s[4:5], 0x0
	s_load_dword s8, s[4:5], 0x30
	v_lshlrev_b32_e32 v1, 2, v0
	v_mbcnt_lo_u32_b32 v3, -1, 0
	s_waitcnt lgkmcnt(0)
	s_mul_i32 s4, s6, s7
	s_ashr_i32 s5, s4, 31
	s_lshl_b64 s[4:5], s[4:5], 1
	s_add_u32 s0, s0, s4
	s_addc_u32 s1, s1, s5
	global_load_dword v2, v1, s[0:1]
	global_load_dword v4, v1, s[2:3]
	v_lshrrev_b32_e32 v5, 1, v0
	v_and_b32_e32 v6, 2, v0
	s_mov_b32 s0, 0x652b82fe
	v_mbcnt_hi_u32_b32 v3, -1, v3
	v_xor_b32_e32 v14, v5, v0
	v_cmp_eq_u32_e32 vcc, 0, v6
	s_mov_b32 s1, 0xbff71547
	v_and_b32_e32 v13, 64, v3
	s_mov_b32 s2, 0xc2fc0000
	v_mov_b32_e32 v9, 0xff800000
	v_mov_b32_e32 v10, 0x7f800000
	;; [unrolled: 1-line block ×3, first 2 shown]
	v_cndmask_b32_e32 v15, v9, v10, vcc
	v_mov_b32_e32 v8, 0x1f800000
	v_and_b32_e32 v12, 1, v0
	s_mov_b32 s3, 0xff800000
	v_lshlrev_b32_e32 v11, 4, v0
	s_waitcnt vmcnt(1)
	v_and_b32_e32 v5, 0xffff, v2
	v_lshrrev_b32_e32 v6, 16, v2
	s_waitcnt vmcnt(0)
	v_cvt_f32_u32_sdwa v3, v4 dst_sel:DWORD dst_unused:UNUSED_PAD src0_sel:WORD_1
	v_cvt_f32_u32_sdwa v2, v4 dst_sel:DWORD dst_unused:UNUSED_PAD src0_sel:WORD_0
	v_cvt_f64_u32_e32 v[4:5], v5
	v_cvt_f64_u32_e32 v[6:7], v6
	v_mul_f64 v[4:5], v[4:5], s[0:1]
	v_mul_f64 v[6:7], v[6:7], s[0:1]
	v_cvt_f32_f64_e32 v4, v[4:5]
	v_cvt_f32_f64_e32 v5, v[6:7]
	v_cmp_gt_f32_e32 vcc, s2, v4
	v_cmp_gt_f32_e64 s[0:1], s2, v5
	v_cndmask_b32_e32 v6, 0, v1, vcc
	v_cndmask_b32_e64 v1, 0, v1, s[0:1]
	v_add_f32_e32 v4, v4, v6
	v_add_f32_e32 v1, v5, v1
	v_exp_f32_e32 v4, v4
	v_exp_f32_e32 v1, v1
	v_cndmask_b32_e32 v5, 1.0, v8, vcc
	v_cndmask_b32_e64 v6, 1.0, v8, s[0:1]
	v_fma_f32 v4, v4, v5, 1.0
	v_fma_f32 v1, v1, v6, 1.0
	v_rcp_f32_e32 v4, v4
	v_rcp_f32_e32 v5, v1
	v_cmp_eq_u32_e32 vcc, 0, v12
	v_cndmask_b32_e32 v1, v9, v10, vcc
	v_and_or_b32 v6, v11, 48, v13
	v_pk_add_f32 v[2:3], v[4:5], v[2:3]
	v_cmp_o_f32_e32 vcc, v3, v3
	v_cndmask_b32_e32 v3, v9, v3, vcc
	v_cmp_o_f32_e32 vcc, v2, v2
	v_cndmask_b32_e32 v2, v9, v2, vcc
	v_med3_f32 v4, v3, v2, s3
	v_max_f32_e32 v5, v3, v2
	v_lshlrev_b32_e32 v6, 2, v6
	v_add_f32_e32 v4, v5, v4
	ds_bpermute_b32 v4, v6, v4
	v_and_b32_e32 v5, 1, v14
	v_cmp_eq_u32_e32 vcc, 0, v5
	v_cndmask_b32_e32 v5, v9, v10, vcc
	v_lshlrev_b32_e32 v6, 2, v13
	s_waitcnt lgkmcnt(0)
	v_mov_b32_dpp v7, v4 quad_perm:[1,0,3,2] row_mask:0xf bank_mask:0xf bound_ctrl:1
	v_med3_f32 v5, v4, v7, v5
	s_nop 1
	v_mov_b32_dpp v7, v5 quad_perm:[2,3,0,1] row_mask:0xf bank_mask:0xf bound_ctrl:1
	v_med3_f32 v5, v5, v7, v15
	s_nop 1
	v_mov_b32_dpp v7, v5 quad_perm:[1,0,3,2] row_mask:0xf bank_mask:0xf bound_ctrl:1
	v_med3_f32 v1, v5, v7, v1
	ds_bpermute_b32 v1, v6, v1 offset:12
	v_lshl_add_u32 v5, v0, 3, 0
	ds_write_b64 v5, v[2:3]
	s_waitcnt lgkmcnt(1)
	v_cmp_gt_f32_e32 vcc, v4, v1
	v_cndmask_b32_e64 v2, 0, 1, vcc
	v_cmp_eq_f32_e64 s[0:1], v4, v1
	v_cndmask_b32_e64 v3, 0, 1, s[0:1]
	v_cmp_ge_f32_e64 s[2:3], v4, v1
	v_mov_b32_dpp v1, v2 row_shr:1 row_mask:0xf bank_mask:0xf bound_ctrl:1
	v_mov_b32_dpp v2, v3 row_shr:1 row_mask:0xf bank_mask:0xf bound_ctrl:1
	v_addc_co_u32_e64 v3, s[4:5], 0, v1, vcc
	v_addc_co_u32_e64 v4, s[4:5], 0, v2, s[0:1]
	s_nop 0
	v_mov_b32_dpp v3, v3 row_shr:2 row_mask:0xf bank_mask:0xf bound_ctrl:1
	v_addc_co_u32_e32 v1, vcc, v3, v1, vcc
	v_readlane_b32 s4, v1, 3
	v_mov_b32_e32 v3, s4
	v_addc_co_u32_e64 v2, vcc, v3, v2, s[0:1]
	s_nop 1
	v_add_u32_dpp v2, v4, v2 row_shr:2 row_mask:0xf bank_mask:0xf bound_ctrl:1
	v_cndmask_b32_e64 v1, v1, v2, s[0:1]
	v_cmp_ge_i32_e32 vcc, s8, v1
	s_and_b64 s[0:1], s[2:3], vcc
	v_cmp_gt_u32_e32 vcc, 4, v0
	s_and_b64 s[2:3], vcc, s[0:1]
	s_and_saveexec_b64 s[0:1], s[2:3]
	s_cbranch_execz .LBB123_2
; %bb.1:
	s_lshl_b32 s2, s7, 2
	s_add_i32 s2, s2, 0
	v_lshl_add_u32 v1, v1, 2, s2
	ds_write_b32 v1, v0 offset:12
.LBB123_2:
	s_or_b64 exec, exec, s[0:1]
	s_waitcnt lgkmcnt(0)
	s_barrier
	s_endpgm
	.section	.rodata,"a",@progbits
	.p2align	6, 0x0
	.amdhsa_kernel _ZN5aiter28grouped_topk_opt_sort_kernelIN3c108BFloat16EDv2_fLi4ELb1ELb1ELb0EEEvPT_PKS4_PfPimiiiif
		.amdhsa_group_segment_fixed_size 0
		.amdhsa_private_segment_fixed_size 0
		.amdhsa_kernarg_size 60
		.amdhsa_user_sgpr_count 6
		.amdhsa_user_sgpr_private_segment_buffer 1
		.amdhsa_user_sgpr_dispatch_ptr 0
		.amdhsa_user_sgpr_queue_ptr 0
		.amdhsa_user_sgpr_kernarg_segment_ptr 1
		.amdhsa_user_sgpr_dispatch_id 0
		.amdhsa_user_sgpr_flat_scratch_init 0
		.amdhsa_user_sgpr_kernarg_preload_length 0
		.amdhsa_user_sgpr_kernarg_preload_offset 0
		.amdhsa_user_sgpr_private_segment_size 0
		.amdhsa_uses_dynamic_stack 0
		.amdhsa_system_sgpr_private_segment_wavefront_offset 0
		.amdhsa_system_sgpr_workgroup_id_x 1
		.amdhsa_system_sgpr_workgroup_id_y 0
		.amdhsa_system_sgpr_workgroup_id_z 0
		.amdhsa_system_sgpr_workgroup_info 0
		.amdhsa_system_vgpr_workitem_id 0
		.amdhsa_next_free_vgpr 16
		.amdhsa_next_free_sgpr 9
		.amdhsa_accum_offset 16
		.amdhsa_reserve_vcc 1
		.amdhsa_reserve_flat_scratch 0
		.amdhsa_float_round_mode_32 0
		.amdhsa_float_round_mode_16_64 0
		.amdhsa_float_denorm_mode_32 3
		.amdhsa_float_denorm_mode_16_64 3
		.amdhsa_dx10_clamp 1
		.amdhsa_ieee_mode 1
		.amdhsa_fp16_overflow 0
		.amdhsa_tg_split 0
		.amdhsa_exception_fp_ieee_invalid_op 0
		.amdhsa_exception_fp_denorm_src 0
		.amdhsa_exception_fp_ieee_div_zero 0
		.amdhsa_exception_fp_ieee_overflow 0
		.amdhsa_exception_fp_ieee_underflow 0
		.amdhsa_exception_fp_ieee_inexact 0
		.amdhsa_exception_int_div_zero 0
	.end_amdhsa_kernel
	.section	.text._ZN5aiter28grouped_topk_opt_sort_kernelIN3c108BFloat16EDv2_fLi4ELb1ELb1ELb0EEEvPT_PKS4_PfPimiiiif,"axG",@progbits,_ZN5aiter28grouped_topk_opt_sort_kernelIN3c108BFloat16EDv2_fLi4ELb1ELb1ELb0EEEvPT_PKS4_PfPimiiiif,comdat
.Lfunc_end123:
	.size	_ZN5aiter28grouped_topk_opt_sort_kernelIN3c108BFloat16EDv2_fLi4ELb1ELb1ELb0EEEvPT_PKS4_PfPimiiiif, .Lfunc_end123-_ZN5aiter28grouped_topk_opt_sort_kernelIN3c108BFloat16EDv2_fLi4ELb1ELb1ELb0EEEvPT_PKS4_PfPimiiiif
                                        ; -- End function
	.section	.AMDGPU.csdata,"",@progbits
; Kernel info:
; codeLenInByte = 684
; NumSgprs: 13
; NumVgprs: 16
; NumAgprs: 0
; TotalNumVgprs: 16
; ScratchSize: 0
; MemoryBound: 0
; FloatMode: 240
; IeeeMode: 1
; LDSByteSize: 0 bytes/workgroup (compile time only)
; SGPRBlocks: 1
; VGPRBlocks: 1
; NumSGPRsForWavesPerEU: 13
; NumVGPRsForWavesPerEU: 16
; AccumOffset: 16
; Occupancy: 8
; WaveLimiterHint : 0
; COMPUTE_PGM_RSRC2:SCRATCH_EN: 0
; COMPUTE_PGM_RSRC2:USER_SGPR: 6
; COMPUTE_PGM_RSRC2:TRAP_HANDLER: 0
; COMPUTE_PGM_RSRC2:TGID_X_EN: 1
; COMPUTE_PGM_RSRC2:TGID_Y_EN: 0
; COMPUTE_PGM_RSRC2:TGID_Z_EN: 0
; COMPUTE_PGM_RSRC2:TIDIG_COMP_CNT: 0
; COMPUTE_PGM_RSRC3_GFX90A:ACCUM_OFFSET: 3
; COMPUTE_PGM_RSRC3_GFX90A:TG_SPLIT: 0
	.section	.text._ZN5aiter19grouped_topk_kernelIfDv2_fLi4ELb1ELb1ELb0EEEvPT_PKS2_PfPimiiiif,"axG",@progbits,_ZN5aiter19grouped_topk_kernelIfDv2_fLi4ELb1ELb1ELb0EEEvPT_PKS2_PfPimiiiif,comdat
	.protected	_ZN5aiter19grouped_topk_kernelIfDv2_fLi4ELb1ELb1ELb0EEEvPT_PKS2_PfPimiiiif ; -- Begin function _ZN5aiter19grouped_topk_kernelIfDv2_fLi4ELb1ELb1ELb0EEEvPT_PKS2_PfPimiiiif
	.globl	_ZN5aiter19grouped_topk_kernelIfDv2_fLi4ELb1ELb1ELb0EEEvPT_PKS2_PfPimiiiif
	.p2align	8
	.type	_ZN5aiter19grouped_topk_kernelIfDv2_fLi4ELb1ELb1ELb0EEEvPT_PKS2_PfPimiiiif,@function
_ZN5aiter19grouped_topk_kernelIfDv2_fLi4ELb1ELb1ELb0EEEvPT_PKS2_PfPimiiiif: ; @_ZN5aiter19grouped_topk_kernelIfDv2_fLi4ELb1ELb1ELb0EEEvPT_PKS2_PfPimiiiif
; %bb.0:
	s_load_dwordx4 s[12:15], s[4:5], 0x28
	s_load_dwordx4 s[16:19], s[4:5], 0x8
	s_load_dwordx2 s[10:11], s[4:5], 0x18
	s_waitcnt lgkmcnt(0)
	s_lshr_b32 s0, s12, 31
	s_add_i32 s0, s12, s0
	s_ashr_i32 s7, s0, 1
	v_cmp_gt_i32_e64 s[0:1], s7, v0
	s_and_saveexec_b64 s[8:9], s[0:1]
	s_cbranch_execz .LBB124_3
; %bb.1:
	s_load_dwordx2 s[2:3], s[4:5], 0x0
	s_load_dword s22, s[4:5], 0x4c
	s_mul_i32 s20, s6, s12
	s_ashr_i32 s21, s20, 31
	s_lshl_b64 s[20:21], s[20:21], 2
	s_waitcnt lgkmcnt(0)
	s_add_u32 s15, s2, s20
	s_addc_u32 s2, s3, s21
	s_and_b32 s22, s22, 0xffff
	s_mov_b32 s3, 0
	v_lshlrev_b32_e32 v2, 3, v0
	v_mov_b32_e32 v1, 0
	s_lshl_b32 s23, s22, 3
	v_add_u32_e32 v3, 0, v2
	s_mov_b64 s[20:21], 0
	v_mov_b32_e32 v4, s2
	v_mov_b32_e32 v5, s17
	s_mov_b32 s24, 0xbfb8aa3b
	s_mov_b32 s25, 0x42ce8ed0
	;; [unrolled: 1-line block ×3, first 2 shown]
	v_mov_b32_e32 v6, 0x7f800000
	v_mov_b32_e32 v7, s3
	;; [unrolled: 1-line block ×3, first 2 shown]
.LBB124_2:                              ; =>This Inner Loop Header: Depth=1
	v_add_co_u32_e32 v10, vcc, s15, v2
	v_addc_co_u32_e32 v11, vcc, v4, v1, vcc
	global_load_dwordx2 v[10:11], v[10:11], off
	v_add_co_u32_e32 v12, vcc, s16, v2
	v_addc_co_u32_e32 v13, vcc, v5, v1, vcc
	global_load_dwordx2 v[12:13], v[12:13], off
	v_add_co_u32_e32 v2, vcc, s23, v2
	v_add_u32_e32 v8, s22, v8
	v_addc_co_u32_e32 v1, vcc, v1, v7, vcc
	v_cmp_le_i32_e32 vcc, s7, v8
	s_or_b64 s[20:21], vcc, s[20:21]
	s_waitcnt vmcnt(1)
	v_mul_f32_e32 v9, 0xbfb8aa3b, v11
	v_mul_f32_e32 v14, 0xbfb8aa3b, v10
	v_fma_f32 v15, v11, s24, -v9
	v_rndne_f32_e32 v16, v9
	v_fma_f32 v17, v10, s24, -v14
	v_rndne_f32_e32 v18, v14
	v_fmac_f32_e32 v15, 0xb2a5705f, v11
	v_sub_f32_e32 v9, v9, v16
	v_fmac_f32_e32 v17, 0xb2a5705f, v10
	v_sub_f32_e32 v14, v14, v18
	v_add_f32_e32 v9, v9, v15
	v_add_f32_e32 v14, v14, v17
	v_cvt_i32_f32_e32 v16, v16
	v_cvt_i32_f32_e32 v18, v18
	v_exp_f32_e32 v9, v9
	v_exp_f32_e32 v14, v14
	v_cmp_nlt_f32_e32 vcc, s25, v10
	v_cmp_nlt_f32_e64 s[2:3], s25, v11
	v_ldexp_f32 v9, v9, v16
	v_ldexp_f32 v14, v14, v18
	v_cndmask_b32_e64 v9, 0, v9, s[2:3]
	v_cndmask_b32_e32 v14, 0, v14, vcc
	v_cmp_ngt_f32_e32 vcc, s26, v10
	v_cmp_ngt_f32_e64 s[2:3], s26, v11
	v_cndmask_b32_e64 v11, v6, v9, s[2:3]
	v_cndmask_b32_e32 v10, v6, v14, vcc
	v_pk_add_f32 v[10:11], v[10:11], 1.0 op_sel_hi:[1,0]
	v_div_scale_f32 v9, s[2:3], v11, v11, 1.0
	v_div_scale_f32 v15, s[2:3], v10, v10, 1.0
	v_rcp_f32_e32 v17, v9
	v_rcp_f32_e32 v18, v15
	v_div_scale_f32 v14, vcc, 1.0, v11, 1.0
	v_fma_f32 v19, -v9, v17, 1.0
	v_fma_f32 v20, -v15, v18, 1.0
	v_fmac_f32_e32 v17, v19, v17
	v_div_scale_f32 v16, s[2:3], 1.0, v10, 1.0
	v_fmac_f32_e32 v18, v20, v18
	v_mul_f32_e32 v19, v14, v17
	v_mul_f32_e32 v20, v16, v18
	v_fma_f32 v21, -v9, v19, v14
	v_fma_f32 v22, -v15, v20, v16
	v_fmac_f32_e32 v19, v21, v17
	v_fmac_f32_e32 v20, v22, v18
	v_fma_f32 v9, -v9, v19, v14
	v_fma_f32 v14, -v15, v20, v16
	v_div_fmas_f32 v9, v9, v17, v19
	s_mov_b64 vcc, s[2:3]
	v_div_fixup_f32 v11, v9, v11, 1.0
	v_div_fmas_f32 v9, v14, v18, v20
	v_div_fixup_f32 v10, v9, v10, 1.0
	s_waitcnt vmcnt(0)
	v_pk_add_f32 v[10:11], v[12:13], v[10:11]
	ds_write_b64 v3, v[10:11]
	v_add_u32_e32 v3, s23, v3
	s_andn2_b64 exec, exec, s[20:21]
	s_cbranch_execnz .LBB124_2
.LBB124_3:
	s_or_b64 exec, exec, s[8:9]
	s_ashr_i32 s2, s12, 31
	s_lshr_b32 s3, s2, 30
	s_add_i32 s3, s12, s3
	s_ashr_i32 s15, s3, 2
	s_lshl_b32 s3, s12, 2
	s_add_i32 s28, s3, 0
	v_cmp_gt_u32_e32 vcc, 64, v0
	s_waitcnt lgkmcnt(0)
	s_barrier
	s_and_saveexec_b64 s[20:21], vcc
	s_cbranch_execz .LBB124_12
; %bb.4:
	s_load_dword s8, s[4:5], 0x4c
	v_lshrrev_b32_e32 v2, 4, v0
	s_lshr_b32 s2, s2, 29
	v_and_b32_e32 v1, 15, v0
	s_add_i32 s2, s12, s2
	s_waitcnt lgkmcnt(0)
	s_bfe_u32 s29, s8, 0xc0004
	v_mul_lo_u32 v3, s15, v2
	s_ashr_i32 s12, s2, 3
	v_lshlrev_b32_e32 v3, 2, v3
	v_lshlrev_b32_e32 v4, 3, v1
	s_mul_i32 s8, s15, s29
	v_cmp_gt_i32_e32 vcc, s12, v1
	v_cmp_eq_u32_e64 s[2:3], 0, v1
	v_add3_u32 v3, v3, v4, 0
	s_lshl_b32 s30, s8, 2
	s_mov_b64 s[22:23], 0
	s_branch .LBB124_6
.LBB124_5:                              ;   in Loop: Header=BB124_6 Depth=1
	s_or_b64 exec, exec, s[8:9]
	v_add_u32_e32 v2, s29, v2
	v_cmp_lt_u32_e64 s[8:9], 3, v2
	s_or_b64 s[22:23], s[8:9], s[22:23]
	v_add_u32_e32 v3, s30, v3
	s_andn2_b64 exec, exec, s[22:23]
	s_cbranch_execz .LBB124_12
.LBB124_6:                              ; =>This Loop Header: Depth=1
                                        ;     Child Loop BB124_8 Depth 2
	v_mov_b32_e32 v4, 0xff800000
	v_mov_b32_e32 v7, 0xff800000
	s_and_saveexec_b64 s[24:25], vcc
	s_cbranch_execz .LBB124_10
; %bb.7:                                ;   in Loop: Header=BB124_6 Depth=1
	s_mov_b64 s[26:27], 0
	v_mov_b32_e32 v4, 0xff800000
	v_mov_b32_e32 v5, v3
	;; [unrolled: 1-line block ×4, first 2 shown]
.LBB124_8:                              ;   Parent Loop BB124_6 Depth=1
                                        ; =>  This Inner Loop Header: Depth=2
	ds_read_b64 v[8:9], v5
	v_add_u32_e32 v6, 16, v6
	v_max_f32_e32 v7, v7, v7
	v_cmp_le_i32_e64 s[8:9], s12, v6
	s_or_b64 s[26:27], s[8:9], s[26:27]
	s_waitcnt lgkmcnt(0)
	v_max_f32_e32 v11, v8, v8
	v_max_f32_e32 v7, v11, v7
	v_cmp_gt_f32_e64 s[8:9], v8, v4
	v_max_f32_e32 v10, v4, v4
	v_cndmask_b32_e64 v7, v7, v4, s[8:9]
	v_max_f32_e32 v12, v9, v9
	v_max_f32_e32 v10, v11, v10
	;; [unrolled: 1-line block ×4, first 2 shown]
	v_cmp_gt_f32_e64 s[8:9], v9, v10
	v_add_u32_e32 v5, 0x80, v5
	v_max_f32_e32 v4, v12, v10
	v_cndmask_b32_e64 v7, v7, v10, s[8:9]
	s_andn2_b64 exec, exec, s[26:27]
	s_cbranch_execnz .LBB124_8
; %bb.9:                                ;   in Loop: Header=BB124_6 Depth=1
	s_or_b64 exec, exec, s[26:27]
.LBB124_10:                             ;   in Loop: Header=BB124_6 Depth=1
	s_or_b64 exec, exec, s[24:25]
	s_and_saveexec_b64 s[8:9], s[2:3]
	s_cbranch_execz .LBB124_5
; %bb.11:                               ;   in Loop: Header=BB124_6 Depth=1
	v_lshl_add_u32 v5, v2, 2, s28
	v_add_f32_e32 v4, v7, v4
	ds_write_b32 v5, v4
	s_branch .LBB124_5
.LBB124_12:
	s_or_b64 exec, exec, s[20:21]
	s_cmp_lt_i32 s14, 1
	s_waitcnt lgkmcnt(0)
	s_barrier
	s_cbranch_scc1 .LBB124_15
; %bb.13:
	v_mov_b32_e32 v1, s28
	s_mov_b32 s2, 0xff800000
	v_mov_b32_e32 v2, 0xff800000
.LBB124_14:                             ; =>This Inner Loop Header: Depth=1
	ds_read2_b32 v[4:5], v1 offset1:1
	ds_read2_b32 v[6:7], v1 offset0:2 offset1:3
	s_waitcnt lgkmcnt(1)
	v_cmp_nlg_f32_e32 vcc, s2, v4
	v_cndmask_b32_e64 v3, 0, 1, vcc
	v_cmp_lg_f32_e32 vcc, s2, v4
	v_cndmask_b32_e32 v4, v2, v4, vcc
	v_readfirstlane_b32 s3, v3
	v_cmp_gt_f32_e32 vcc, v5, v4
	s_lshl_b32 s3, s3, 2
	v_cndmask_b32_e32 v3, v4, v5, vcc
	s_and_b64 s[8:9], vcc, exec
	s_waitcnt lgkmcnt(0)
	v_cmp_gt_f32_e32 vcc, v6, v3
	v_cndmask_b32_e32 v3, v3, v6, vcc
	s_cselect_b32 s3, 1, s3
	s_and_b64 s[8:9], vcc, exec
	v_cmp_ngt_f32_e32 vcc, v7, v3
	s_cselect_b32 s3, 2, s3
	s_and_b64 s[8:9], vcc, exec
	s_cselect_b32 s3, s3, 3
	s_lshl_b32 s3, s3, 2
	s_add_i32 s3, s28, s3
	s_add_i32 s14, s14, -1
	v_mov_b32_e32 v3, s3
	s_cmp_lg_u32 s14, 0
	ds_write_b32 v3, v2
	s_cbranch_scc1 .LBB124_14
.LBB124_15:
	v_lshlrev_b32_e32 v4, 1, v0
	v_lshl_add_u32 v5, v0, 3, 0
	s_and_saveexec_b64 s[2:3], s[0:1]
	s_cbranch_execz .LBB124_20
; %bb.16:
	s_abs_i32 s12, s15
	v_cvt_f32_u32_e32 v2, s12
	s_load_dword s14, s[4:5], 0x4c
	s_ashr_i32 s20, s15, 31
	s_sub_i32 s15, 0, s12
	v_rcp_iflag_f32_e32 v2, v2
	v_lshlrev_b32_e32 v1, 1, v0
	s_waitcnt lgkmcnt(0)
	s_and_b32 s21, s14, 0xffff
	v_lshl_add_u32 v6, v0, 3, 0
	v_mul_f32_e32 v2, 0x4f7ffffe, v2
	v_cvt_u32_f32_e32 v2, v2
	s_mov_b64 s[8:9], 0
	s_lshl_b32 s22, s21, 1
	s_lshl_b32 s23, s21, 3
	v_mul_lo_u32 v3, s15, v2
	v_mul_hi_u32 v3, v2, v3
	v_add_u32_e32 v7, v2, v3
	s_mov_b32 s24, 0xff800000
	v_mov_b32_e32 v2, 0xff800000
	v_mov_b32_e32 v8, v0
	s_branch .LBB124_18
.LBB124_17:                             ;   in Loop: Header=BB124_18 Depth=1
	s_or_b64 exec, exec, s[14:15]
	v_add_u32_e32 v8, s21, v8
	v_cmp_le_i32_e32 vcc, s7, v8
	v_add_u32_e32 v1, s22, v1
	s_or_b64 s[8:9], vcc, s[8:9]
	v_add_u32_e32 v6, s23, v6
	s_andn2_b64 exec, exec, s[8:9]
	s_cbranch_execz .LBB124_20
.LBB124_18:                             ; =>This Inner Loop Header: Depth=1
	v_mul_hi_u32 v3, v1, v7
	v_mul_lo_u32 v9, v3, s12
	v_sub_u32_e32 v9, v1, v9
	v_add_u32_e32 v10, 1, v3
	v_cmp_le_u32_e32 vcc, s12, v9
	v_cndmask_b32_e32 v3, v3, v10, vcc
	v_subrev_u32_e32 v10, s12, v9
	v_cndmask_b32_e32 v9, v9, v10, vcc
	v_add_u32_e32 v10, 1, v3
	v_cmp_le_u32_e32 vcc, s12, v9
	v_cndmask_b32_e32 v3, v3, v10, vcc
	v_xor_b32_e32 v3, s20, v3
	v_subrev_u32_e32 v3, s20, v3
	v_lshl_add_u32 v3, v3, 2, s28
	ds_read_b32 v3, v3
	s_waitcnt lgkmcnt(0)
	v_cmp_neq_f32_e32 vcc, s24, v3
	s_and_saveexec_b64 s[14:15], vcc
	s_cbranch_execz .LBB124_17
; %bb.19:                               ;   in Loop: Header=BB124_18 Depth=1
	v_mov_b32_e32 v3, v2
	ds_write_b64 v6, v[2:3]
	s_branch .LBB124_17
.LBB124_20:
	s_or_b64 exec, exec, s[2:3]
	s_cmp_lt_i32 s13, 1
	s_waitcnt lgkmcnt(0)
	s_barrier
	s_cbranch_scc1 .LBB124_27
; %bb.21:
	s_add_u32 s2, s4, 64
	s_addc_u32 s3, s5, 0
	s_mov_b32 s12, 0
	v_mov_b32_e32 v2, 0
	v_mov_b32_e32 v6, 0xff800000
                                        ; implicit-def: $vgpr3
                                        ; implicit-def: $vgpr1
	s_branch .LBB124_23
.LBB124_22:                             ;   in Loop: Header=BB124_23 Depth=1
	s_or_b64 exec, exec, s[8:9]
	v_mov_b32_dpp v10, v8 quad_perm:[1,0,3,2] row_mask:0xf bank_mask:0xf
	v_cmp_lt_f32_e32 vcc, v8, v10
	v_cndmask_b32_e32 v8, v8, v10, vcc
	v_mov_b32_dpp v9, v7 quad_perm:[1,0,3,2] row_mask:0xf bank_mask:0xf
	v_cndmask_b32_e32 v7, v7, v9, vcc
	v_mov_b32_dpp v10, v8 quad_perm:[2,3,0,1] row_mask:0xf bank_mask:0xf
	v_cmp_gt_f32_e32 vcc, v10, v8
	v_cndmask_b32_e32 v8, v8, v10, vcc
	v_mov_b32_dpp v9, v7 quad_perm:[2,3,0,1] row_mask:0xf bank_mask:0xf
	v_cndmask_b32_e32 v7, v7, v9, vcc
	v_mov_b32_dpp v10, v8 row_half_mirror row_mask:0xf bank_mask:0xf
	v_cmp_gt_f32_e32 vcc, v10, v8
	v_cndmask_b32_e32 v8, v8, v10, vcc
	v_mov_b32_dpp v9, v7 row_half_mirror row_mask:0xf bank_mask:0xf
	v_cndmask_b32_e32 v7, v7, v9, vcc
	v_mov_b32_dpp v10, v8 row_mirror row_mask:0xf bank_mask:0xf
	v_cmp_gt_f32_e32 vcc, v10, v8
	v_cndmask_b32_e32 v8, v8, v10, vcc
	v_mov_b32_dpp v9, v7 row_mirror row_mask:0xf bank_mask:0xf
	v_cndmask_b32_e32 v7, v7, v9, vcc
	v_mov_b32_dpp v10, v8 row_bcast:15 row_mask:0xf bank_mask:0xf
	v_cmp_gt_f32_e32 vcc, v10, v8
	v_mov_b32_dpp v9, v7 row_bcast:15 row_mask:0xf bank_mask:0xf
	v_cndmask_b32_e32 v8, v8, v10, vcc
	v_cndmask_b32_e32 v7, v7, v9, vcc
	s_nop 0
	v_mov_b32_dpp v10, v8 row_bcast:31 row_mask:0xf bank_mask:0xf
	v_mov_b32_dpp v9, v7 row_bcast:31 row_mask:0xf bank_mask:0xf
	v_cmp_gt_f32_e32 vcc, v10, v8
	v_cndmask_b32_e32 v7, v7, v9, vcc
	v_readlane_b32 s8, v7, 63
	s_ashr_i32 s9, s8, 31
	s_lshl_b64 s[14:15], s[8:9], 2
	s_add_u32 s14, s16, s14
	s_addc_u32 s15, s17, s15
	s_load_dword s9, s[14:15], 0x0
	v_cndmask_b32_e32 v7, v8, v10, vcc
	v_readlane_b32 s14, v7, 63
	v_cmp_eq_u32_e32 vcc, s12, v0
	s_add_i32 s12, s12, 1
	s_waitcnt lgkmcnt(0)
	v_mov_b32_e32 v7, s9
	s_lshl_b32 s9, s8, 2
	s_add_i32 s9, s9, 0
	v_mov_b32_e32 v8, s9
	v_sub_f32_e32 v7, s14, v7
	ds_write_b32 v8, v6
	v_mov_b32_e32 v8, s8
	v_cndmask_b32_e32 v1, v1, v8, vcc
	v_cndmask_b32_e32 v3, v3, v7, vcc
	s_cmp_eq_u32 s12, s13
	v_add_f32_e32 v2, v2, v7
	s_cbranch_scc1 .LBB124_28
.LBB124_23:                             ; =>This Loop Header: Depth=1
                                        ;     Child Loop BB124_25 Depth 2
	v_mov_b32_e32 v7, s12
	v_mov_b32_e32 v8, 0xff800000
	s_and_saveexec_b64 s[8:9], s[0:1]
	s_cbranch_execz .LBB124_22
; %bb.24:                               ;   in Loop: Header=BB124_23 Depth=1
	s_load_dword s20, s[2:3], 0xc
	s_mov_b64 s[14:15], 0
	v_mov_b32_e32 v7, s12
	v_mov_b32_e32 v8, 0xff800000
	;; [unrolled: 1-line block ×3, first 2 shown]
	s_waitcnt lgkmcnt(0)
	s_and_b32 s20, s20, 0xffff
	s_lshl_b32 s21, s20, 1
	s_lshl_b32 s22, s20, 3
	v_mov_b32_e32 v10, v4
	v_mov_b32_e32 v11, v0
.LBB124_25:                             ;   Parent Loop BB124_23 Depth=1
                                        ; =>  This Inner Loop Header: Depth=2
	ds_read_b64 v[12:13], v9
	v_add_u32_e32 v11, s20, v11
	v_cmp_le_i32_e32 vcc, s7, v11
	s_or_b64 s[14:15], vcc, s[14:15]
	v_add_u32_e32 v14, 1, v10
	s_waitcnt lgkmcnt(0)
	v_cmp_gt_f32_e32 vcc, v12, v8
	v_cndmask_b32_e32 v8, v8, v12, vcc
	v_cndmask_b32_e32 v7, v7, v10, vcc
	v_cmp_gt_f32_e32 vcc, v13, v8
	v_add_u32_e32 v9, s22, v9
	v_cndmask_b32_e32 v8, v8, v13, vcc
	v_add_u32_e32 v10, s21, v10
	v_cndmask_b32_e32 v7, v7, v14, vcc
	s_andn2_b64 exec, exec, s[14:15]
	s_cbranch_execnz .LBB124_25
; %bb.26:                               ;   in Loop: Header=BB124_23 Depth=1
	s_or_b64 exec, exec, s[14:15]
	s_branch .LBB124_22
.LBB124_27:
	v_mov_b32_e32 v2, 0
                                        ; implicit-def: $vgpr3
                                        ; implicit-def: $vgpr1
.LBB124_28:
	v_cmp_gt_i32_e32 vcc, s13, v0
	s_and_saveexec_b64 s[0:1], vcc
	s_cbranch_execz .LBB124_31
; %bb.29:
	s_load_dword s7, s[4:5], 0x38
	s_load_dwordx2 s[0:1], s[4:5], 0x20
	s_load_dword s8, s[4:5], 0x4c
	s_waitcnt lgkmcnt(0)
	v_div_scale_f32 v4, s[2:3], v2, v2, s7
	v_rcp_f32_e32 v5, v4
	v_div_scale_f32 v6, vcc, s7, v2, s7
	s_ashr_i32 s2, s6, 31
	v_fma_f32 v7, -v4, v5, 1.0
	v_fmac_f32_e32 v5, v7, v5
	v_mul_f32_e32 v7, v6, v5
	v_fma_f32 v8, -v4, v7, v6
	v_fmac_f32_e32 v7, v8, v5
	v_fma_f32 v4, -v4, v7, v6
	s_mul_i32 s1, s6, s1
	s_mul_hi_u32 s3, s6, s0
	v_div_fmas_f32 v4, v4, v5, v7
	s_add_i32 s1, s3, s1
	s_mul_i32 s2, s2, s0
	v_div_fixup_f32 v2, v4, v2, s7
	s_add_i32 s4, s1, s2
	v_mul_f32_e32 v2, v2, v3
	s_mul_i32 s2, s6, s0
	s_and_b32 s3, s8, 0xffff
	s_mov_b64 s[0:1], 0
	v_mov_b32_e32 v3, s4
	v_mov_b32_e32 v4, s19
	;; [unrolled: 1-line block ×3, first 2 shown]
.LBB124_30:                             ; =>This Inner Loop Header: Depth=1
	v_ashrrev_i32_e32 v7, 31, v0
	v_add_co_u32_e32 v6, vcc, s2, v0
	v_addc_co_u32_e32 v7, vcc, v3, v7, vcc
	v_add_u32_e32 v0, s3, v0
	v_cmp_le_i32_e32 vcc, s13, v0
	v_lshlrev_b64 v[6:7], 2, v[6:7]
	s_or_b64 s[0:1], vcc, s[0:1]
	v_add_co_u32_e32 v8, vcc, s18, v6
	v_addc_co_u32_e32 v9, vcc, v4, v7, vcc
	v_add_co_u32_e32 v6, vcc, s10, v6
	v_addc_co_u32_e32 v7, vcc, v5, v7, vcc
	global_store_dword v[8:9], v2, off
	global_store_dword v[6:7], v1, off
	s_andn2_b64 exec, exec, s[0:1]
	s_cbranch_execnz .LBB124_30
.LBB124_31:
	s_endpgm
	.section	.rodata,"a",@progbits
	.p2align	6, 0x0
	.amdhsa_kernel _ZN5aiter19grouped_topk_kernelIfDv2_fLi4ELb1ELb1ELb0EEEvPT_PKS2_PfPimiiiif
		.amdhsa_group_segment_fixed_size 0
		.amdhsa_private_segment_fixed_size 0
		.amdhsa_kernarg_size 320
		.amdhsa_user_sgpr_count 6
		.amdhsa_user_sgpr_private_segment_buffer 1
		.amdhsa_user_sgpr_dispatch_ptr 0
		.amdhsa_user_sgpr_queue_ptr 0
		.amdhsa_user_sgpr_kernarg_segment_ptr 1
		.amdhsa_user_sgpr_dispatch_id 0
		.amdhsa_user_sgpr_flat_scratch_init 0
		.amdhsa_user_sgpr_kernarg_preload_length 0
		.amdhsa_user_sgpr_kernarg_preload_offset 0
		.amdhsa_user_sgpr_private_segment_size 0
		.amdhsa_uses_dynamic_stack 0
		.amdhsa_system_sgpr_private_segment_wavefront_offset 0
		.amdhsa_system_sgpr_workgroup_id_x 1
		.amdhsa_system_sgpr_workgroup_id_y 0
		.amdhsa_system_sgpr_workgroup_id_z 0
		.amdhsa_system_sgpr_workgroup_info 0
		.amdhsa_system_vgpr_workitem_id 0
		.amdhsa_next_free_vgpr 23
		.amdhsa_next_free_sgpr 31
		.amdhsa_accum_offset 24
		.amdhsa_reserve_vcc 1
		.amdhsa_reserve_flat_scratch 0
		.amdhsa_float_round_mode_32 0
		.amdhsa_float_round_mode_16_64 0
		.amdhsa_float_denorm_mode_32 3
		.amdhsa_float_denorm_mode_16_64 3
		.amdhsa_dx10_clamp 1
		.amdhsa_ieee_mode 1
		.amdhsa_fp16_overflow 0
		.amdhsa_tg_split 0
		.amdhsa_exception_fp_ieee_invalid_op 0
		.amdhsa_exception_fp_denorm_src 0
		.amdhsa_exception_fp_ieee_div_zero 0
		.amdhsa_exception_fp_ieee_overflow 0
		.amdhsa_exception_fp_ieee_underflow 0
		.amdhsa_exception_fp_ieee_inexact 0
		.amdhsa_exception_int_div_zero 0
	.end_amdhsa_kernel
	.section	.text._ZN5aiter19grouped_topk_kernelIfDv2_fLi4ELb1ELb1ELb0EEEvPT_PKS2_PfPimiiiif,"axG",@progbits,_ZN5aiter19grouped_topk_kernelIfDv2_fLi4ELb1ELb1ELb0EEEvPT_PKS2_PfPimiiiif,comdat
.Lfunc_end124:
	.size	_ZN5aiter19grouped_topk_kernelIfDv2_fLi4ELb1ELb1ELb0EEEvPT_PKS2_PfPimiiiif, .Lfunc_end124-_ZN5aiter19grouped_topk_kernelIfDv2_fLi4ELb1ELb1ELb0EEEvPT_PKS2_PfPimiiiif
                                        ; -- End function
	.section	.AMDGPU.csdata,"",@progbits
; Kernel info:
; codeLenInByte = 2124
; NumSgprs: 35
; NumVgprs: 23
; NumAgprs: 0
; TotalNumVgprs: 23
; ScratchSize: 0
; MemoryBound: 0
; FloatMode: 240
; IeeeMode: 1
; LDSByteSize: 0 bytes/workgroup (compile time only)
; SGPRBlocks: 4
; VGPRBlocks: 2
; NumSGPRsForWavesPerEU: 35
; NumVGPRsForWavesPerEU: 23
; AccumOffset: 24
; Occupancy: 8
; WaveLimiterHint : 0
; COMPUTE_PGM_RSRC2:SCRATCH_EN: 0
; COMPUTE_PGM_RSRC2:USER_SGPR: 6
; COMPUTE_PGM_RSRC2:TRAP_HANDLER: 0
; COMPUTE_PGM_RSRC2:TGID_X_EN: 1
; COMPUTE_PGM_RSRC2:TGID_Y_EN: 0
; COMPUTE_PGM_RSRC2:TGID_Z_EN: 0
; COMPUTE_PGM_RSRC2:TIDIG_COMP_CNT: 0
; COMPUTE_PGM_RSRC3_GFX90A:ACCUM_OFFSET: 5
; COMPUTE_PGM_RSRC3_GFX90A:TG_SPLIT: 0
	.section	.text._ZN5aiter19grouped_topk_kernelIN3c104HalfEDv2_fLi4ELb1ELb1ELb0EEEvPT_PKS4_PfPimiiiif,"axG",@progbits,_ZN5aiter19grouped_topk_kernelIN3c104HalfEDv2_fLi4ELb1ELb1ELb0EEEvPT_PKS4_PfPimiiiif,comdat
	.protected	_ZN5aiter19grouped_topk_kernelIN3c104HalfEDv2_fLi4ELb1ELb1ELb0EEEvPT_PKS4_PfPimiiiif ; -- Begin function _ZN5aiter19grouped_topk_kernelIN3c104HalfEDv2_fLi4ELb1ELb1ELb0EEEvPT_PKS4_PfPimiiiif
	.globl	_ZN5aiter19grouped_topk_kernelIN3c104HalfEDv2_fLi4ELb1ELb1ELb0EEEvPT_PKS4_PfPimiiiif
	.p2align	8
	.type	_ZN5aiter19grouped_topk_kernelIN3c104HalfEDv2_fLi4ELb1ELb1ELb0EEEvPT_PKS4_PfPimiiiif,@function
_ZN5aiter19grouped_topk_kernelIN3c104HalfEDv2_fLi4ELb1ELb1ELb0EEEvPT_PKS4_PfPimiiiif: ; @_ZN5aiter19grouped_topk_kernelIN3c104HalfEDv2_fLi4ELb1ELb1ELb0EEEvPT_PKS4_PfPimiiiif
; %bb.0:
	s_load_dwordx4 s[12:15], s[4:5], 0x28
	s_load_dwordx4 s[16:19], s[4:5], 0x8
	s_load_dwordx2 s[10:11], s[4:5], 0x18
	v_lshl_add_u32 v4, v0, 3, 0
	s_waitcnt lgkmcnt(0)
	s_lshr_b32 s0, s12, 31
	s_add_i32 s0, s12, s0
	s_ashr_i32 s7, s0, 1
	v_cmp_gt_i32_e64 s[0:1], s7, v0
	s_and_saveexec_b64 s[8:9], s[0:1]
	s_cbranch_execz .LBB125_3
; %bb.1:
	s_load_dwordx2 s[2:3], s[4:5], 0x0
	s_load_dword s22, s[4:5], 0x4c
	s_mul_i32 s20, s6, s12
	s_ashr_i32 s21, s20, 31
	s_lshl_b64 s[20:21], s[20:21], 1
	s_waitcnt lgkmcnt(0)
	s_add_u32 s15, s2, s20
	s_addc_u32 s2, s3, s21
	s_and_b32 s22, s22, 0xffff
	s_mov_b32 s3, 0
	v_lshlrev_b32_e32 v2, 2, v0
	v_mov_b32_e32 v1, 0
	s_lshl_b32 s23, s22, 2
	v_lshl_add_u32 v3, v0, 3, 0
	s_lshl_b32 s24, s22, 3
	s_mov_b64 s[20:21], 0
	v_mov_b32_e32 v5, s2
	v_mov_b32_e32 v6, s17
	s_mov_b32 s25, 0x3fb8aa3b
	s_mov_b32 s26, 0x32a5705f
	s_mov_b32 s27, 0xc2ce8ed0
	s_mov_b32 s28, 0x42b17218
	v_mov_b32_e32 v7, 0x7f800000
	v_mov_b32_e32 v8, s3
	;; [unrolled: 1-line block ×3, first 2 shown]
.LBB125_2:                              ; =>This Inner Loop Header: Depth=1
	v_add_co_u32_e32 v10, vcc, s15, v2
	v_addc_co_u32_e32 v11, vcc, v5, v1, vcc
	v_add_co_u32_e32 v12, vcc, s16, v2
	v_addc_co_u32_e32 v13, vcc, v6, v1, vcc
	global_load_dword v14, v[10:11], off
	global_load_dword v15, v[12:13], off
	v_add_co_u32_e32 v2, vcc, s23, v2
	v_add_u32_e32 v9, s22, v9
	v_addc_co_u32_e32 v1, vcc, v1, v8, vcc
	v_cmp_le_i32_e32 vcc, s7, v9
	s_or_b64 s[20:21], vcc, s[20:21]
	s_waitcnt vmcnt(1)
	v_cvt_f32_f16_e64 v12, -v14
	v_cvt_f32_f16_sdwa v13, -v14 dst_sel:DWORD dst_unused:UNUSED_PAD src0_sel:WORD_1
	s_waitcnt vmcnt(0)
	v_cvt_f32_f16_e32 v10, v15
	v_cvt_f32_f16_sdwa v11, v15 dst_sel:DWORD dst_unused:UNUSED_PAD src0_sel:WORD_1
	v_mul_f32_e32 v15, 0x3fb8aa3b, v12
	v_mul_f32_e32 v16, 0x3fb8aa3b, v13
	v_fma_mix_f32 v17, -v14, s25, -v15 op_sel_hi:[1,0,0]
	v_rndne_f32_e32 v18, v15
	v_fma_mix_f32 v19, -v14, s25, -v16 op_sel:[1,0,0] op_sel_hi:[1,0,0]
	v_rndne_f32_e32 v20, v16
	v_fma_mix_f32 v17, -v14, s26, v17 op_sel_hi:[1,0,0]
	v_sub_f32_e32 v15, v15, v18
	v_fma_mix_f32 v14, -v14, s26, v19 op_sel:[1,0,0] op_sel_hi:[1,0,0]
	v_sub_f32_e32 v16, v16, v20
	v_add_f32_e32 v15, v15, v17
	v_add_f32_e32 v14, v16, v14
	v_cvt_i32_f32_e32 v18, v18
	v_cvt_i32_f32_e32 v19, v20
	v_exp_f32_e32 v15, v15
	v_exp_f32_e32 v14, v14
	v_cmp_ngt_f32_e32 vcc, s27, v13
	v_cmp_ngt_f32_e64 s[2:3], s27, v12
	v_ldexp_f32 v15, v15, v18
	v_ldexp_f32 v14, v14, v19
	v_cndmask_b32_e64 v15, 0, v15, s[2:3]
	v_cndmask_b32_e32 v14, 0, v14, vcc
	v_cmp_nlt_f32_e32 vcc, s28, v13
	v_cmp_nlt_f32_e64 s[2:3], s28, v12
	v_cndmask_b32_e64 v12, v7, v15, s[2:3]
	v_cndmask_b32_e32 v13, v7, v14, vcc
	v_pk_add_f32 v[12:13], v[12:13], 1.0 op_sel_hi:[1,0]
	v_div_scale_f32 v14, s[2:3], v13, v13, 1.0
	v_div_scale_f32 v16, s[2:3], v12, v12, 1.0
	v_rcp_f32_e32 v18, v14
	v_rcp_f32_e32 v19, v16
	v_div_scale_f32 v15, vcc, 1.0, v13, 1.0
	v_fma_f32 v20, -v14, v18, 1.0
	v_fma_f32 v21, -v16, v19, 1.0
	v_fmac_f32_e32 v18, v20, v18
	v_div_scale_f32 v17, s[2:3], 1.0, v12, 1.0
	v_fmac_f32_e32 v19, v21, v19
	v_mul_f32_e32 v20, v15, v18
	v_mul_f32_e32 v21, v17, v19
	v_fma_f32 v22, -v14, v20, v15
	v_fma_f32 v23, -v16, v21, v17
	v_fmac_f32_e32 v20, v22, v18
	v_fmac_f32_e32 v21, v23, v19
	v_fma_f32 v14, -v14, v20, v15
	v_fma_f32 v15, -v16, v21, v17
	v_div_fmas_f32 v14, v14, v18, v20
	s_mov_b64 vcc, s[2:3]
	v_div_fixup_f32 v13, v14, v13, 1.0
	v_div_fmas_f32 v14, v15, v19, v21
	v_div_fixup_f32 v12, v14, v12, 1.0
	v_pk_add_f32 v[10:11], v[12:13], v[10:11]
	ds_write_b64 v3, v[10:11]
	v_add_u32_e32 v3, s24, v3
	s_andn2_b64 exec, exec, s[20:21]
	s_cbranch_execnz .LBB125_2
.LBB125_3:
	s_or_b64 exec, exec, s[8:9]
	s_ashr_i32 s2, s12, 31
	s_lshr_b32 s3, s2, 30
	s_add_i32 s3, s12, s3
	s_ashr_i32 s15, s3, 2
	s_lshl_b32 s3, s12, 2
	s_add_i32 s28, s3, 0
	v_cmp_gt_u32_e32 vcc, 64, v0
	s_waitcnt lgkmcnt(0)
	s_barrier
	s_and_saveexec_b64 s[20:21], vcc
	s_cbranch_execz .LBB125_12
; %bb.4:
	s_load_dword s8, s[4:5], 0x4c
	v_lshrrev_b32_e32 v2, 4, v0
	s_lshr_b32 s2, s2, 29
	v_and_b32_e32 v1, 15, v0
	s_add_i32 s2, s12, s2
	s_waitcnt lgkmcnt(0)
	s_bfe_u32 s29, s8, 0xc0004
	v_mul_lo_u32 v3, s15, v2
	s_ashr_i32 s12, s2, 3
	v_lshlrev_b32_e32 v3, 2, v3
	v_lshlrev_b32_e32 v5, 3, v1
	s_mul_i32 s8, s15, s29
	v_cmp_gt_i32_e32 vcc, s12, v1
	v_cmp_eq_u32_e64 s[2:3], 0, v1
	v_add3_u32 v3, v3, v5, 0
	s_lshl_b32 s30, s8, 2
	s_mov_b64 s[22:23], 0
	s_branch .LBB125_6
.LBB125_5:                              ;   in Loop: Header=BB125_6 Depth=1
	s_or_b64 exec, exec, s[8:9]
	v_add_u32_e32 v2, s29, v2
	v_cmp_lt_u32_e64 s[8:9], 3, v2
	s_or_b64 s[22:23], s[8:9], s[22:23]
	v_add_u32_e32 v3, s30, v3
	s_andn2_b64 exec, exec, s[22:23]
	s_cbranch_execz .LBB125_12
.LBB125_6:                              ; =>This Loop Header: Depth=1
                                        ;     Child Loop BB125_8 Depth 2
	v_mov_b32_e32 v5, 0xff800000
	v_mov_b32_e32 v8, 0xff800000
	s_and_saveexec_b64 s[24:25], vcc
	s_cbranch_execz .LBB125_10
; %bb.7:                                ;   in Loop: Header=BB125_6 Depth=1
	s_mov_b64 s[26:27], 0
	v_mov_b32_e32 v5, 0xff800000
	v_mov_b32_e32 v6, v3
	;; [unrolled: 1-line block ×4, first 2 shown]
.LBB125_8:                              ;   Parent Loop BB125_6 Depth=1
                                        ; =>  This Inner Loop Header: Depth=2
	ds_read_b64 v[10:11], v6
	v_add_u32_e32 v7, 16, v7
	v_max_f32_e32 v8, v8, v8
	v_cmp_le_i32_e64 s[8:9], s12, v7
	s_or_b64 s[26:27], s[8:9], s[26:27]
	s_waitcnt lgkmcnt(0)
	v_max_f32_e32 v12, v10, v10
	v_max_f32_e32 v8, v12, v8
	v_cmp_gt_f32_e64 s[8:9], v10, v5
	v_max_f32_e32 v9, v5, v5
	v_cndmask_b32_e64 v8, v8, v5, s[8:9]
	v_max_f32_e32 v13, v11, v11
	v_max_f32_e32 v9, v12, v9
	;; [unrolled: 1-line block ×4, first 2 shown]
	v_cmp_gt_f32_e64 s[8:9], v11, v9
	v_add_u32_e32 v6, 0x80, v6
	v_max_f32_e32 v5, v13, v9
	v_cndmask_b32_e64 v8, v8, v9, s[8:9]
	s_andn2_b64 exec, exec, s[26:27]
	s_cbranch_execnz .LBB125_8
; %bb.9:                                ;   in Loop: Header=BB125_6 Depth=1
	s_or_b64 exec, exec, s[26:27]
.LBB125_10:                             ;   in Loop: Header=BB125_6 Depth=1
	s_or_b64 exec, exec, s[24:25]
	s_and_saveexec_b64 s[8:9], s[2:3]
	s_cbranch_execz .LBB125_5
; %bb.11:                               ;   in Loop: Header=BB125_6 Depth=1
	v_lshl_add_u32 v6, v2, 2, s28
	v_add_f32_e32 v5, v8, v5
	ds_write_b32 v6, v5
	s_branch .LBB125_5
.LBB125_12:
	s_or_b64 exec, exec, s[20:21]
	s_cmp_lt_i32 s14, 1
	s_waitcnt lgkmcnt(0)
	s_barrier
	s_cbranch_scc1 .LBB125_15
; %bb.13:
	v_mov_b32_e32 v1, s28
	s_mov_b32 s2, 0xff800000
	v_mov_b32_e32 v2, 0xff800000
.LBB125_14:                             ; =>This Inner Loop Header: Depth=1
	ds_read2_b32 v[6:7], v1 offset1:1
	ds_read2_b32 v[8:9], v1 offset0:2 offset1:3
	s_waitcnt lgkmcnt(1)
	v_cmp_nlg_f32_e32 vcc, s2, v6
	v_cndmask_b32_e64 v3, 0, 1, vcc
	v_cmp_lg_f32_e32 vcc, s2, v6
	v_cndmask_b32_e32 v5, v2, v6, vcc
	v_readfirstlane_b32 s3, v3
	v_cmp_gt_f32_e32 vcc, v7, v5
	s_lshl_b32 s3, s3, 2
	v_cndmask_b32_e32 v3, v5, v7, vcc
	s_and_b64 s[8:9], vcc, exec
	s_waitcnt lgkmcnt(0)
	v_cmp_gt_f32_e32 vcc, v8, v3
	v_cndmask_b32_e32 v3, v3, v8, vcc
	s_cselect_b32 s3, 1, s3
	s_and_b64 s[8:9], vcc, exec
	v_cmp_ngt_f32_e32 vcc, v9, v3
	s_cselect_b32 s3, 2, s3
	s_and_b64 s[8:9], vcc, exec
	s_cselect_b32 s3, s3, 3
	s_lshl_b32 s3, s3, 2
	s_add_i32 s3, s28, s3
	s_add_i32 s14, s14, -1
	v_mov_b32_e32 v3, s3
	s_cmp_lg_u32 s14, 0
	ds_write_b32 v3, v2
	s_cbranch_scc1 .LBB125_14
.LBB125_15:
	v_lshlrev_b32_e32 v5, 1, v0
	s_and_saveexec_b64 s[2:3], s[0:1]
	s_cbranch_execz .LBB125_20
; %bb.16:
	s_abs_i32 s12, s15
	v_cvt_f32_u32_e32 v2, s12
	s_load_dword s14, s[4:5], 0x4c
	s_ashr_i32 s20, s15, 31
	s_sub_i32 s15, 0, s12
	v_rcp_iflag_f32_e32 v2, v2
	v_lshlrev_b32_e32 v1, 1, v0
	s_waitcnt lgkmcnt(0)
	s_and_b32 s21, s14, 0xffff
	v_lshl_add_u32 v6, v0, 3, 0
	v_mul_f32_e32 v2, 0x4f7ffffe, v2
	v_cvt_u32_f32_e32 v2, v2
	s_mov_b64 s[8:9], 0
	s_lshl_b32 s22, s21, 1
	s_lshl_b32 s23, s21, 3
	v_mul_lo_u32 v3, s15, v2
	v_mul_hi_u32 v3, v2, v3
	v_add_u32_e32 v7, v2, v3
	s_mov_b32 s24, 0xff800000
	v_mov_b32_e32 v2, 0xff800000
	v_mov_b32_e32 v8, v0
	s_branch .LBB125_18
.LBB125_17:                             ;   in Loop: Header=BB125_18 Depth=1
	s_or_b64 exec, exec, s[14:15]
	v_add_u32_e32 v8, s21, v8
	v_cmp_le_i32_e32 vcc, s7, v8
	v_add_u32_e32 v1, s22, v1
	s_or_b64 s[8:9], vcc, s[8:9]
	v_add_u32_e32 v6, s23, v6
	s_andn2_b64 exec, exec, s[8:9]
	s_cbranch_execz .LBB125_20
.LBB125_18:                             ; =>This Inner Loop Header: Depth=1
	v_mul_hi_u32 v3, v1, v7
	v_mul_lo_u32 v9, v3, s12
	v_sub_u32_e32 v9, v1, v9
	v_add_u32_e32 v10, 1, v3
	v_cmp_le_u32_e32 vcc, s12, v9
	v_cndmask_b32_e32 v3, v3, v10, vcc
	v_subrev_u32_e32 v10, s12, v9
	v_cndmask_b32_e32 v9, v9, v10, vcc
	v_add_u32_e32 v10, 1, v3
	v_cmp_le_u32_e32 vcc, s12, v9
	v_cndmask_b32_e32 v3, v3, v10, vcc
	v_xor_b32_e32 v3, s20, v3
	v_subrev_u32_e32 v3, s20, v3
	v_lshl_add_u32 v3, v3, 2, s28
	ds_read_b32 v3, v3
	s_waitcnt lgkmcnt(0)
	v_cmp_neq_f32_e32 vcc, s24, v3
	s_and_saveexec_b64 s[14:15], vcc
	s_cbranch_execz .LBB125_17
; %bb.19:                               ;   in Loop: Header=BB125_18 Depth=1
	v_mov_b32_e32 v3, v2
	ds_write_b64 v6, v[2:3]
	s_branch .LBB125_17
.LBB125_20:
	s_or_b64 exec, exec, s[2:3]
	s_cmp_lt_i32 s13, 1
	s_waitcnt lgkmcnt(0)
	s_barrier
	s_cbranch_scc1 .LBB125_27
; %bb.21:
	s_add_u32 s2, s4, 64
	s_addc_u32 s3, s5, 0
	s_mov_b32 s12, 0
	v_mov_b32_e32 v6, 0
	v_mov_b32_e32 v7, 0xff800000
	;; [unrolled: 1-line block ×3, first 2 shown]
                                        ; implicit-def: $vgpr2
                                        ; implicit-def: $vgpr1
	s_branch .LBB125_23
.LBB125_22:                             ;   in Loop: Header=BB125_23 Depth=1
	s_or_b64 exec, exec, s[8:9]
	v_mov_b32_dpp v11, v9 quad_perm:[1,0,3,2] row_mask:0xf bank_mask:0xf
	v_cmp_lt_f32_e32 vcc, v9, v11
	v_cndmask_b32_e32 v9, v9, v11, vcc
	v_mov_b32_dpp v10, v8 quad_perm:[1,0,3,2] row_mask:0xf bank_mask:0xf
	v_cndmask_b32_e32 v8, v8, v10, vcc
	v_mov_b32_dpp v11, v9 quad_perm:[2,3,0,1] row_mask:0xf bank_mask:0xf
	v_cmp_gt_f32_e32 vcc, v11, v9
	v_cndmask_b32_e32 v9, v9, v11, vcc
	v_mov_b32_dpp v10, v8 quad_perm:[2,3,0,1] row_mask:0xf bank_mask:0xf
	v_cndmask_b32_e32 v8, v8, v10, vcc
	v_mov_b32_dpp v11, v9 row_half_mirror row_mask:0xf bank_mask:0xf
	v_cmp_gt_f32_e32 vcc, v11, v9
	v_cndmask_b32_e32 v9, v9, v11, vcc
	v_mov_b32_dpp v10, v8 row_half_mirror row_mask:0xf bank_mask:0xf
	v_cndmask_b32_e32 v8, v8, v10, vcc
	v_mov_b32_dpp v11, v9 row_mirror row_mask:0xf bank_mask:0xf
	v_cmp_gt_f32_e32 vcc, v11, v9
	v_cndmask_b32_e32 v9, v9, v11, vcc
	v_mov_b32_dpp v10, v8 row_mirror row_mask:0xf bank_mask:0xf
	v_cndmask_b32_e32 v8, v8, v10, vcc
	v_mov_b32_dpp v11, v9 row_bcast:15 row_mask:0xf bank_mask:0xf
	v_cmp_gt_f32_e32 vcc, v11, v9
	v_mov_b32_dpp v10, v8 row_bcast:15 row_mask:0xf bank_mask:0xf
	v_cndmask_b32_e32 v9, v9, v11, vcc
	v_cndmask_b32_e32 v8, v8, v10, vcc
	s_nop 0
	v_mov_b32_dpp v11, v9 row_bcast:31 row_mask:0xf bank_mask:0xf
	v_mov_b32_dpp v10, v8 row_bcast:31 row_mask:0xf bank_mask:0xf
	v_cmp_gt_f32_e32 vcc, v11, v9
	v_cndmask_b32_e32 v8, v8, v10, vcc
	v_readlane_b32 s8, v8, 63
	s_ashr_i32 s9, s8, 31
	s_lshl_b64 s[14:15], s[8:9], 1
	s_add_u32 s14, s16, s14
	s_addc_u32 s15, s17, s15
	global_load_ushort v8, v6, s[14:15]
	v_cndmask_b32_e32 v9, v9, v11, vcc
	v_readlane_b32 s9, v9, 63
	v_mov_b32_e32 v9, s8
	s_lshl_b32 s8, s8, 2
	v_cmp_eq_u32_e32 vcc, s12, v0
	s_add_i32 s12, s12, 1
	s_add_i32 s8, s8, 0
	v_cndmask_b32_e32 v1, v1, v9, vcc
	v_mov_b32_e32 v9, s8
	s_cmp_eq_u32 s12, s13
	ds_write_b32 v9, v7
	s_waitcnt vmcnt(0)
	v_cvt_f32_f16_e32 v8, v8
	v_sub_f32_e32 v8, s9, v8
	v_cndmask_b32_e32 v2, v2, v8, vcc
	v_add_f32_e32 v3, v3, v8
	s_cbranch_scc1 .LBB125_28
.LBB125_23:                             ; =>This Loop Header: Depth=1
                                        ;     Child Loop BB125_25 Depth 2
	v_mov_b32_e32 v8, s12
	v_mov_b32_e32 v9, 0xff800000
	s_and_saveexec_b64 s[8:9], s[0:1]
	s_cbranch_execz .LBB125_22
; %bb.24:                               ;   in Loop: Header=BB125_23 Depth=1
	s_load_dword s20, s[2:3], 0xc
	s_mov_b64 s[14:15], 0
	v_mov_b32_e32 v8, s12
	v_mov_b32_e32 v9, 0xff800000
	;; [unrolled: 1-line block ×3, first 2 shown]
	s_waitcnt lgkmcnt(0)
	s_and_b32 s20, s20, 0xffff
	s_lshl_b32 s21, s20, 1
	s_lshl_b32 s22, s20, 3
	v_mov_b32_e32 v11, v5
	v_mov_b32_e32 v12, v0
.LBB125_25:                             ;   Parent Loop BB125_23 Depth=1
                                        ; =>  This Inner Loop Header: Depth=2
	ds_read_b64 v[14:15], v10
	v_add_u32_e32 v12, s20, v12
	v_cmp_le_i32_e32 vcc, s7, v12
	s_or_b64 s[14:15], vcc, s[14:15]
	v_add_u32_e32 v13, 1, v11
	s_waitcnt lgkmcnt(0)
	v_cmp_gt_f32_e32 vcc, v14, v9
	v_cndmask_b32_e32 v9, v9, v14, vcc
	v_cndmask_b32_e32 v8, v8, v11, vcc
	v_cmp_gt_f32_e32 vcc, v15, v9
	v_add_u32_e32 v10, s22, v10
	v_cndmask_b32_e32 v9, v9, v15, vcc
	v_add_u32_e32 v11, s21, v11
	v_cndmask_b32_e32 v8, v8, v13, vcc
	s_andn2_b64 exec, exec, s[14:15]
	s_cbranch_execnz .LBB125_25
; %bb.26:                               ;   in Loop: Header=BB125_23 Depth=1
	s_or_b64 exec, exec, s[14:15]
	s_branch .LBB125_22
.LBB125_27:
	v_mov_b32_e32 v3, 0
                                        ; implicit-def: $vgpr2
                                        ; implicit-def: $vgpr1
.LBB125_28:
	v_cmp_gt_i32_e32 vcc, s13, v0
	s_and_saveexec_b64 s[0:1], vcc
	s_cbranch_execz .LBB125_31
; %bb.29:
	s_load_dword s7, s[4:5], 0x38
	s_load_dwordx2 s[0:1], s[4:5], 0x20
	s_load_dword s8, s[4:5], 0x4c
	s_waitcnt lgkmcnt(0)
	v_div_scale_f32 v4, s[2:3], v3, v3, s7
	v_rcp_f32_e32 v5, v4
	v_div_scale_f32 v6, vcc, s7, v3, s7
	s_ashr_i32 s2, s6, 31
	v_fma_f32 v7, -v4, v5, 1.0
	v_fmac_f32_e32 v5, v7, v5
	v_mul_f32_e32 v7, v6, v5
	v_fma_f32 v8, -v4, v7, v6
	v_fmac_f32_e32 v7, v8, v5
	v_fma_f32 v4, -v4, v7, v6
	s_mul_i32 s1, s6, s1
	s_mul_hi_u32 s3, s6, s0
	v_div_fmas_f32 v4, v4, v5, v7
	s_add_i32 s1, s3, s1
	s_mul_i32 s2, s2, s0
	v_div_fixup_f32 v3, v4, v3, s7
	s_add_i32 s4, s1, s2
	v_mul_f32_e32 v2, v3, v2
	s_mul_i32 s2, s6, s0
	s_and_b32 s3, s8, 0xffff
	s_mov_b64 s[0:1], 0
	v_mov_b32_e32 v3, s4
	v_mov_b32_e32 v4, s19
	;; [unrolled: 1-line block ×3, first 2 shown]
.LBB125_30:                             ; =>This Inner Loop Header: Depth=1
	v_ashrrev_i32_e32 v7, 31, v0
	v_add_co_u32_e32 v6, vcc, s2, v0
	v_addc_co_u32_e32 v7, vcc, v3, v7, vcc
	v_add_u32_e32 v0, s3, v0
	v_cmp_le_i32_e32 vcc, s13, v0
	v_lshlrev_b64 v[6:7], 2, v[6:7]
	s_or_b64 s[0:1], vcc, s[0:1]
	v_add_co_u32_e32 v8, vcc, s18, v6
	v_addc_co_u32_e32 v9, vcc, v4, v7, vcc
	v_add_co_u32_e32 v6, vcc, s10, v6
	v_addc_co_u32_e32 v7, vcc, v5, v7, vcc
	global_store_dword v[8:9], v2, off
	global_store_dword v[6:7], v1, off
	s_andn2_b64 exec, exec, s[0:1]
	s_cbranch_execnz .LBB125_30
.LBB125_31:
	s_endpgm
	.section	.rodata,"a",@progbits
	.p2align	6, 0x0
	.amdhsa_kernel _ZN5aiter19grouped_topk_kernelIN3c104HalfEDv2_fLi4ELb1ELb1ELb0EEEvPT_PKS4_PfPimiiiif
		.amdhsa_group_segment_fixed_size 0
		.amdhsa_private_segment_fixed_size 0
		.amdhsa_kernarg_size 320
		.amdhsa_user_sgpr_count 6
		.amdhsa_user_sgpr_private_segment_buffer 1
		.amdhsa_user_sgpr_dispatch_ptr 0
		.amdhsa_user_sgpr_queue_ptr 0
		.amdhsa_user_sgpr_kernarg_segment_ptr 1
		.amdhsa_user_sgpr_dispatch_id 0
		.amdhsa_user_sgpr_flat_scratch_init 0
		.amdhsa_user_sgpr_kernarg_preload_length 0
		.amdhsa_user_sgpr_kernarg_preload_offset 0
		.amdhsa_user_sgpr_private_segment_size 0
		.amdhsa_uses_dynamic_stack 0
		.amdhsa_system_sgpr_private_segment_wavefront_offset 0
		.amdhsa_system_sgpr_workgroup_id_x 1
		.amdhsa_system_sgpr_workgroup_id_y 0
		.amdhsa_system_sgpr_workgroup_id_z 0
		.amdhsa_system_sgpr_workgroup_info 0
		.amdhsa_system_vgpr_workitem_id 0
		.amdhsa_next_free_vgpr 24
		.amdhsa_next_free_sgpr 31
		.amdhsa_accum_offset 24
		.amdhsa_reserve_vcc 1
		.amdhsa_reserve_flat_scratch 0
		.amdhsa_float_round_mode_32 0
		.amdhsa_float_round_mode_16_64 0
		.amdhsa_float_denorm_mode_32 3
		.amdhsa_float_denorm_mode_16_64 3
		.amdhsa_dx10_clamp 1
		.amdhsa_ieee_mode 1
		.amdhsa_fp16_overflow 0
		.amdhsa_tg_split 0
		.amdhsa_exception_fp_ieee_invalid_op 0
		.amdhsa_exception_fp_denorm_src 0
		.amdhsa_exception_fp_ieee_div_zero 0
		.amdhsa_exception_fp_ieee_overflow 0
		.amdhsa_exception_fp_ieee_underflow 0
		.amdhsa_exception_fp_ieee_inexact 0
		.amdhsa_exception_int_div_zero 0
	.end_amdhsa_kernel
	.section	.text._ZN5aiter19grouped_topk_kernelIN3c104HalfEDv2_fLi4ELb1ELb1ELb0EEEvPT_PKS4_PfPimiiiif,"axG",@progbits,_ZN5aiter19grouped_topk_kernelIN3c104HalfEDv2_fLi4ELb1ELb1ELb0EEEvPT_PKS4_PfPimiiiif,comdat
.Lfunc_end125:
	.size	_ZN5aiter19grouped_topk_kernelIN3c104HalfEDv2_fLi4ELb1ELb1ELb0EEEvPT_PKS4_PfPimiiiif, .Lfunc_end125-_ZN5aiter19grouped_topk_kernelIN3c104HalfEDv2_fLi4ELb1ELb1ELb0EEEvPT_PKS4_PfPimiiiif
                                        ; -- End function
	.section	.AMDGPU.csdata,"",@progbits
; Kernel info:
; codeLenInByte = 2172
; NumSgprs: 35
; NumVgprs: 24
; NumAgprs: 0
; TotalNumVgprs: 24
; ScratchSize: 0
; MemoryBound: 0
; FloatMode: 240
; IeeeMode: 1
; LDSByteSize: 0 bytes/workgroup (compile time only)
; SGPRBlocks: 4
; VGPRBlocks: 2
; NumSGPRsForWavesPerEU: 35
; NumVGPRsForWavesPerEU: 24
; AccumOffset: 24
; Occupancy: 8
; WaveLimiterHint : 0
; COMPUTE_PGM_RSRC2:SCRATCH_EN: 0
; COMPUTE_PGM_RSRC2:USER_SGPR: 6
; COMPUTE_PGM_RSRC2:TRAP_HANDLER: 0
; COMPUTE_PGM_RSRC2:TGID_X_EN: 1
; COMPUTE_PGM_RSRC2:TGID_Y_EN: 0
; COMPUTE_PGM_RSRC2:TGID_Z_EN: 0
; COMPUTE_PGM_RSRC2:TIDIG_COMP_CNT: 0
; COMPUTE_PGM_RSRC3_GFX90A:ACCUM_OFFSET: 5
; COMPUTE_PGM_RSRC3_GFX90A:TG_SPLIT: 0
	.section	.text._ZN5aiter19grouped_topk_kernelIN3c108BFloat16EDv2_fLi4ELb1ELb1ELb0EEEvPT_PKS4_PfPimiiiif,"axG",@progbits,_ZN5aiter19grouped_topk_kernelIN3c108BFloat16EDv2_fLi4ELb1ELb1ELb0EEEvPT_PKS4_PfPimiiiif,comdat
	.protected	_ZN5aiter19grouped_topk_kernelIN3c108BFloat16EDv2_fLi4ELb1ELb1ELb0EEEvPT_PKS4_PfPimiiiif ; -- Begin function _ZN5aiter19grouped_topk_kernelIN3c108BFloat16EDv2_fLi4ELb1ELb1ELb0EEEvPT_PKS4_PfPimiiiif
	.globl	_ZN5aiter19grouped_topk_kernelIN3c108BFloat16EDv2_fLi4ELb1ELb1ELb0EEEvPT_PKS4_PfPimiiiif
	.p2align	8
	.type	_ZN5aiter19grouped_topk_kernelIN3c108BFloat16EDv2_fLi4ELb1ELb1ELb0EEEvPT_PKS4_PfPimiiiif,@function
_ZN5aiter19grouped_topk_kernelIN3c108BFloat16EDv2_fLi4ELb1ELb1ELb0EEEvPT_PKS4_PfPimiiiif: ; @_ZN5aiter19grouped_topk_kernelIN3c108BFloat16EDv2_fLi4ELb1ELb1ELb0EEEvPT_PKS4_PfPimiiiif
; %bb.0:
	s_load_dwordx4 s[12:15], s[4:5], 0x28
	s_load_dwordx4 s[16:19], s[4:5], 0x8
	s_load_dwordx2 s[10:11], s[4:5], 0x18
	v_lshl_add_u32 v4, v0, 3, 0
	s_waitcnt lgkmcnt(0)
	s_lshr_b32 s0, s12, 31
	s_add_i32 s0, s12, s0
	s_ashr_i32 s7, s0, 1
	v_cmp_gt_i32_e64 s[0:1], s7, v0
	s_and_saveexec_b64 s[8:9], s[0:1]
	s_cbranch_execz .LBB126_3
; %bb.1:
	s_load_dwordx2 s[2:3], s[4:5], 0x0
	s_load_dword s22, s[4:5], 0x4c
	s_mul_i32 s20, s6, s12
	s_ashr_i32 s21, s20, 31
	s_lshl_b64 s[20:21], s[20:21], 1
	s_waitcnt lgkmcnt(0)
	s_add_u32 s15, s2, s20
	s_addc_u32 s2, s3, s21
	s_and_b32 s22, s22, 0xffff
	s_mov_b32 s3, 0
	v_lshlrev_b32_e32 v2, 2, v0
	v_mov_b32_e32 v1, 0
	s_lshl_b32 s23, s22, 2
	v_lshl_add_u32 v3, v0, 3, 0
	s_lshl_b32 s24, s22, 3
	s_mov_b64 s[20:21], 0
	v_mov_b32_e32 v5, s2
	v_mov_b32_e32 v6, s17
	s_mov_b32 s25, 0xbfb8aa3b
	s_mov_b32 s26, 0x42ce8ed0
	;; [unrolled: 1-line block ×3, first 2 shown]
	v_mov_b32_e32 v7, 0x7f800000
	v_mov_b32_e32 v8, s3
	;; [unrolled: 1-line block ×3, first 2 shown]
.LBB126_2:                              ; =>This Inner Loop Header: Depth=1
	v_add_co_u32_e32 v10, vcc, s15, v2
	v_addc_co_u32_e32 v11, vcc, v5, v1, vcc
	v_add_co_u32_e32 v12, vcc, s16, v2
	v_addc_co_u32_e32 v13, vcc, v6, v1, vcc
	global_load_dword v14, v[10:11], off
	global_load_dword v15, v[12:13], off
	v_add_co_u32_e32 v2, vcc, s23, v2
	v_add_u32_e32 v9, s22, v9
	v_addc_co_u32_e32 v1, vcc, v1, v8, vcc
	v_cmp_le_i32_e32 vcc, s7, v9
	s_or_b64 s[20:21], vcc, s[20:21]
	s_waitcnt vmcnt(1)
	v_cvt_f32_u32_sdwa v12, v14 dst_sel:DWORD dst_unused:UNUSED_PAD src0_sel:WORD_1
	v_cvt_f32_u32_sdwa v13, v14 dst_sel:DWORD dst_unused:UNUSED_PAD src0_sel:WORD_0
	s_waitcnt vmcnt(0)
	v_cvt_f32_u32_sdwa v11, v15 dst_sel:DWORD dst_unused:UNUSED_PAD src0_sel:WORD_1
	v_cvt_f32_u32_sdwa v10, v15 dst_sel:DWORD dst_unused:UNUSED_PAD src0_sel:WORD_0
	v_mul_f32_e32 v14, 0xbfb8aa3b, v12
	v_mul_f32_e32 v15, 0xbfb8aa3b, v13
	v_fma_f32 v16, v12, s25, -v14
	v_rndne_f32_e32 v17, v14
	v_fma_f32 v18, v13, s25, -v15
	v_rndne_f32_e32 v19, v15
	v_fmac_f32_e32 v16, 0xb2a5705f, v12
	v_sub_f32_e32 v14, v14, v17
	v_fmac_f32_e32 v18, 0xb2a5705f, v13
	v_sub_f32_e32 v15, v15, v19
	v_add_f32_e32 v14, v14, v16
	v_add_f32_e32 v15, v15, v18
	v_cvt_i32_f32_e32 v17, v17
	v_cvt_i32_f32_e32 v19, v19
	v_exp_f32_e32 v14, v14
	v_exp_f32_e32 v15, v15
	v_cmp_nlt_f32_e32 vcc, s26, v13
	v_cmp_nlt_f32_e64 s[2:3], s26, v12
	v_ldexp_f32 v14, v14, v17
	v_ldexp_f32 v15, v15, v19
	v_cndmask_b32_e64 v14, 0, v14, s[2:3]
	v_cndmask_b32_e32 v15, 0, v15, vcc
	v_cmp_ngt_f32_e32 vcc, s27, v13
	v_cmp_ngt_f32_e64 s[2:3], s27, v12
	v_cndmask_b32_e64 v13, v7, v14, s[2:3]
	v_cndmask_b32_e32 v12, v7, v15, vcc
	v_pk_add_f32 v[12:13], v[12:13], 1.0 op_sel_hi:[1,0]
	v_div_scale_f32 v14, s[2:3], v13, v13, 1.0
	v_div_scale_f32 v16, s[2:3], v12, v12, 1.0
	v_rcp_f32_e32 v18, v14
	v_rcp_f32_e32 v19, v16
	v_div_scale_f32 v15, vcc, 1.0, v13, 1.0
	v_fma_f32 v20, -v14, v18, 1.0
	v_fma_f32 v21, -v16, v19, 1.0
	v_fmac_f32_e32 v18, v20, v18
	v_div_scale_f32 v17, s[2:3], 1.0, v12, 1.0
	v_fmac_f32_e32 v19, v21, v19
	v_mul_f32_e32 v20, v15, v18
	v_mul_f32_e32 v21, v17, v19
	v_fma_f32 v22, -v14, v20, v15
	v_fma_f32 v23, -v16, v21, v17
	v_fmac_f32_e32 v20, v22, v18
	v_fmac_f32_e32 v21, v23, v19
	v_fma_f32 v14, -v14, v20, v15
	v_fma_f32 v15, -v16, v21, v17
	v_div_fmas_f32 v14, v14, v18, v20
	s_mov_b64 vcc, s[2:3]
	v_div_fixup_f32 v13, v14, v13, 1.0
	v_div_fmas_f32 v14, v15, v19, v21
	v_div_fixup_f32 v12, v14, v12, 1.0
	v_pk_add_f32 v[10:11], v[12:13], v[10:11]
	ds_write_b64 v3, v[10:11]
	v_add_u32_e32 v3, s24, v3
	s_andn2_b64 exec, exec, s[20:21]
	s_cbranch_execnz .LBB126_2
.LBB126_3:
	s_or_b64 exec, exec, s[8:9]
	s_ashr_i32 s2, s12, 31
	s_lshr_b32 s3, s2, 30
	s_add_i32 s3, s12, s3
	s_ashr_i32 s15, s3, 2
	s_lshl_b32 s3, s12, 2
	s_add_i32 s28, s3, 0
	v_cmp_gt_u32_e32 vcc, 64, v0
	s_waitcnt lgkmcnt(0)
	s_barrier
	s_and_saveexec_b64 s[20:21], vcc
	s_cbranch_execz .LBB126_12
; %bb.4:
	s_load_dword s8, s[4:5], 0x4c
	v_lshrrev_b32_e32 v2, 4, v0
	s_lshr_b32 s2, s2, 29
	v_and_b32_e32 v1, 15, v0
	s_add_i32 s2, s12, s2
	s_waitcnt lgkmcnt(0)
	s_bfe_u32 s29, s8, 0xc0004
	v_mul_lo_u32 v3, s15, v2
	s_ashr_i32 s12, s2, 3
	v_lshlrev_b32_e32 v3, 2, v3
	v_lshlrev_b32_e32 v5, 3, v1
	s_mul_i32 s8, s15, s29
	v_cmp_gt_i32_e32 vcc, s12, v1
	v_cmp_eq_u32_e64 s[2:3], 0, v1
	v_add3_u32 v3, v3, v5, 0
	s_lshl_b32 s30, s8, 2
	s_mov_b64 s[22:23], 0
	s_branch .LBB126_6
.LBB126_5:                              ;   in Loop: Header=BB126_6 Depth=1
	s_or_b64 exec, exec, s[8:9]
	v_add_u32_e32 v2, s29, v2
	v_cmp_lt_u32_e64 s[8:9], 3, v2
	s_or_b64 s[22:23], s[8:9], s[22:23]
	v_add_u32_e32 v3, s30, v3
	s_andn2_b64 exec, exec, s[22:23]
	s_cbranch_execz .LBB126_12
.LBB126_6:                              ; =>This Loop Header: Depth=1
                                        ;     Child Loop BB126_8 Depth 2
	v_mov_b32_e32 v5, 0xff800000
	v_mov_b32_e32 v8, 0xff800000
	s_and_saveexec_b64 s[24:25], vcc
	s_cbranch_execz .LBB126_10
; %bb.7:                                ;   in Loop: Header=BB126_6 Depth=1
	s_mov_b64 s[26:27], 0
	v_mov_b32_e32 v5, 0xff800000
	v_mov_b32_e32 v6, v3
	;; [unrolled: 1-line block ×4, first 2 shown]
.LBB126_8:                              ;   Parent Loop BB126_6 Depth=1
                                        ; =>  This Inner Loop Header: Depth=2
	ds_read_b64 v[10:11], v6
	v_add_u32_e32 v7, 16, v7
	v_max_f32_e32 v8, v8, v8
	v_cmp_le_i32_e64 s[8:9], s12, v7
	s_or_b64 s[26:27], s[8:9], s[26:27]
	s_waitcnt lgkmcnt(0)
	v_max_f32_e32 v12, v10, v10
	v_max_f32_e32 v8, v12, v8
	v_cmp_gt_f32_e64 s[8:9], v10, v5
	v_max_f32_e32 v9, v5, v5
	v_cndmask_b32_e64 v8, v8, v5, s[8:9]
	v_max_f32_e32 v13, v11, v11
	v_max_f32_e32 v9, v12, v9
	;; [unrolled: 1-line block ×4, first 2 shown]
	v_cmp_gt_f32_e64 s[8:9], v11, v9
	v_add_u32_e32 v6, 0x80, v6
	v_max_f32_e32 v5, v13, v9
	v_cndmask_b32_e64 v8, v8, v9, s[8:9]
	s_andn2_b64 exec, exec, s[26:27]
	s_cbranch_execnz .LBB126_8
; %bb.9:                                ;   in Loop: Header=BB126_6 Depth=1
	s_or_b64 exec, exec, s[26:27]
.LBB126_10:                             ;   in Loop: Header=BB126_6 Depth=1
	s_or_b64 exec, exec, s[24:25]
	s_and_saveexec_b64 s[8:9], s[2:3]
	s_cbranch_execz .LBB126_5
; %bb.11:                               ;   in Loop: Header=BB126_6 Depth=1
	v_lshl_add_u32 v6, v2, 2, s28
	v_add_f32_e32 v5, v8, v5
	ds_write_b32 v6, v5
	s_branch .LBB126_5
.LBB126_12:
	s_or_b64 exec, exec, s[20:21]
	s_cmp_lt_i32 s14, 1
	s_waitcnt lgkmcnt(0)
	s_barrier
	s_cbranch_scc1 .LBB126_15
; %bb.13:
	v_mov_b32_e32 v1, s28
	s_mov_b32 s2, 0xff800000
	v_mov_b32_e32 v2, 0xff800000
.LBB126_14:                             ; =>This Inner Loop Header: Depth=1
	ds_read2_b32 v[6:7], v1 offset1:1
	ds_read2_b32 v[8:9], v1 offset0:2 offset1:3
	s_waitcnt lgkmcnt(1)
	v_cmp_nlg_f32_e32 vcc, s2, v6
	v_cndmask_b32_e64 v3, 0, 1, vcc
	v_cmp_lg_f32_e32 vcc, s2, v6
	v_cndmask_b32_e32 v5, v2, v6, vcc
	v_readfirstlane_b32 s3, v3
	v_cmp_gt_f32_e32 vcc, v7, v5
	s_lshl_b32 s3, s3, 2
	v_cndmask_b32_e32 v3, v5, v7, vcc
	s_and_b64 s[8:9], vcc, exec
	s_waitcnt lgkmcnt(0)
	v_cmp_gt_f32_e32 vcc, v8, v3
	v_cndmask_b32_e32 v3, v3, v8, vcc
	s_cselect_b32 s3, 1, s3
	s_and_b64 s[8:9], vcc, exec
	v_cmp_ngt_f32_e32 vcc, v9, v3
	s_cselect_b32 s3, 2, s3
	s_and_b64 s[8:9], vcc, exec
	s_cselect_b32 s3, s3, 3
	s_lshl_b32 s3, s3, 2
	s_add_i32 s3, s28, s3
	s_add_i32 s14, s14, -1
	v_mov_b32_e32 v3, s3
	s_cmp_lg_u32 s14, 0
	ds_write_b32 v3, v2
	s_cbranch_scc1 .LBB126_14
.LBB126_15:
	v_lshlrev_b32_e32 v5, 1, v0
	s_and_saveexec_b64 s[2:3], s[0:1]
	s_cbranch_execz .LBB126_20
; %bb.16:
	s_abs_i32 s12, s15
	v_cvt_f32_u32_e32 v2, s12
	s_load_dword s14, s[4:5], 0x4c
	s_ashr_i32 s20, s15, 31
	s_sub_i32 s15, 0, s12
	v_rcp_iflag_f32_e32 v2, v2
	v_lshlrev_b32_e32 v1, 1, v0
	s_waitcnt lgkmcnt(0)
	s_and_b32 s21, s14, 0xffff
	v_lshl_add_u32 v6, v0, 3, 0
	v_mul_f32_e32 v2, 0x4f7ffffe, v2
	v_cvt_u32_f32_e32 v2, v2
	s_mov_b64 s[8:9], 0
	s_lshl_b32 s22, s21, 1
	s_lshl_b32 s23, s21, 3
	v_mul_lo_u32 v3, s15, v2
	v_mul_hi_u32 v3, v2, v3
	v_add_u32_e32 v7, v2, v3
	s_mov_b32 s24, 0xff800000
	v_mov_b32_e32 v2, 0xff800000
	v_mov_b32_e32 v8, v0
	s_branch .LBB126_18
.LBB126_17:                             ;   in Loop: Header=BB126_18 Depth=1
	s_or_b64 exec, exec, s[14:15]
	v_add_u32_e32 v8, s21, v8
	v_cmp_le_i32_e32 vcc, s7, v8
	v_add_u32_e32 v1, s22, v1
	s_or_b64 s[8:9], vcc, s[8:9]
	v_add_u32_e32 v6, s23, v6
	s_andn2_b64 exec, exec, s[8:9]
	s_cbranch_execz .LBB126_20
.LBB126_18:                             ; =>This Inner Loop Header: Depth=1
	v_mul_hi_u32 v3, v1, v7
	v_mul_lo_u32 v9, v3, s12
	v_sub_u32_e32 v9, v1, v9
	v_add_u32_e32 v10, 1, v3
	v_cmp_le_u32_e32 vcc, s12, v9
	v_cndmask_b32_e32 v3, v3, v10, vcc
	v_subrev_u32_e32 v10, s12, v9
	v_cndmask_b32_e32 v9, v9, v10, vcc
	v_add_u32_e32 v10, 1, v3
	v_cmp_le_u32_e32 vcc, s12, v9
	v_cndmask_b32_e32 v3, v3, v10, vcc
	v_xor_b32_e32 v3, s20, v3
	v_subrev_u32_e32 v3, s20, v3
	v_lshl_add_u32 v3, v3, 2, s28
	ds_read_b32 v3, v3
	s_waitcnt lgkmcnt(0)
	v_cmp_neq_f32_e32 vcc, s24, v3
	s_and_saveexec_b64 s[14:15], vcc
	s_cbranch_execz .LBB126_17
; %bb.19:                               ;   in Loop: Header=BB126_18 Depth=1
	v_mov_b32_e32 v3, v2
	ds_write_b64 v6, v[2:3]
	s_branch .LBB126_17
.LBB126_20:
	s_or_b64 exec, exec, s[2:3]
	s_cmp_lt_i32 s13, 1
	s_waitcnt lgkmcnt(0)
	s_barrier
	s_cbranch_scc1 .LBB126_27
; %bb.21:
	s_add_u32 s2, s4, 64
	s_addc_u32 s3, s5, 0
	s_mov_b32 s12, 0
	v_mov_b32_e32 v6, 0
	v_mov_b32_e32 v7, 0xff800000
	;; [unrolled: 1-line block ×3, first 2 shown]
                                        ; implicit-def: $vgpr2
                                        ; implicit-def: $vgpr1
	s_branch .LBB126_23
.LBB126_22:                             ;   in Loop: Header=BB126_23 Depth=1
	s_or_b64 exec, exec, s[8:9]
	v_mov_b32_dpp v11, v9 quad_perm:[1,0,3,2] row_mask:0xf bank_mask:0xf
	v_cmp_lt_f32_e32 vcc, v9, v11
	v_cndmask_b32_e32 v9, v9, v11, vcc
	v_mov_b32_dpp v10, v8 quad_perm:[1,0,3,2] row_mask:0xf bank_mask:0xf
	v_cndmask_b32_e32 v8, v8, v10, vcc
	v_mov_b32_dpp v11, v9 quad_perm:[2,3,0,1] row_mask:0xf bank_mask:0xf
	v_cmp_gt_f32_e32 vcc, v11, v9
	v_cndmask_b32_e32 v9, v9, v11, vcc
	v_mov_b32_dpp v10, v8 quad_perm:[2,3,0,1] row_mask:0xf bank_mask:0xf
	v_cndmask_b32_e32 v8, v8, v10, vcc
	v_mov_b32_dpp v11, v9 row_half_mirror row_mask:0xf bank_mask:0xf
	v_cmp_gt_f32_e32 vcc, v11, v9
	v_cndmask_b32_e32 v9, v9, v11, vcc
	v_mov_b32_dpp v10, v8 row_half_mirror row_mask:0xf bank_mask:0xf
	v_cndmask_b32_e32 v8, v8, v10, vcc
	v_mov_b32_dpp v11, v9 row_mirror row_mask:0xf bank_mask:0xf
	v_cmp_gt_f32_e32 vcc, v11, v9
	v_cndmask_b32_e32 v9, v9, v11, vcc
	v_mov_b32_dpp v10, v8 row_mirror row_mask:0xf bank_mask:0xf
	v_cndmask_b32_e32 v8, v8, v10, vcc
	v_mov_b32_dpp v11, v9 row_bcast:15 row_mask:0xf bank_mask:0xf
	v_cmp_gt_f32_e32 vcc, v11, v9
	v_mov_b32_dpp v10, v8 row_bcast:15 row_mask:0xf bank_mask:0xf
	v_cndmask_b32_e32 v9, v9, v11, vcc
	v_cndmask_b32_e32 v8, v8, v10, vcc
	s_nop 0
	v_mov_b32_dpp v11, v9 row_bcast:31 row_mask:0xf bank_mask:0xf
	v_mov_b32_dpp v10, v8 row_bcast:31 row_mask:0xf bank_mask:0xf
	v_cmp_gt_f32_e32 vcc, v11, v9
	v_cndmask_b32_e32 v8, v8, v10, vcc
	v_readlane_b32 s8, v8, 63
	s_ashr_i32 s9, s8, 31
	s_lshl_b64 s[14:15], s[8:9], 1
	s_add_u32 s14, s16, s14
	s_addc_u32 s15, s17, s15
	global_load_ushort v8, v6, s[14:15]
	v_cndmask_b32_e32 v9, v9, v11, vcc
	v_readlane_b32 s9, v9, 63
	v_mov_b32_e32 v9, s8
	s_lshl_b32 s8, s8, 2
	v_cmp_eq_u32_e32 vcc, s12, v0
	s_add_i32 s8, s8, 0
	v_cndmask_b32_e32 v1, v1, v9, vcc
	v_mov_b32_e32 v9, s8
	ds_write_b32 v9, v7
	s_add_i32 s12, s12, 1
	s_cmp_eq_u32 s12, s13
	s_waitcnt vmcnt(0)
	v_and_b32_e32 v9, 0xff, v8
	v_lshlrev_b32_e32 v8, 16, v8
	v_lshlrev_b32_e32 v9, 16, v9
	v_and_b32_e32 v8, 0xff000000, v8
	v_or_b32_e32 v8, v9, v8
	v_sub_f32_e32 v8, s9, v8
	v_cndmask_b32_e32 v2, v2, v8, vcc
	v_add_f32_e32 v3, v3, v8
	s_cbranch_scc1 .LBB126_28
.LBB126_23:                             ; =>This Loop Header: Depth=1
                                        ;     Child Loop BB126_25 Depth 2
	v_mov_b32_e32 v8, s12
	v_mov_b32_e32 v9, 0xff800000
	s_and_saveexec_b64 s[8:9], s[0:1]
	s_cbranch_execz .LBB126_22
; %bb.24:                               ;   in Loop: Header=BB126_23 Depth=1
	s_load_dword s20, s[2:3], 0xc
	s_mov_b64 s[14:15], 0
	v_mov_b32_e32 v8, s12
	v_mov_b32_e32 v9, 0xff800000
	;; [unrolled: 1-line block ×3, first 2 shown]
	s_waitcnt lgkmcnt(0)
	s_and_b32 s20, s20, 0xffff
	s_lshl_b32 s21, s20, 1
	s_lshl_b32 s22, s20, 3
	v_mov_b32_e32 v11, v5
	v_mov_b32_e32 v12, v0
.LBB126_25:                             ;   Parent Loop BB126_23 Depth=1
                                        ; =>  This Inner Loop Header: Depth=2
	ds_read_b64 v[14:15], v10
	v_add_u32_e32 v12, s20, v12
	v_cmp_le_i32_e32 vcc, s7, v12
	s_or_b64 s[14:15], vcc, s[14:15]
	v_add_u32_e32 v13, 1, v11
	s_waitcnt lgkmcnt(0)
	v_cmp_gt_f32_e32 vcc, v14, v9
	v_cndmask_b32_e32 v9, v9, v14, vcc
	v_cndmask_b32_e32 v8, v8, v11, vcc
	v_cmp_gt_f32_e32 vcc, v15, v9
	v_add_u32_e32 v10, s22, v10
	v_cndmask_b32_e32 v9, v9, v15, vcc
	v_add_u32_e32 v11, s21, v11
	v_cndmask_b32_e32 v8, v8, v13, vcc
	s_andn2_b64 exec, exec, s[14:15]
	s_cbranch_execnz .LBB126_25
; %bb.26:                               ;   in Loop: Header=BB126_23 Depth=1
	s_or_b64 exec, exec, s[14:15]
	s_branch .LBB126_22
.LBB126_27:
	v_mov_b32_e32 v3, 0
                                        ; implicit-def: $vgpr2
                                        ; implicit-def: $vgpr1
.LBB126_28:
	v_cmp_gt_i32_e32 vcc, s13, v0
	s_and_saveexec_b64 s[0:1], vcc
	s_cbranch_execz .LBB126_31
; %bb.29:
	s_load_dword s7, s[4:5], 0x38
	s_load_dwordx2 s[0:1], s[4:5], 0x20
	s_load_dword s8, s[4:5], 0x4c
	s_waitcnt lgkmcnt(0)
	v_div_scale_f32 v4, s[2:3], v3, v3, s7
	v_rcp_f32_e32 v5, v4
	v_div_scale_f32 v6, vcc, s7, v3, s7
	s_ashr_i32 s2, s6, 31
	v_fma_f32 v7, -v4, v5, 1.0
	v_fmac_f32_e32 v5, v7, v5
	v_mul_f32_e32 v7, v6, v5
	v_fma_f32 v8, -v4, v7, v6
	v_fmac_f32_e32 v7, v8, v5
	v_fma_f32 v4, -v4, v7, v6
	s_mul_i32 s1, s6, s1
	s_mul_hi_u32 s3, s6, s0
	v_div_fmas_f32 v4, v4, v5, v7
	s_add_i32 s1, s3, s1
	s_mul_i32 s2, s2, s0
	v_div_fixup_f32 v3, v4, v3, s7
	s_add_i32 s4, s1, s2
	v_mul_f32_e32 v2, v3, v2
	s_mul_i32 s2, s6, s0
	s_and_b32 s3, s8, 0xffff
	s_mov_b64 s[0:1], 0
	v_mov_b32_e32 v3, s4
	v_mov_b32_e32 v4, s19
	v_mov_b32_e32 v5, s11
.LBB126_30:                             ; =>This Inner Loop Header: Depth=1
	v_ashrrev_i32_e32 v7, 31, v0
	v_add_co_u32_e32 v6, vcc, s2, v0
	v_addc_co_u32_e32 v7, vcc, v3, v7, vcc
	v_add_u32_e32 v0, s3, v0
	v_cmp_le_i32_e32 vcc, s13, v0
	v_lshlrev_b64 v[6:7], 2, v[6:7]
	s_or_b64 s[0:1], vcc, s[0:1]
	v_add_co_u32_e32 v8, vcc, s18, v6
	v_addc_co_u32_e32 v9, vcc, v4, v7, vcc
	v_add_co_u32_e32 v6, vcc, s10, v6
	v_addc_co_u32_e32 v7, vcc, v5, v7, vcc
	global_store_dword v[8:9], v2, off
	global_store_dword v[6:7], v1, off
	s_andn2_b64 exec, exec, s[0:1]
	s_cbranch_execnz .LBB126_30
.LBB126_31:
	s_endpgm
	.section	.rodata,"a",@progbits
	.p2align	6, 0x0
	.amdhsa_kernel _ZN5aiter19grouped_topk_kernelIN3c108BFloat16EDv2_fLi4ELb1ELb1ELb0EEEvPT_PKS4_PfPimiiiif
		.amdhsa_group_segment_fixed_size 0
		.amdhsa_private_segment_fixed_size 0
		.amdhsa_kernarg_size 320
		.amdhsa_user_sgpr_count 6
		.amdhsa_user_sgpr_private_segment_buffer 1
		.amdhsa_user_sgpr_dispatch_ptr 0
		.amdhsa_user_sgpr_queue_ptr 0
		.amdhsa_user_sgpr_kernarg_segment_ptr 1
		.amdhsa_user_sgpr_dispatch_id 0
		.amdhsa_user_sgpr_flat_scratch_init 0
		.amdhsa_user_sgpr_kernarg_preload_length 0
		.amdhsa_user_sgpr_kernarg_preload_offset 0
		.amdhsa_user_sgpr_private_segment_size 0
		.amdhsa_uses_dynamic_stack 0
		.amdhsa_system_sgpr_private_segment_wavefront_offset 0
		.amdhsa_system_sgpr_workgroup_id_x 1
		.amdhsa_system_sgpr_workgroup_id_y 0
		.amdhsa_system_sgpr_workgroup_id_z 0
		.amdhsa_system_sgpr_workgroup_info 0
		.amdhsa_system_vgpr_workitem_id 0
		.amdhsa_next_free_vgpr 24
		.amdhsa_next_free_sgpr 31
		.amdhsa_accum_offset 24
		.amdhsa_reserve_vcc 1
		.amdhsa_reserve_flat_scratch 0
		.amdhsa_float_round_mode_32 0
		.amdhsa_float_round_mode_16_64 0
		.amdhsa_float_denorm_mode_32 3
		.amdhsa_float_denorm_mode_16_64 3
		.amdhsa_dx10_clamp 1
		.amdhsa_ieee_mode 1
		.amdhsa_fp16_overflow 0
		.amdhsa_tg_split 0
		.amdhsa_exception_fp_ieee_invalid_op 0
		.amdhsa_exception_fp_denorm_src 0
		.amdhsa_exception_fp_ieee_div_zero 0
		.amdhsa_exception_fp_ieee_overflow 0
		.amdhsa_exception_fp_ieee_underflow 0
		.amdhsa_exception_fp_ieee_inexact 0
		.amdhsa_exception_int_div_zero 0
	.end_amdhsa_kernel
	.section	.text._ZN5aiter19grouped_topk_kernelIN3c108BFloat16EDv2_fLi4ELb1ELb1ELb0EEEvPT_PKS4_PfPimiiiif,"axG",@progbits,_ZN5aiter19grouped_topk_kernelIN3c108BFloat16EDv2_fLi4ELb1ELb1ELb0EEEvPT_PKS4_PfPimiiiif,comdat
.Lfunc_end126:
	.size	_ZN5aiter19grouped_topk_kernelIN3c108BFloat16EDv2_fLi4ELb1ELb1ELb0EEEvPT_PKS4_PfPimiiiif, .Lfunc_end126-_ZN5aiter19grouped_topk_kernelIN3c108BFloat16EDv2_fLi4ELb1ELb1ELb0EEEvPT_PKS4_PfPimiiiif
                                        ; -- End function
	.section	.AMDGPU.csdata,"",@progbits
; Kernel info:
; codeLenInByte = 2192
; NumSgprs: 35
; NumVgprs: 24
; NumAgprs: 0
; TotalNumVgprs: 24
; ScratchSize: 0
; MemoryBound: 0
; FloatMode: 240
; IeeeMode: 1
; LDSByteSize: 0 bytes/workgroup (compile time only)
; SGPRBlocks: 4
; VGPRBlocks: 2
; NumSGPRsForWavesPerEU: 35
; NumVGPRsForWavesPerEU: 24
; AccumOffset: 24
; Occupancy: 8
; WaveLimiterHint : 0
; COMPUTE_PGM_RSRC2:SCRATCH_EN: 0
; COMPUTE_PGM_RSRC2:USER_SGPR: 6
; COMPUTE_PGM_RSRC2:TRAP_HANDLER: 0
; COMPUTE_PGM_RSRC2:TGID_X_EN: 1
; COMPUTE_PGM_RSRC2:TGID_Y_EN: 0
; COMPUTE_PGM_RSRC2:TGID_Z_EN: 0
; COMPUTE_PGM_RSRC2:TIDIG_COMP_CNT: 0
; COMPUTE_PGM_RSRC3_GFX90A:ACCUM_OFFSET: 5
; COMPUTE_PGM_RSRC3_GFX90A:TG_SPLIT: 0
	.section	.text._ZN5aiter19grouped_topk_kernelIfDv2_fLi4ELb1ELb0ELb1EEEvPT_PKS2_PfPimiiiif,"axG",@progbits,_ZN5aiter19grouped_topk_kernelIfDv2_fLi4ELb1ELb0ELb1EEEvPT_PKS2_PfPimiiiif,comdat
	.protected	_ZN5aiter19grouped_topk_kernelIfDv2_fLi4ELb1ELb0ELb1EEEvPT_PKS2_PfPimiiiif ; -- Begin function _ZN5aiter19grouped_topk_kernelIfDv2_fLi4ELb1ELb0ELb1EEEvPT_PKS2_PfPimiiiif
	.globl	_ZN5aiter19grouped_topk_kernelIfDv2_fLi4ELb1ELb0ELb1EEEvPT_PKS2_PfPimiiiif
	.p2align	8
	.type	_ZN5aiter19grouped_topk_kernelIfDv2_fLi4ELb1ELb0ELb1EEEvPT_PKS2_PfPimiiiif,@function
_ZN5aiter19grouped_topk_kernelIfDv2_fLi4ELb1ELb0ELb1EEEvPT_PKS2_PfPimiiiif: ; @_ZN5aiter19grouped_topk_kernelIfDv2_fLi4ELb1ELb0ELb1EEEvPT_PKS2_PfPimiiiif
; %bb.0:
	s_load_dwordx4 s[8:11], s[4:5], 0x28
	s_load_dwordx4 s[12:15], s[4:5], 0x10
	v_mov_b32_e32 v1, 0xff800000
	s_waitcnt lgkmcnt(0)
	v_cmp_gt_i32_e32 vcc, s8, v0
	s_and_saveexec_b64 s[2:3], vcc
	s_cbranch_execz .LBB127_4
; %bb.1:
	s_load_dword s0, s[4:5], 0x4c
	s_load_dwordx2 s[16:17], s[4:5], 0x0
	s_mul_i32 s7, s6, s8
	v_lshl_add_u32 v2, v0, 2, 0
	s_mov_b64 s[18:19], 0
	s_waitcnt lgkmcnt(0)
	s_and_b32 s11, s0, 0xffff
	s_lshl_b32 s20, s11, 2
	v_mov_b32_e32 v1, 0xff800000
	v_mov_b32_e32 v3, s17
	;; [unrolled: 1-line block ×3, first 2 shown]
.LBB127_2:                              ; =>This Inner Loop Header: Depth=1
	v_add_u32_e32 v6, s7, v4
	v_ashrrev_i32_e32 v7, 31, v6
	v_lshlrev_b64 v[6:7], 2, v[6:7]
	v_add_co_u32_e64 v6, s[0:1], s16, v6
	v_addc_co_u32_e64 v7, s[0:1], v3, v7, s[0:1]
	global_load_dword v5, v[6:7], off
	v_add_u32_e32 v4, s11, v4
	v_cmp_le_i32_e64 s[0:1], s8, v4
	s_or_b64 s[18:19], s[0:1], s[18:19]
	s_waitcnt vmcnt(0)
	v_cmp_gt_f32_e64 s[0:1], v5, v1
	ds_write_b32 v2, v5
	v_cndmask_b32_e64 v1, v1, v5, s[0:1]
	v_add_u32_e32 v2, s20, v2
	s_andn2_b64 exec, exec, s[18:19]
	s_cbranch_execnz .LBB127_2
; %bb.3:
	s_or_b64 exec, exec, s[18:19]
.LBB127_4:
	s_or_b64 exec, exec, s[2:3]
	v_mov_b32_dpp v2, v1 quad_perm:[1,0,3,2] row_mask:0xf bank_mask:0xf
	v_cmp_lt_f32_e64 s[0:1], v1, v2
	v_cndmask_b32_e64 v1, v1, v2, s[0:1]
	v_bfrev_b32_e32 v3, 0.5
	s_waitcnt lgkmcnt(0)
	v_mov_b32_dpp v2, v1 quad_perm:[2,3,0,1] row_mask:0xf bank_mask:0xf
	v_cmp_lt_f32_e64 s[0:1], v1, v2
	v_cndmask_b32_e64 v1, v1, v2, s[0:1]
	s_barrier
	s_nop 0
	v_mov_b32_dpp v2, v1 row_half_mirror row_mask:0xf bank_mask:0xf
	v_cmp_lt_f32_e64 s[0:1], v1, v2
	v_cndmask_b32_e64 v1, v1, v2, s[0:1]
	s_nop 1
	v_mov_b32_dpp v2, v1 row_mirror row_mask:0xf bank_mask:0xf
	v_cmp_lt_f32_e64 s[0:1], v1, v2
	v_cndmask_b32_e64 v1, v1, v2, s[0:1]
	s_nop 1
	v_mov_b32_dpp v2, v1 row_bcast:15 row_mask:0xf bank_mask:0xf
	v_cmp_lt_f32_e64 s[0:1], v1, v2
	v_cndmask_b32_e64 v1, v1, v2, s[0:1]
	s_nop 1
	v_mov_b32_dpp v2, v1 row_bcast:31 row_mask:0xf bank_mask:0xf
	v_cmp_lt_f32_e64 s[0:1], v1, v2
	v_cndmask_b32_e64 v2, v1, v2, s[0:1]
	v_mbcnt_lo_u32_b32 v1, -1, 0
	v_mbcnt_hi_u32_b32 v1, -1, v1
	v_lshl_or_b32 v1, v1, 2, v3
	ds_bpermute_b32 v3, v1, v2
	v_mov_b32_e32 v2, 0
	s_and_saveexec_b64 s[2:3], vcc
	s_cbranch_execz .LBB127_8
; %bb.5:
	s_load_dword s0, s[4:5], 0x4c
	v_lshl_add_u32 v4, v0, 2, 0
	s_mov_b64 s[16:17], 0
	v_mov_b32_e32 v2, 0
	s_mov_b32 s7, 0x3fb8aa3b
	s_waitcnt lgkmcnt(0)
	s_and_b32 s11, s0, 0xffff
	s_lshl_b32 s18, s11, 2
	s_mov_b32 s19, 0xc2ce8ed0
	s_mov_b32 s20, 0x42b17218
	v_mov_b32_e32 v5, 0x7f800000
	v_mov_b32_e32 v6, v0
.LBB127_6:                              ; =>This Inner Loop Header: Depth=1
	ds_read_b32 v7, v4
	v_add_u32_e32 v6, s11, v6
	s_waitcnt lgkmcnt(0)
	v_sub_f32_e32 v7, v7, v3
	v_mul_f32_e32 v8, 0x3fb8aa3b, v7
	v_fma_f32 v9, v7, s7, -v8
	v_rndne_f32_e32 v10, v8
	v_fmac_f32_e32 v9, 0x32a5705f, v7
	v_sub_f32_e32 v8, v8, v10
	v_add_f32_e32 v8, v8, v9
	v_cvt_i32_f32_e32 v10, v10
	v_exp_f32_e32 v8, v8
	v_cmp_ngt_f32_e64 s[0:1], s19, v7
	v_ldexp_f32 v8, v8, v10
	v_cndmask_b32_e64 v8, 0, v8, s[0:1]
	v_cmp_nlt_f32_e64 s[0:1], s20, v7
	v_cndmask_b32_e64 v7, v5, v8, s[0:1]
	v_cmp_le_i32_e64 s[0:1], s8, v6
	ds_write_b32 v4, v7
	v_add_f32_e32 v2, v2, v7
	s_or_b64 s[16:17], s[0:1], s[16:17]
	v_add_u32_e32 v4, s18, v4
	s_andn2_b64 exec, exec, s[16:17]
	s_cbranch_execnz .LBB127_6
; %bb.7:
	s_or_b64 exec, exec, s[16:17]
.LBB127_8:
	s_or_b64 exec, exec, s[2:3]
	s_waitcnt lgkmcnt(0)
	v_mov_b32_dpp v3, v2 quad_perm:[1,0,3,2] row_mask:0xf bank_mask:0xf
	v_add_f32_e32 v2, v2, v3
	s_barrier
	s_nop 0
	v_mov_b32_dpp v3, v2 quad_perm:[2,3,0,1] row_mask:0xf bank_mask:0xf
	v_add_f32_e32 v2, v2, v3
	s_nop 1
	v_mov_b32_dpp v3, v2 row_half_mirror row_mask:0xf bank_mask:0xf
	v_add_f32_e32 v2, v2, v3
	s_nop 1
	v_mov_b32_dpp v3, v2 row_mirror row_mask:0xf bank_mask:0xf
	v_add_f32_e32 v2, v2, v3
	s_nop 1
	v_mov_b32_dpp v3, v2 row_bcast:15 row_mask:0xf bank_mask:0xf
	v_add_f32_e32 v2, v2, v3
	s_nop 1
	v_mov_b32_dpp v3, v2 row_bcast:31 row_mask:0xf bank_mask:0xf
	v_add_f32_e32 v2, v2, v3
	ds_bpermute_b32 v1, v1, v2
	s_and_saveexec_b64 s[0:1], vcc
	s_cbranch_execz .LBB127_11
; %bb.9:
	s_load_dword s7, s[4:5], 0x4c
	v_lshl_add_u32 v2, v0, 2, 0
	s_mov_b64 s[2:3], 0
	v_mov_b32_e32 v3, v0
	s_waitcnt lgkmcnt(0)
	s_and_b32 s7, s7, 0xffff
	s_lshl_b32 s11, s7, 2
.LBB127_10:                             ; =>This Inner Loop Header: Depth=1
	ds_read_b32 v4, v2
	v_add_u32_e32 v3, s7, v3
	v_cmp_le_i32_e32 vcc, s8, v3
	s_or_b64 s[2:3], vcc, s[2:3]
	s_waitcnt lgkmcnt(0)
	v_div_scale_f32 v5, s[16:17], v1, v1, v4
	v_rcp_f32_e32 v6, v5
	v_div_scale_f32 v7, vcc, v4, v1, v4
	v_fma_f32 v8, -v5, v6, 1.0
	v_fmac_f32_e32 v6, v8, v6
	v_mul_f32_e32 v8, v7, v6
	v_fma_f32 v9, -v5, v8, v7
	v_fmac_f32_e32 v8, v9, v6
	v_fma_f32 v5, -v5, v8, v7
	v_div_fmas_f32 v5, v5, v6, v8
	v_div_fixup_f32 v4, v5, v1, v4
	ds_write_b32 v2, v4
	v_add_u32_e32 v2, s11, v2
	s_andn2_b64 exec, exec, s[2:3]
	s_cbranch_execnz .LBB127_10
.LBB127_11:
	s_or_b64 exec, exec, s[0:1]
	s_ashr_i32 s0, s8, 31
	s_lshr_b32 s0, s0, 30
	s_add_i32 s0, s8, s0
	s_ashr_i32 s11, s0, 2
	s_lshl_b32 s0, s8, 2
	s_add_i32 s7, s0, 0
	v_cmp_gt_u32_e32 vcc, 4, v0
	s_waitcnt lgkmcnt(0)
	s_barrier
	s_and_saveexec_b64 s[2:3], vcc
	s_cbranch_execz .LBB127_18
; %bb.12:
	s_load_dword s0, s[4:5], 0x4c
	v_mul_lo_u32 v1, v0, s11
	v_lshl_add_u32 v1, v1, 2, 0
	s_waitcnt lgkmcnt(0)
	s_and_b32 s20, s0, 0xffff
	s_cmp_gt_i32 s8, 3
	s_cselect_b64 s[0:1], -1, 0
	s_mul_i32 s16, s11, s20
	v_cndmask_b32_e64 v2, 0, 1, s[0:1]
	s_lshl_b32 s21, s16, 2
	s_mov_b64 s[16:17], 0
	v_cmp_ne_u32_e64 s[0:1], 1, v2
	v_mov_b32_e32 v2, v0
	s_branch .LBB127_14
.LBB127_13:                             ;   in Loop: Header=BB127_14 Depth=1
	v_lshl_add_u32 v4, v2, 2, s7
	v_add_u32_e32 v2, s20, v2
	v_cmp_lt_u32_e32 vcc, 3, v2
	s_or_b64 s[16:17], vcc, s[16:17]
	v_add_u32_e32 v1, s21, v1
	ds_write_b32 v4, v3
	s_andn2_b64 exec, exec, s[16:17]
	s_cbranch_execz .LBB127_18
.LBB127_14:                             ; =>This Loop Header: Depth=1
                                        ;     Child Loop BB127_16 Depth 2
	s_and_b64 vcc, exec, s[0:1]
	v_mov_b32_e32 v3, 0xff800000
	s_cbranch_vccnz .LBB127_13
; %bb.15:                               ;   in Loop: Header=BB127_14 Depth=1
	v_mul_lo_u32 v4, v2, s11
	v_add_u32_e32 v5, s11, v4
	s_mov_b64 s[18:19], 0
	v_mov_b32_e32 v3, 0xff800000
	v_mov_b32_e32 v6, v1
.LBB127_16:                             ;   Parent Loop BB127_14 Depth=1
                                        ; =>  This Inner Loop Header: Depth=2
	ds_read_b32 v7, v6
	v_add_u32_e32 v4, 1, v4
	v_cmp_ge_i32_e32 vcc, v4, v5
	s_or_b64 s[18:19], vcc, s[18:19]
	v_add_u32_e32 v6, 4, v6
	s_waitcnt lgkmcnt(0)
	v_cmp_gt_f32_e32 vcc, v7, v3
	v_cndmask_b32_e32 v3, v3, v7, vcc
	s_andn2_b64 exec, exec, s[18:19]
	s_cbranch_execnz .LBB127_16
; %bb.17:                               ;   in Loop: Header=BB127_14 Depth=1
	s_or_b64 exec, exec, s[18:19]
	s_branch .LBB127_13
.LBB127_18:
	s_or_b64 exec, exec, s[2:3]
	s_cmp_lt_i32 s10, 1
	s_waitcnt lgkmcnt(0)
	s_barrier
	s_cbranch_scc1 .LBB127_21
; %bb.19:
	v_mov_b32_e32 v1, s7
	s_mov_b32 s0, 0xff800000
	v_mov_b32_e32 v2, 0xff800000
.LBB127_20:                             ; =>This Inner Loop Header: Depth=1
	ds_read2_b32 v[4:5], v1 offset1:1
	ds_read2_b32 v[6:7], v1 offset0:2 offset1:3
	s_waitcnt lgkmcnt(1)
	v_cmp_nlg_f32_e32 vcc, s0, v4
	v_cndmask_b32_e64 v3, 0, 1, vcc
	v_cmp_lg_f32_e32 vcc, s0, v4
	v_cndmask_b32_e32 v4, v2, v4, vcc
	v_readfirstlane_b32 s1, v3
	v_cmp_gt_f32_e32 vcc, v5, v4
	s_lshl_b32 s1, s1, 2
	v_cndmask_b32_e32 v3, v4, v5, vcc
	s_and_b64 s[2:3], vcc, exec
	s_waitcnt lgkmcnt(0)
	v_cmp_gt_f32_e32 vcc, v6, v3
	v_cndmask_b32_e32 v3, v3, v6, vcc
	s_cselect_b32 s1, 1, s1
	s_and_b64 s[2:3], vcc, exec
	v_cmp_ngt_f32_e32 vcc, v7, v3
	s_cselect_b32 s1, 2, s1
	s_and_b64 s[2:3], vcc, exec
	s_cselect_b32 s1, s1, 3
	s_lshl_b32 s1, s1, 2
	s_add_i32 s1, s7, s1
	s_add_i32 s10, s10, -1
	v_mov_b32_e32 v3, s1
	s_cmp_lg_u32 s10, 0
	ds_write_b32 v3, v2
	s_cbranch_scc1 .LBB127_20
.LBB127_21:
	s_lshr_b32 s0, s8, 31
	s_add_i32 s0, s8, s0
	s_ashr_i32 s8, s0, 1
	v_cmp_gt_i32_e32 vcc, s8, v0
	v_lshlrev_b32_e32 v4, 1, v0
	v_lshl_add_u32 v5, v0, 3, 0
	s_and_saveexec_b64 s[2:3], vcc
	s_cbranch_execz .LBB127_26
; %bb.22:
	s_abs_i32 s18, s11
	v_cvt_f32_u32_e32 v2, s18
	s_load_dword s0, s[4:5], 0x4c
	s_sub_i32 s1, 0, s18
	s_ashr_i32 s19, s11, 31
	v_rcp_iflag_f32_e32 v2, v2
	v_lshlrev_b32_e32 v1, 1, v0
	s_waitcnt lgkmcnt(0)
	s_and_b32 s20, s0, 0xffff
	v_lshl_add_u32 v6, v0, 3, 0
	v_mul_f32_e32 v2, 0x4f7ffffe, v2
	v_cvt_u32_f32_e32 v2, v2
	s_mov_b64 s[10:11], 0
	s_lshl_b32 s21, s20, 1
	s_lshl_b32 s22, s20, 3
	v_mul_lo_u32 v3, s1, v2
	v_mul_hi_u32 v3, v2, v3
	v_add_u32_e32 v7, v2, v3
	s_mov_b32 s23, 0xff800000
	v_mov_b32_e32 v2, 0xff800000
	v_mov_b32_e32 v8, v0
	s_branch .LBB127_24
.LBB127_23:                             ;   in Loop: Header=BB127_24 Depth=1
	s_or_b64 exec, exec, s[16:17]
	v_add_u32_e32 v8, s20, v8
	v_cmp_le_i32_e64 s[0:1], s8, v8
	v_add_u32_e32 v1, s21, v1
	s_or_b64 s[10:11], s[0:1], s[10:11]
	v_add_u32_e32 v6, s22, v6
	s_andn2_b64 exec, exec, s[10:11]
	s_cbranch_execz .LBB127_26
.LBB127_24:                             ; =>This Inner Loop Header: Depth=1
	v_mul_hi_u32 v3, v1, v7
	v_mul_lo_u32 v9, v3, s18
	v_sub_u32_e32 v9, v1, v9
	v_add_u32_e32 v10, 1, v3
	v_cmp_le_u32_e64 s[0:1], s18, v9
	v_cndmask_b32_e64 v3, v3, v10, s[0:1]
	v_subrev_u32_e32 v10, s18, v9
	v_cndmask_b32_e64 v9, v9, v10, s[0:1]
	v_add_u32_e32 v10, 1, v3
	v_cmp_le_u32_e64 s[0:1], s18, v9
	v_cndmask_b32_e64 v3, v3, v10, s[0:1]
	v_xor_b32_e32 v3, s19, v3
	v_subrev_u32_e32 v3, s19, v3
	v_lshl_add_u32 v3, v3, 2, s7
	ds_read_b32 v3, v3
	s_waitcnt lgkmcnt(0)
	v_cmp_neq_f32_e64 s[0:1], s23, v3
	s_and_saveexec_b64 s[16:17], s[0:1]
	s_cbranch_execz .LBB127_23
; %bb.25:                               ;   in Loop: Header=BB127_24 Depth=1
	v_mov_b32_e32 v3, v2
	ds_write_b64 v6, v[2:3]
	s_branch .LBB127_23
.LBB127_26:
	s_or_b64 exec, exec, s[2:3]
	s_cmp_lt_i32 s9, 1
	s_waitcnt lgkmcnt(0)
	s_barrier
	s_cbranch_scc1 .LBB127_33
; %bb.27:
	s_add_u32 s2, s4, 64
	s_addc_u32 s3, s5, 0
	s_mov_b32 s7, 0
	v_mov_b32_e32 v2, 0
	v_mov_b32_e32 v6, 0xff800000
                                        ; implicit-def: $vgpr3
                                        ; implicit-def: $vgpr1
	s_branch .LBB127_29
.LBB127_28:                             ;   in Loop: Header=BB127_29 Depth=1
	s_or_b64 exec, exec, s[10:11]
	v_mov_b32_dpp v10, v8 quad_perm:[1,0,3,2] row_mask:0xf bank_mask:0xf
	v_cmp_lt_f32_e64 s[0:1], v8, v10
	v_cndmask_b32_e64 v8, v8, v10, s[0:1]
	v_mov_b32_dpp v9, v7 quad_perm:[1,0,3,2] row_mask:0xf bank_mask:0xf
	v_cndmask_b32_e64 v7, v7, v9, s[0:1]
	v_mov_b32_dpp v10, v8 quad_perm:[2,3,0,1] row_mask:0xf bank_mask:0xf
	v_cmp_gt_f32_e64 s[0:1], v10, v8
	v_cndmask_b32_e64 v8, v8, v10, s[0:1]
	v_mov_b32_dpp v9, v7 quad_perm:[2,3,0,1] row_mask:0xf bank_mask:0xf
	v_cndmask_b32_e64 v7, v7, v9, s[0:1]
	v_mov_b32_dpp v10, v8 row_half_mirror row_mask:0xf bank_mask:0xf
	v_cmp_gt_f32_e64 s[0:1], v10, v8
	v_cndmask_b32_e64 v8, v8, v10, s[0:1]
	v_mov_b32_dpp v9, v7 row_half_mirror row_mask:0xf bank_mask:0xf
	v_cndmask_b32_e64 v7, v7, v9, s[0:1]
	v_mov_b32_dpp v10, v8 row_mirror row_mask:0xf bank_mask:0xf
	v_cmp_gt_f32_e64 s[0:1], v10, v8
	v_cndmask_b32_e64 v8, v8, v10, s[0:1]
	v_mov_b32_dpp v9, v7 row_mirror row_mask:0xf bank_mask:0xf
	v_cndmask_b32_e64 v7, v7, v9, s[0:1]
	v_mov_b32_dpp v10, v8 row_bcast:15 row_mask:0xf bank_mask:0xf
	v_cmp_gt_f32_e64 s[0:1], v10, v8
	v_mov_b32_dpp v9, v7 row_bcast:15 row_mask:0xf bank_mask:0xf
	v_cndmask_b32_e64 v8, v8, v10, s[0:1]
	v_cndmask_b32_e64 v7, v7, v9, s[0:1]
	s_nop 0
	v_mov_b32_dpp v10, v8 row_bcast:31 row_mask:0xf bank_mask:0xf
	v_mov_b32_dpp v9, v7 row_bcast:31 row_mask:0xf bank_mask:0xf
	v_cmp_gt_f32_e64 s[0:1], v10, v8
	v_cndmask_b32_e64 v7, v7, v9, s[0:1]
	v_cndmask_b32_e64 v8, v8, v10, s[0:1]
	v_readlane_b32 s0, v7, 63
	s_lshl_b32 s1, s0, 2
	s_add_i32 s1, s1, 0
	v_mov_b32_e32 v7, s1
	v_readlane_b32 s10, v8, 63
	ds_write_b32 v7, v6
	v_mov_b32_e32 v7, s0
	v_cmp_eq_u32_e64 s[0:1], s7, v0
	v_cndmask_b32_e64 v1, v1, v7, s[0:1]
	v_mov_b32_e32 v7, s10
	s_add_i32 s7, s7, 1
	v_cndmask_b32_e64 v3, v3, v7, s[0:1]
	s_cmp_eq_u32 s7, s9
	v_add_f32_e32 v2, s10, v2
	s_cbranch_scc1 .LBB127_34
.LBB127_29:                             ; =>This Loop Header: Depth=1
                                        ;     Child Loop BB127_31 Depth 2
	v_mov_b32_e32 v7, s7
	v_mov_b32_e32 v8, 0xff800000
	s_and_saveexec_b64 s[10:11], vcc
	s_cbranch_execz .LBB127_28
; %bb.30:                               ;   in Loop: Header=BB127_29 Depth=1
	s_load_dword s0, s[2:3], 0xc
	s_mov_b64 s[16:17], 0
	v_mov_b32_e32 v7, s7
	v_mov_b32_e32 v8, 0xff800000
	;; [unrolled: 1-line block ×3, first 2 shown]
	s_waitcnt lgkmcnt(0)
	s_and_b32 s18, s0, 0xffff
	s_lshl_b32 s19, s18, 1
	s_lshl_b32 s20, s18, 3
	v_mov_b32_e32 v10, v4
	v_mov_b32_e32 v11, v0
.LBB127_31:                             ;   Parent Loop BB127_29 Depth=1
                                        ; =>  This Inner Loop Header: Depth=2
	ds_read_b64 v[12:13], v9
	v_add_u32_e32 v11, s18, v11
	v_cmp_le_i32_e64 s[0:1], s8, v11
	s_or_b64 s[16:17], s[0:1], s[16:17]
	v_add_u32_e32 v14, 1, v10
	s_waitcnt lgkmcnt(0)
	v_cmp_gt_f32_e64 s[0:1], v12, v8
	v_cndmask_b32_e64 v8, v8, v12, s[0:1]
	v_cndmask_b32_e64 v7, v7, v10, s[0:1]
	v_cmp_gt_f32_e64 s[0:1], v13, v8
	v_add_u32_e32 v9, s20, v9
	v_cndmask_b32_e64 v8, v8, v13, s[0:1]
	v_add_u32_e32 v10, s19, v10
	v_cndmask_b32_e64 v7, v7, v14, s[0:1]
	s_andn2_b64 exec, exec, s[16:17]
	s_cbranch_execnz .LBB127_31
; %bb.32:                               ;   in Loop: Header=BB127_29 Depth=1
	s_or_b64 exec, exec, s[16:17]
	s_branch .LBB127_28
.LBB127_33:
	v_mov_b32_e32 v2, 0
                                        ; implicit-def: $vgpr3
                                        ; implicit-def: $vgpr1
.LBB127_34:
	v_cmp_gt_i32_e32 vcc, s9, v0
	s_and_saveexec_b64 s[0:1], vcc
	s_cbranch_execz .LBB127_37
; %bb.35:
	s_load_dword s7, s[4:5], 0x38
	s_load_dwordx2 s[0:1], s[4:5], 0x20
	s_load_dword s8, s[4:5], 0x4c
	s_waitcnt lgkmcnt(0)
	v_div_scale_f32 v4, s[2:3], v2, v2, s7
	v_rcp_f32_e32 v5, v4
	v_div_scale_f32 v6, vcc, s7, v2, s7
	s_ashr_i32 s2, s6, 31
	v_fma_f32 v7, -v4, v5, 1.0
	v_fmac_f32_e32 v5, v7, v5
	v_mul_f32_e32 v7, v6, v5
	v_fma_f32 v8, -v4, v7, v6
	v_fmac_f32_e32 v7, v8, v5
	v_fma_f32 v4, -v4, v7, v6
	s_mul_i32 s1, s6, s1
	s_mul_hi_u32 s3, s6, s0
	v_div_fmas_f32 v4, v4, v5, v7
	s_add_i32 s1, s3, s1
	s_mul_i32 s2, s2, s0
	v_div_fixup_f32 v2, v4, v2, s7
	s_add_i32 s4, s1, s2
	v_mul_f32_e32 v2, v2, v3
	s_mul_i32 s2, s6, s0
	s_and_b32 s3, s8, 0xffff
	s_mov_b64 s[0:1], 0
	v_mov_b32_e32 v3, s4
	v_mov_b32_e32 v4, s13
	;; [unrolled: 1-line block ×3, first 2 shown]
.LBB127_36:                             ; =>This Inner Loop Header: Depth=1
	v_ashrrev_i32_e32 v7, 31, v0
	v_add_co_u32_e32 v6, vcc, s2, v0
	v_addc_co_u32_e32 v7, vcc, v3, v7, vcc
	v_add_u32_e32 v0, s3, v0
	v_cmp_le_i32_e32 vcc, s9, v0
	v_lshlrev_b64 v[6:7], 2, v[6:7]
	s_or_b64 s[0:1], vcc, s[0:1]
	v_add_co_u32_e32 v8, vcc, s12, v6
	v_addc_co_u32_e32 v9, vcc, v4, v7, vcc
	v_add_co_u32_e32 v6, vcc, s14, v6
	v_addc_co_u32_e32 v7, vcc, v5, v7, vcc
	global_store_dword v[8:9], v2, off
	global_store_dword v[6:7], v1, off
	s_andn2_b64 exec, exec, s[0:1]
	s_cbranch_execnz .LBB127_36
.LBB127_37:
	s_endpgm
	.section	.rodata,"a",@progbits
	.p2align	6, 0x0
	.amdhsa_kernel _ZN5aiter19grouped_topk_kernelIfDv2_fLi4ELb1ELb0ELb1EEEvPT_PKS2_PfPimiiiif
		.amdhsa_group_segment_fixed_size 0
		.amdhsa_private_segment_fixed_size 0
		.amdhsa_kernarg_size 320
		.amdhsa_user_sgpr_count 6
		.amdhsa_user_sgpr_private_segment_buffer 1
		.amdhsa_user_sgpr_dispatch_ptr 0
		.amdhsa_user_sgpr_queue_ptr 0
		.amdhsa_user_sgpr_kernarg_segment_ptr 1
		.amdhsa_user_sgpr_dispatch_id 0
		.amdhsa_user_sgpr_flat_scratch_init 0
		.amdhsa_user_sgpr_kernarg_preload_length 0
		.amdhsa_user_sgpr_kernarg_preload_offset 0
		.amdhsa_user_sgpr_private_segment_size 0
		.amdhsa_uses_dynamic_stack 0
		.amdhsa_system_sgpr_private_segment_wavefront_offset 0
		.amdhsa_system_sgpr_workgroup_id_x 1
		.amdhsa_system_sgpr_workgroup_id_y 0
		.amdhsa_system_sgpr_workgroup_id_z 0
		.amdhsa_system_sgpr_workgroup_info 0
		.amdhsa_system_vgpr_workitem_id 0
		.amdhsa_next_free_vgpr 15
		.amdhsa_next_free_sgpr 24
		.amdhsa_accum_offset 16
		.amdhsa_reserve_vcc 1
		.amdhsa_reserve_flat_scratch 0
		.amdhsa_float_round_mode_32 0
		.amdhsa_float_round_mode_16_64 0
		.amdhsa_float_denorm_mode_32 3
		.amdhsa_float_denorm_mode_16_64 3
		.amdhsa_dx10_clamp 1
		.amdhsa_ieee_mode 1
		.amdhsa_fp16_overflow 0
		.amdhsa_tg_split 0
		.amdhsa_exception_fp_ieee_invalid_op 0
		.amdhsa_exception_fp_denorm_src 0
		.amdhsa_exception_fp_ieee_div_zero 0
		.amdhsa_exception_fp_ieee_overflow 0
		.amdhsa_exception_fp_ieee_underflow 0
		.amdhsa_exception_fp_ieee_inexact 0
		.amdhsa_exception_int_div_zero 0
	.end_amdhsa_kernel
	.section	.text._ZN5aiter19grouped_topk_kernelIfDv2_fLi4ELb1ELb0ELb1EEEvPT_PKS2_PfPimiiiif,"axG",@progbits,_ZN5aiter19grouped_topk_kernelIfDv2_fLi4ELb1ELb0ELb1EEEvPT_PKS2_PfPimiiiif,comdat
.Lfunc_end127:
	.size	_ZN5aiter19grouped_topk_kernelIfDv2_fLi4ELb1ELb0ELb1EEEvPT_PKS2_PfPimiiiif, .Lfunc_end127-_ZN5aiter19grouped_topk_kernelIfDv2_fLi4ELb1ELb0ELb1EEEvPT_PKS2_PfPimiiiif
                                        ; -- End function
	.section	.AMDGPU.csdata,"",@progbits
; Kernel info:
; codeLenInByte = 2484
; NumSgprs: 28
; NumVgprs: 15
; NumAgprs: 0
; TotalNumVgprs: 15
; ScratchSize: 0
; MemoryBound: 0
; FloatMode: 240
; IeeeMode: 1
; LDSByteSize: 0 bytes/workgroup (compile time only)
; SGPRBlocks: 3
; VGPRBlocks: 1
; NumSGPRsForWavesPerEU: 28
; NumVGPRsForWavesPerEU: 15
; AccumOffset: 16
; Occupancy: 8
; WaveLimiterHint : 0
; COMPUTE_PGM_RSRC2:SCRATCH_EN: 0
; COMPUTE_PGM_RSRC2:USER_SGPR: 6
; COMPUTE_PGM_RSRC2:TRAP_HANDLER: 0
; COMPUTE_PGM_RSRC2:TGID_X_EN: 1
; COMPUTE_PGM_RSRC2:TGID_Y_EN: 0
; COMPUTE_PGM_RSRC2:TGID_Z_EN: 0
; COMPUTE_PGM_RSRC2:TIDIG_COMP_CNT: 0
; COMPUTE_PGM_RSRC3_GFX90A:ACCUM_OFFSET: 3
; COMPUTE_PGM_RSRC3_GFX90A:TG_SPLIT: 0
	.section	.text._ZN5aiter19grouped_topk_kernelIN3c104HalfEDv2_fLi4ELb1ELb0ELb1EEEvPT_PKS4_PfPimiiiif,"axG",@progbits,_ZN5aiter19grouped_topk_kernelIN3c104HalfEDv2_fLi4ELb1ELb0ELb1EEEvPT_PKS4_PfPimiiiif,comdat
	.protected	_ZN5aiter19grouped_topk_kernelIN3c104HalfEDv2_fLi4ELb1ELb0ELb1EEEvPT_PKS4_PfPimiiiif ; -- Begin function _ZN5aiter19grouped_topk_kernelIN3c104HalfEDv2_fLi4ELb1ELb0ELb1EEEvPT_PKS4_PfPimiiiif
	.globl	_ZN5aiter19grouped_topk_kernelIN3c104HalfEDv2_fLi4ELb1ELb0ELb1EEEvPT_PKS4_PfPimiiiif
	.p2align	8
	.type	_ZN5aiter19grouped_topk_kernelIN3c104HalfEDv2_fLi4ELb1ELb0ELb1EEEvPT_PKS4_PfPimiiiif,@function
_ZN5aiter19grouped_topk_kernelIN3c104HalfEDv2_fLi4ELb1ELb0ELb1EEEvPT_PKS4_PfPimiiiif: ; @_ZN5aiter19grouped_topk_kernelIN3c104HalfEDv2_fLi4ELb1ELb0ELb1EEEvPT_PKS4_PfPimiiiif
; %bb.0:
	s_load_dwordx4 s[8:11], s[4:5], 0x28
	s_load_dwordx4 s[12:15], s[4:5], 0x10
	v_mov_b32_e32 v1, 0xff800000
	s_waitcnt lgkmcnt(0)
	v_cmp_gt_i32_e32 vcc, s8, v0
	s_and_saveexec_b64 s[2:3], vcc
	s_cbranch_execz .LBB128_4
; %bb.1:
	s_load_dword s0, s[4:5], 0x4c
	s_load_dwordx2 s[16:17], s[4:5], 0x0
	s_mul_i32 s7, s6, s8
	v_lshl_add_u32 v2, v0, 2, 0
	s_mov_b64 s[18:19], 0
	s_waitcnt lgkmcnt(0)
	s_and_b32 s11, s0, 0xffff
	s_lshl_b32 s20, s11, 2
	v_mov_b32_e32 v1, 0xff800000
	v_mov_b32_e32 v3, s17
	;; [unrolled: 1-line block ×3, first 2 shown]
.LBB128_2:                              ; =>This Inner Loop Header: Depth=1
	v_add_u32_e32 v6, s7, v4
	v_ashrrev_i32_e32 v7, 31, v6
	v_lshlrev_b64 v[6:7], 1, v[6:7]
	v_add_co_u32_e64 v6, s[0:1], s16, v6
	v_addc_co_u32_e64 v7, s[0:1], v3, v7, s[0:1]
	global_load_ushort v5, v[6:7], off
	v_add_u32_e32 v4, s11, v4
	v_cmp_le_i32_e64 s[0:1], s8, v4
	s_or_b64 s[18:19], s[0:1], s[18:19]
	s_waitcnt vmcnt(0)
	v_cvt_f32_f16_e32 v5, v5
	v_cmp_lt_f32_e64 s[0:1], v1, v5
	ds_write_b32 v2, v5
	v_cndmask_b32_e64 v1, v1, v5, s[0:1]
	v_add_u32_e32 v2, s20, v2
	s_andn2_b64 exec, exec, s[18:19]
	s_cbranch_execnz .LBB128_2
; %bb.3:
	s_or_b64 exec, exec, s[18:19]
.LBB128_4:
	s_or_b64 exec, exec, s[2:3]
	v_mov_b32_dpp v2, v1 quad_perm:[1,0,3,2] row_mask:0xf bank_mask:0xf
	v_cmp_lt_f32_e64 s[0:1], v1, v2
	v_cndmask_b32_e64 v1, v1, v2, s[0:1]
	v_bfrev_b32_e32 v3, 0.5
	s_waitcnt lgkmcnt(0)
	v_mov_b32_dpp v2, v1 quad_perm:[2,3,0,1] row_mask:0xf bank_mask:0xf
	v_cmp_lt_f32_e64 s[0:1], v1, v2
	v_cndmask_b32_e64 v1, v1, v2, s[0:1]
	s_barrier
	s_nop 0
	v_mov_b32_dpp v2, v1 row_half_mirror row_mask:0xf bank_mask:0xf
	v_cmp_lt_f32_e64 s[0:1], v1, v2
	v_cndmask_b32_e64 v1, v1, v2, s[0:1]
	s_nop 1
	v_mov_b32_dpp v2, v1 row_mirror row_mask:0xf bank_mask:0xf
	v_cmp_lt_f32_e64 s[0:1], v1, v2
	v_cndmask_b32_e64 v1, v1, v2, s[0:1]
	s_nop 1
	v_mov_b32_dpp v2, v1 row_bcast:15 row_mask:0xf bank_mask:0xf
	v_cmp_lt_f32_e64 s[0:1], v1, v2
	v_cndmask_b32_e64 v1, v1, v2, s[0:1]
	s_nop 1
	v_mov_b32_dpp v2, v1 row_bcast:31 row_mask:0xf bank_mask:0xf
	v_cmp_lt_f32_e64 s[0:1], v1, v2
	v_cndmask_b32_e64 v2, v1, v2, s[0:1]
	v_mbcnt_lo_u32_b32 v1, -1, 0
	v_mbcnt_hi_u32_b32 v1, -1, v1
	v_lshl_or_b32 v1, v1, 2, v3
	ds_bpermute_b32 v3, v1, v2
	v_mov_b32_e32 v2, 0
	s_and_saveexec_b64 s[2:3], vcc
	s_cbranch_execz .LBB128_8
; %bb.5:
	s_load_dword s0, s[4:5], 0x4c
	v_lshl_add_u32 v4, v0, 2, 0
	s_mov_b64 s[16:17], 0
	v_mov_b32_e32 v2, 0
	s_mov_b32 s7, 0x3fb8aa3b
	s_waitcnt lgkmcnt(0)
	s_and_b32 s11, s0, 0xffff
	s_lshl_b32 s18, s11, 2
	s_mov_b32 s19, 0xc2ce8ed0
	s_mov_b32 s20, 0x42b17218
	v_mov_b32_e32 v5, 0x7f800000
	v_mov_b32_e32 v6, v0
.LBB128_6:                              ; =>This Inner Loop Header: Depth=1
	ds_read_b32 v7, v4
	v_add_u32_e32 v6, s11, v6
	s_waitcnt lgkmcnt(0)
	v_sub_f32_e32 v7, v7, v3
	v_mul_f32_e32 v8, 0x3fb8aa3b, v7
	v_fma_f32 v9, v7, s7, -v8
	v_rndne_f32_e32 v10, v8
	v_fmac_f32_e32 v9, 0x32a5705f, v7
	v_sub_f32_e32 v8, v8, v10
	v_add_f32_e32 v8, v8, v9
	v_cvt_i32_f32_e32 v10, v10
	v_exp_f32_e32 v8, v8
	v_cmp_ngt_f32_e64 s[0:1], s19, v7
	v_ldexp_f32 v8, v8, v10
	v_cndmask_b32_e64 v8, 0, v8, s[0:1]
	v_cmp_nlt_f32_e64 s[0:1], s20, v7
	v_cndmask_b32_e64 v7, v5, v8, s[0:1]
	v_cmp_le_i32_e64 s[0:1], s8, v6
	ds_write_b32 v4, v7
	v_add_f32_e32 v2, v2, v7
	s_or_b64 s[16:17], s[0:1], s[16:17]
	v_add_u32_e32 v4, s18, v4
	s_andn2_b64 exec, exec, s[16:17]
	s_cbranch_execnz .LBB128_6
; %bb.7:
	s_or_b64 exec, exec, s[16:17]
.LBB128_8:
	s_or_b64 exec, exec, s[2:3]
	s_waitcnt lgkmcnt(0)
	v_mov_b32_dpp v3, v2 quad_perm:[1,0,3,2] row_mask:0xf bank_mask:0xf
	v_add_f32_e32 v2, v2, v3
	s_barrier
	s_nop 0
	v_mov_b32_dpp v3, v2 quad_perm:[2,3,0,1] row_mask:0xf bank_mask:0xf
	v_add_f32_e32 v2, v2, v3
	s_nop 1
	v_mov_b32_dpp v3, v2 row_half_mirror row_mask:0xf bank_mask:0xf
	v_add_f32_e32 v2, v2, v3
	s_nop 1
	v_mov_b32_dpp v3, v2 row_mirror row_mask:0xf bank_mask:0xf
	v_add_f32_e32 v2, v2, v3
	s_nop 1
	v_mov_b32_dpp v3, v2 row_bcast:15 row_mask:0xf bank_mask:0xf
	v_add_f32_e32 v2, v2, v3
	s_nop 1
	v_mov_b32_dpp v3, v2 row_bcast:31 row_mask:0xf bank_mask:0xf
	v_add_f32_e32 v2, v2, v3
	ds_bpermute_b32 v1, v1, v2
	s_and_saveexec_b64 s[0:1], vcc
	s_cbranch_execz .LBB128_11
; %bb.9:
	s_load_dword s7, s[4:5], 0x4c
	v_lshl_add_u32 v2, v0, 2, 0
	s_mov_b64 s[2:3], 0
	v_mov_b32_e32 v3, v0
	s_waitcnt lgkmcnt(0)
	s_and_b32 s7, s7, 0xffff
	s_lshl_b32 s11, s7, 2
.LBB128_10:                             ; =>This Inner Loop Header: Depth=1
	ds_read_b32 v4, v2
	v_add_u32_e32 v3, s7, v3
	v_cmp_le_i32_e32 vcc, s8, v3
	s_or_b64 s[2:3], vcc, s[2:3]
	s_waitcnt lgkmcnt(0)
	v_div_scale_f32 v5, s[16:17], v1, v1, v4
	v_rcp_f32_e32 v6, v5
	v_div_scale_f32 v7, vcc, v4, v1, v4
	v_fma_f32 v8, -v5, v6, 1.0
	v_fmac_f32_e32 v6, v8, v6
	v_mul_f32_e32 v8, v7, v6
	v_fma_f32 v9, -v5, v8, v7
	v_fmac_f32_e32 v8, v9, v6
	v_fma_f32 v5, -v5, v8, v7
	v_div_fmas_f32 v5, v5, v6, v8
	v_div_fixup_f32 v4, v5, v1, v4
	ds_write_b32 v2, v4
	v_add_u32_e32 v2, s11, v2
	s_andn2_b64 exec, exec, s[2:3]
	s_cbranch_execnz .LBB128_10
.LBB128_11:
	s_or_b64 exec, exec, s[0:1]
	s_ashr_i32 s0, s8, 31
	s_lshr_b32 s0, s0, 30
	s_add_i32 s0, s8, s0
	s_ashr_i32 s11, s0, 2
	s_lshl_b32 s0, s8, 2
	s_add_i32 s7, s0, 0
	v_cmp_gt_u32_e32 vcc, 4, v0
	s_waitcnt lgkmcnt(0)
	s_barrier
	s_and_saveexec_b64 s[2:3], vcc
	s_cbranch_execz .LBB128_18
; %bb.12:
	s_load_dword s0, s[4:5], 0x4c
	v_mul_lo_u32 v1, v0, s11
	v_lshl_add_u32 v1, v1, 2, 0
	s_waitcnt lgkmcnt(0)
	s_and_b32 s20, s0, 0xffff
	s_cmp_gt_i32 s8, 3
	s_cselect_b64 s[0:1], -1, 0
	s_mul_i32 s16, s11, s20
	v_cndmask_b32_e64 v2, 0, 1, s[0:1]
	s_lshl_b32 s21, s16, 2
	s_mov_b64 s[16:17], 0
	v_cmp_ne_u32_e64 s[0:1], 1, v2
	v_mov_b32_e32 v2, v0
	s_branch .LBB128_14
.LBB128_13:                             ;   in Loop: Header=BB128_14 Depth=1
	v_lshl_add_u32 v4, v2, 2, s7
	v_add_u32_e32 v2, s20, v2
	v_cmp_lt_u32_e32 vcc, 3, v2
	s_or_b64 s[16:17], vcc, s[16:17]
	v_add_u32_e32 v1, s21, v1
	ds_write_b32 v4, v3
	s_andn2_b64 exec, exec, s[16:17]
	s_cbranch_execz .LBB128_18
.LBB128_14:                             ; =>This Loop Header: Depth=1
                                        ;     Child Loop BB128_16 Depth 2
	s_and_b64 vcc, exec, s[0:1]
	v_mov_b32_e32 v3, 0xff800000
	s_cbranch_vccnz .LBB128_13
; %bb.15:                               ;   in Loop: Header=BB128_14 Depth=1
	v_mul_lo_u32 v4, v2, s11
	v_add_u32_e32 v5, s11, v4
	s_mov_b64 s[18:19], 0
	v_mov_b32_e32 v3, 0xff800000
	v_mov_b32_e32 v6, v1
.LBB128_16:                             ;   Parent Loop BB128_14 Depth=1
                                        ; =>  This Inner Loop Header: Depth=2
	ds_read_b32 v7, v6
	v_add_u32_e32 v4, 1, v4
	v_cmp_ge_i32_e32 vcc, v4, v5
	s_or_b64 s[18:19], vcc, s[18:19]
	v_add_u32_e32 v6, 4, v6
	s_waitcnt lgkmcnt(0)
	v_cmp_gt_f32_e32 vcc, v7, v3
	v_cndmask_b32_e32 v3, v3, v7, vcc
	s_andn2_b64 exec, exec, s[18:19]
	s_cbranch_execnz .LBB128_16
; %bb.17:                               ;   in Loop: Header=BB128_14 Depth=1
	s_or_b64 exec, exec, s[18:19]
	s_branch .LBB128_13
.LBB128_18:
	s_or_b64 exec, exec, s[2:3]
	s_cmp_lt_i32 s10, 1
	s_waitcnt lgkmcnt(0)
	s_barrier
	s_cbranch_scc1 .LBB128_21
; %bb.19:
	v_mov_b32_e32 v1, s7
	s_mov_b32 s0, 0xff800000
	v_mov_b32_e32 v2, 0xff800000
.LBB128_20:                             ; =>This Inner Loop Header: Depth=1
	ds_read2_b32 v[4:5], v1 offset1:1
	ds_read2_b32 v[6:7], v1 offset0:2 offset1:3
	s_waitcnt lgkmcnt(1)
	v_cmp_nlg_f32_e32 vcc, s0, v4
	v_cndmask_b32_e64 v3, 0, 1, vcc
	v_cmp_lg_f32_e32 vcc, s0, v4
	v_cndmask_b32_e32 v4, v2, v4, vcc
	v_readfirstlane_b32 s1, v3
	v_cmp_gt_f32_e32 vcc, v5, v4
	s_lshl_b32 s1, s1, 2
	v_cndmask_b32_e32 v3, v4, v5, vcc
	s_and_b64 s[2:3], vcc, exec
	s_waitcnt lgkmcnt(0)
	v_cmp_gt_f32_e32 vcc, v6, v3
	v_cndmask_b32_e32 v3, v3, v6, vcc
	s_cselect_b32 s1, 1, s1
	s_and_b64 s[2:3], vcc, exec
	v_cmp_ngt_f32_e32 vcc, v7, v3
	s_cselect_b32 s1, 2, s1
	s_and_b64 s[2:3], vcc, exec
	s_cselect_b32 s1, s1, 3
	s_lshl_b32 s1, s1, 2
	s_add_i32 s1, s7, s1
	s_add_i32 s10, s10, -1
	v_mov_b32_e32 v3, s1
	s_cmp_lg_u32 s10, 0
	ds_write_b32 v3, v2
	s_cbranch_scc1 .LBB128_20
.LBB128_21:
	s_lshr_b32 s0, s8, 31
	s_add_i32 s0, s8, s0
	s_ashr_i32 s8, s0, 1
	v_cmp_gt_i32_e32 vcc, s8, v0
	v_lshlrev_b32_e32 v4, 1, v0
	v_lshl_add_u32 v5, v0, 3, 0
	s_and_saveexec_b64 s[2:3], vcc
	s_cbranch_execz .LBB128_26
; %bb.22:
	s_abs_i32 s18, s11
	v_cvt_f32_u32_e32 v2, s18
	s_load_dword s0, s[4:5], 0x4c
	s_sub_i32 s1, 0, s18
	s_ashr_i32 s19, s11, 31
	v_rcp_iflag_f32_e32 v2, v2
	v_lshlrev_b32_e32 v1, 1, v0
	s_waitcnt lgkmcnt(0)
	s_and_b32 s20, s0, 0xffff
	v_lshl_add_u32 v6, v0, 3, 0
	v_mul_f32_e32 v2, 0x4f7ffffe, v2
	v_cvt_u32_f32_e32 v2, v2
	s_mov_b64 s[10:11], 0
	s_lshl_b32 s21, s20, 1
	s_lshl_b32 s22, s20, 3
	v_mul_lo_u32 v3, s1, v2
	v_mul_hi_u32 v3, v2, v3
	v_add_u32_e32 v7, v2, v3
	s_mov_b32 s23, 0xff800000
	v_mov_b32_e32 v2, 0xff800000
	v_mov_b32_e32 v8, v0
	s_branch .LBB128_24
.LBB128_23:                             ;   in Loop: Header=BB128_24 Depth=1
	s_or_b64 exec, exec, s[16:17]
	v_add_u32_e32 v8, s20, v8
	v_cmp_le_i32_e64 s[0:1], s8, v8
	v_add_u32_e32 v1, s21, v1
	s_or_b64 s[10:11], s[0:1], s[10:11]
	v_add_u32_e32 v6, s22, v6
	s_andn2_b64 exec, exec, s[10:11]
	s_cbranch_execz .LBB128_26
.LBB128_24:                             ; =>This Inner Loop Header: Depth=1
	v_mul_hi_u32 v3, v1, v7
	v_mul_lo_u32 v9, v3, s18
	v_sub_u32_e32 v9, v1, v9
	v_add_u32_e32 v10, 1, v3
	v_cmp_le_u32_e64 s[0:1], s18, v9
	v_cndmask_b32_e64 v3, v3, v10, s[0:1]
	v_subrev_u32_e32 v10, s18, v9
	v_cndmask_b32_e64 v9, v9, v10, s[0:1]
	v_add_u32_e32 v10, 1, v3
	v_cmp_le_u32_e64 s[0:1], s18, v9
	v_cndmask_b32_e64 v3, v3, v10, s[0:1]
	v_xor_b32_e32 v3, s19, v3
	v_subrev_u32_e32 v3, s19, v3
	v_lshl_add_u32 v3, v3, 2, s7
	ds_read_b32 v3, v3
	s_waitcnt lgkmcnt(0)
	v_cmp_neq_f32_e64 s[0:1], s23, v3
	s_and_saveexec_b64 s[16:17], s[0:1]
	s_cbranch_execz .LBB128_23
; %bb.25:                               ;   in Loop: Header=BB128_24 Depth=1
	v_mov_b32_e32 v3, v2
	ds_write_b64 v6, v[2:3]
	s_branch .LBB128_23
.LBB128_26:
	s_or_b64 exec, exec, s[2:3]
	s_cmp_lt_i32 s9, 1
	s_waitcnt lgkmcnt(0)
	s_barrier
	s_cbranch_scc1 .LBB128_33
; %bb.27:
	s_add_u32 s2, s4, 64
	s_addc_u32 s3, s5, 0
	s_mov_b32 s7, 0
	v_mov_b32_e32 v2, 0
	v_mov_b32_e32 v6, 0xff800000
                                        ; implicit-def: $vgpr3
                                        ; implicit-def: $vgpr1
	s_branch .LBB128_29
.LBB128_28:                             ;   in Loop: Header=BB128_29 Depth=1
	s_or_b64 exec, exec, s[10:11]
	v_mov_b32_dpp v10, v8 quad_perm:[1,0,3,2] row_mask:0xf bank_mask:0xf
	v_cmp_lt_f32_e64 s[0:1], v8, v10
	v_cndmask_b32_e64 v8, v8, v10, s[0:1]
	v_mov_b32_dpp v9, v7 quad_perm:[1,0,3,2] row_mask:0xf bank_mask:0xf
	v_cndmask_b32_e64 v7, v7, v9, s[0:1]
	v_mov_b32_dpp v10, v8 quad_perm:[2,3,0,1] row_mask:0xf bank_mask:0xf
	v_cmp_gt_f32_e64 s[0:1], v10, v8
	v_cndmask_b32_e64 v8, v8, v10, s[0:1]
	v_mov_b32_dpp v9, v7 quad_perm:[2,3,0,1] row_mask:0xf bank_mask:0xf
	v_cndmask_b32_e64 v7, v7, v9, s[0:1]
	v_mov_b32_dpp v10, v8 row_half_mirror row_mask:0xf bank_mask:0xf
	v_cmp_gt_f32_e64 s[0:1], v10, v8
	v_cndmask_b32_e64 v8, v8, v10, s[0:1]
	v_mov_b32_dpp v9, v7 row_half_mirror row_mask:0xf bank_mask:0xf
	v_cndmask_b32_e64 v7, v7, v9, s[0:1]
	v_mov_b32_dpp v10, v8 row_mirror row_mask:0xf bank_mask:0xf
	v_cmp_gt_f32_e64 s[0:1], v10, v8
	v_cndmask_b32_e64 v8, v8, v10, s[0:1]
	v_mov_b32_dpp v9, v7 row_mirror row_mask:0xf bank_mask:0xf
	v_cndmask_b32_e64 v7, v7, v9, s[0:1]
	v_mov_b32_dpp v10, v8 row_bcast:15 row_mask:0xf bank_mask:0xf
	v_cmp_gt_f32_e64 s[0:1], v10, v8
	v_mov_b32_dpp v9, v7 row_bcast:15 row_mask:0xf bank_mask:0xf
	v_cndmask_b32_e64 v8, v8, v10, s[0:1]
	v_cndmask_b32_e64 v7, v7, v9, s[0:1]
	s_nop 0
	v_mov_b32_dpp v10, v8 row_bcast:31 row_mask:0xf bank_mask:0xf
	v_mov_b32_dpp v9, v7 row_bcast:31 row_mask:0xf bank_mask:0xf
	v_cmp_gt_f32_e64 s[0:1], v10, v8
	v_cndmask_b32_e64 v7, v7, v9, s[0:1]
	v_cndmask_b32_e64 v8, v8, v10, s[0:1]
	v_readlane_b32 s0, v7, 63
	s_lshl_b32 s1, s0, 2
	s_add_i32 s1, s1, 0
	v_mov_b32_e32 v7, s1
	v_readlane_b32 s10, v8, 63
	ds_write_b32 v7, v6
	v_mov_b32_e32 v7, s0
	v_cmp_eq_u32_e64 s[0:1], s7, v0
	v_cndmask_b32_e64 v1, v1, v7, s[0:1]
	v_mov_b32_e32 v7, s10
	s_add_i32 s7, s7, 1
	v_cndmask_b32_e64 v3, v3, v7, s[0:1]
	s_cmp_eq_u32 s7, s9
	v_add_f32_e32 v2, s10, v2
	s_cbranch_scc1 .LBB128_34
.LBB128_29:                             ; =>This Loop Header: Depth=1
                                        ;     Child Loop BB128_31 Depth 2
	v_mov_b32_e32 v7, s7
	v_mov_b32_e32 v8, 0xff800000
	s_and_saveexec_b64 s[10:11], vcc
	s_cbranch_execz .LBB128_28
; %bb.30:                               ;   in Loop: Header=BB128_29 Depth=1
	s_load_dword s0, s[2:3], 0xc
	s_mov_b64 s[16:17], 0
	v_mov_b32_e32 v7, s7
	v_mov_b32_e32 v8, 0xff800000
	;; [unrolled: 1-line block ×3, first 2 shown]
	s_waitcnt lgkmcnt(0)
	s_and_b32 s18, s0, 0xffff
	s_lshl_b32 s19, s18, 1
	s_lshl_b32 s20, s18, 3
	v_mov_b32_e32 v10, v4
	v_mov_b32_e32 v11, v0
.LBB128_31:                             ;   Parent Loop BB128_29 Depth=1
                                        ; =>  This Inner Loop Header: Depth=2
	ds_read_b64 v[12:13], v9
	v_add_u32_e32 v11, s18, v11
	v_cmp_le_i32_e64 s[0:1], s8, v11
	s_or_b64 s[16:17], s[0:1], s[16:17]
	v_add_u32_e32 v14, 1, v10
	s_waitcnt lgkmcnt(0)
	v_cmp_gt_f32_e64 s[0:1], v12, v8
	v_cndmask_b32_e64 v8, v8, v12, s[0:1]
	v_cndmask_b32_e64 v7, v7, v10, s[0:1]
	v_cmp_gt_f32_e64 s[0:1], v13, v8
	v_add_u32_e32 v9, s20, v9
	v_cndmask_b32_e64 v8, v8, v13, s[0:1]
	v_add_u32_e32 v10, s19, v10
	v_cndmask_b32_e64 v7, v7, v14, s[0:1]
	s_andn2_b64 exec, exec, s[16:17]
	s_cbranch_execnz .LBB128_31
; %bb.32:                               ;   in Loop: Header=BB128_29 Depth=1
	s_or_b64 exec, exec, s[16:17]
	s_branch .LBB128_28
.LBB128_33:
	v_mov_b32_e32 v2, 0
                                        ; implicit-def: $vgpr3
                                        ; implicit-def: $vgpr1
.LBB128_34:
	v_cmp_gt_i32_e32 vcc, s9, v0
	s_and_saveexec_b64 s[0:1], vcc
	s_cbranch_execz .LBB128_37
; %bb.35:
	s_load_dword s7, s[4:5], 0x38
	s_load_dwordx2 s[0:1], s[4:5], 0x20
	s_load_dword s8, s[4:5], 0x4c
	s_waitcnt lgkmcnt(0)
	v_div_scale_f32 v4, s[2:3], v2, v2, s7
	v_rcp_f32_e32 v5, v4
	v_div_scale_f32 v6, vcc, s7, v2, s7
	s_ashr_i32 s2, s6, 31
	v_fma_f32 v7, -v4, v5, 1.0
	v_fmac_f32_e32 v5, v7, v5
	v_mul_f32_e32 v7, v6, v5
	v_fma_f32 v8, -v4, v7, v6
	v_fmac_f32_e32 v7, v8, v5
	v_fma_f32 v4, -v4, v7, v6
	s_mul_i32 s1, s6, s1
	s_mul_hi_u32 s3, s6, s0
	v_div_fmas_f32 v4, v4, v5, v7
	s_add_i32 s1, s3, s1
	s_mul_i32 s2, s2, s0
	v_div_fixup_f32 v2, v4, v2, s7
	s_add_i32 s4, s1, s2
	v_mul_f32_e32 v2, v2, v3
	s_mul_i32 s2, s6, s0
	s_and_b32 s3, s8, 0xffff
	s_mov_b64 s[0:1], 0
	v_mov_b32_e32 v3, s4
	v_mov_b32_e32 v4, s13
	;; [unrolled: 1-line block ×3, first 2 shown]
.LBB128_36:                             ; =>This Inner Loop Header: Depth=1
	v_ashrrev_i32_e32 v7, 31, v0
	v_add_co_u32_e32 v6, vcc, s2, v0
	v_addc_co_u32_e32 v7, vcc, v3, v7, vcc
	v_add_u32_e32 v0, s3, v0
	v_cmp_le_i32_e32 vcc, s9, v0
	v_lshlrev_b64 v[6:7], 2, v[6:7]
	s_or_b64 s[0:1], vcc, s[0:1]
	v_add_co_u32_e32 v8, vcc, s12, v6
	v_addc_co_u32_e32 v9, vcc, v4, v7, vcc
	v_add_co_u32_e32 v6, vcc, s14, v6
	v_addc_co_u32_e32 v7, vcc, v5, v7, vcc
	global_store_dword v[8:9], v2, off
	global_store_dword v[6:7], v1, off
	s_andn2_b64 exec, exec, s[0:1]
	s_cbranch_execnz .LBB128_36
.LBB128_37:
	s_endpgm
	.section	.rodata,"a",@progbits
	.p2align	6, 0x0
	.amdhsa_kernel _ZN5aiter19grouped_topk_kernelIN3c104HalfEDv2_fLi4ELb1ELb0ELb1EEEvPT_PKS4_PfPimiiiif
		.amdhsa_group_segment_fixed_size 0
		.amdhsa_private_segment_fixed_size 0
		.amdhsa_kernarg_size 320
		.amdhsa_user_sgpr_count 6
		.amdhsa_user_sgpr_private_segment_buffer 1
		.amdhsa_user_sgpr_dispatch_ptr 0
		.amdhsa_user_sgpr_queue_ptr 0
		.amdhsa_user_sgpr_kernarg_segment_ptr 1
		.amdhsa_user_sgpr_dispatch_id 0
		.amdhsa_user_sgpr_flat_scratch_init 0
		.amdhsa_user_sgpr_kernarg_preload_length 0
		.amdhsa_user_sgpr_kernarg_preload_offset 0
		.amdhsa_user_sgpr_private_segment_size 0
		.amdhsa_uses_dynamic_stack 0
		.amdhsa_system_sgpr_private_segment_wavefront_offset 0
		.amdhsa_system_sgpr_workgroup_id_x 1
		.amdhsa_system_sgpr_workgroup_id_y 0
		.amdhsa_system_sgpr_workgroup_id_z 0
		.amdhsa_system_sgpr_workgroup_info 0
		.amdhsa_system_vgpr_workitem_id 0
		.amdhsa_next_free_vgpr 15
		.amdhsa_next_free_sgpr 24
		.amdhsa_accum_offset 16
		.amdhsa_reserve_vcc 1
		.amdhsa_reserve_flat_scratch 0
		.amdhsa_float_round_mode_32 0
		.amdhsa_float_round_mode_16_64 0
		.amdhsa_float_denorm_mode_32 3
		.amdhsa_float_denorm_mode_16_64 3
		.amdhsa_dx10_clamp 1
		.amdhsa_ieee_mode 1
		.amdhsa_fp16_overflow 0
		.amdhsa_tg_split 0
		.amdhsa_exception_fp_ieee_invalid_op 0
		.amdhsa_exception_fp_denorm_src 0
		.amdhsa_exception_fp_ieee_div_zero 0
		.amdhsa_exception_fp_ieee_overflow 0
		.amdhsa_exception_fp_ieee_underflow 0
		.amdhsa_exception_fp_ieee_inexact 0
		.amdhsa_exception_int_div_zero 0
	.end_amdhsa_kernel
	.section	.text._ZN5aiter19grouped_topk_kernelIN3c104HalfEDv2_fLi4ELb1ELb0ELb1EEEvPT_PKS4_PfPimiiiif,"axG",@progbits,_ZN5aiter19grouped_topk_kernelIN3c104HalfEDv2_fLi4ELb1ELb0ELb1EEEvPT_PKS4_PfPimiiiif,comdat
.Lfunc_end128:
	.size	_ZN5aiter19grouped_topk_kernelIN3c104HalfEDv2_fLi4ELb1ELb0ELb1EEEvPT_PKS4_PfPimiiiif, .Lfunc_end128-_ZN5aiter19grouped_topk_kernelIN3c104HalfEDv2_fLi4ELb1ELb0ELb1EEEvPT_PKS4_PfPimiiiif
                                        ; -- End function
	.section	.AMDGPU.csdata,"",@progbits
; Kernel info:
; codeLenInByte = 2488
; NumSgprs: 28
; NumVgprs: 15
; NumAgprs: 0
; TotalNumVgprs: 15
; ScratchSize: 0
; MemoryBound: 0
; FloatMode: 240
; IeeeMode: 1
; LDSByteSize: 0 bytes/workgroup (compile time only)
; SGPRBlocks: 3
; VGPRBlocks: 1
; NumSGPRsForWavesPerEU: 28
; NumVGPRsForWavesPerEU: 15
; AccumOffset: 16
; Occupancy: 8
; WaveLimiterHint : 0
; COMPUTE_PGM_RSRC2:SCRATCH_EN: 0
; COMPUTE_PGM_RSRC2:USER_SGPR: 6
; COMPUTE_PGM_RSRC2:TRAP_HANDLER: 0
; COMPUTE_PGM_RSRC2:TGID_X_EN: 1
; COMPUTE_PGM_RSRC2:TGID_Y_EN: 0
; COMPUTE_PGM_RSRC2:TGID_Z_EN: 0
; COMPUTE_PGM_RSRC2:TIDIG_COMP_CNT: 0
; COMPUTE_PGM_RSRC3_GFX90A:ACCUM_OFFSET: 3
; COMPUTE_PGM_RSRC3_GFX90A:TG_SPLIT: 0
	.section	.text._ZN5aiter19grouped_topk_kernelIN3c108BFloat16EDv2_fLi4ELb1ELb0ELb1EEEvPT_PKS4_PfPimiiiif,"axG",@progbits,_ZN5aiter19grouped_topk_kernelIN3c108BFloat16EDv2_fLi4ELb1ELb0ELb1EEEvPT_PKS4_PfPimiiiif,comdat
	.protected	_ZN5aiter19grouped_topk_kernelIN3c108BFloat16EDv2_fLi4ELb1ELb0ELb1EEEvPT_PKS4_PfPimiiiif ; -- Begin function _ZN5aiter19grouped_topk_kernelIN3c108BFloat16EDv2_fLi4ELb1ELb0ELb1EEEvPT_PKS4_PfPimiiiif
	.globl	_ZN5aiter19grouped_topk_kernelIN3c108BFloat16EDv2_fLi4ELb1ELb0ELb1EEEvPT_PKS4_PfPimiiiif
	.p2align	8
	.type	_ZN5aiter19grouped_topk_kernelIN3c108BFloat16EDv2_fLi4ELb1ELb0ELb1EEEvPT_PKS4_PfPimiiiif,@function
_ZN5aiter19grouped_topk_kernelIN3c108BFloat16EDv2_fLi4ELb1ELb0ELb1EEEvPT_PKS4_PfPimiiiif: ; @_ZN5aiter19grouped_topk_kernelIN3c108BFloat16EDv2_fLi4ELb1ELb0ELb1EEEvPT_PKS4_PfPimiiiif
; %bb.0:
	s_load_dwordx4 s[8:11], s[4:5], 0x28
	s_load_dwordx4 s[12:15], s[4:5], 0x10
	v_mov_b32_e32 v1, 0xff800000
	s_waitcnt lgkmcnt(0)
	v_cmp_gt_i32_e32 vcc, s8, v0
	s_and_saveexec_b64 s[2:3], vcc
	s_cbranch_execz .LBB129_4
; %bb.1:
	s_load_dword s0, s[4:5], 0x4c
	s_load_dwordx2 s[16:17], s[4:5], 0x0
	s_mul_i32 s7, s6, s8
	v_lshl_add_u32 v2, v0, 2, 0
	s_mov_b64 s[18:19], 0
	s_waitcnt lgkmcnt(0)
	s_and_b32 s11, s0, 0xffff
	s_lshl_b32 s20, s11, 2
	v_mov_b32_e32 v1, 0xff800000
	v_mov_b32_e32 v3, s17
	;; [unrolled: 1-line block ×3, first 2 shown]
.LBB129_2:                              ; =>This Inner Loop Header: Depth=1
	v_add_u32_e32 v6, s7, v4
	v_ashrrev_i32_e32 v7, 31, v6
	v_lshlrev_b64 v[6:7], 1, v[6:7]
	v_add_co_u32_e64 v6, s[0:1], s16, v6
	v_addc_co_u32_e64 v7, s[0:1], v3, v7, s[0:1]
	global_load_ushort v5, v[6:7], off
	v_add_u32_e32 v4, s11, v4
	v_cmp_le_i32_e64 s[0:1], s8, v4
	s_or_b64 s[18:19], s[0:1], s[18:19]
	s_waitcnt vmcnt(0)
	v_lshrrev_b16_e32 v6, 8, v5
	v_and_b32_e32 v5, 0xff, v5
	v_lshlrev_b32_e32 v5, 16, v5
	v_lshl_or_b32 v5, v6, 24, v5
	v_cmp_lt_f32_e64 s[0:1], v1, v5
	ds_write_b32 v2, v5
	v_cndmask_b32_e64 v1, v1, v5, s[0:1]
	v_add_u32_e32 v2, s20, v2
	s_andn2_b64 exec, exec, s[18:19]
	s_cbranch_execnz .LBB129_2
; %bb.3:
	s_or_b64 exec, exec, s[18:19]
.LBB129_4:
	s_or_b64 exec, exec, s[2:3]
	v_mov_b32_dpp v2, v1 quad_perm:[1,0,3,2] row_mask:0xf bank_mask:0xf
	v_cmp_lt_f32_e64 s[0:1], v1, v2
	v_cndmask_b32_e64 v1, v1, v2, s[0:1]
	v_bfrev_b32_e32 v3, 0.5
	s_waitcnt lgkmcnt(0)
	v_mov_b32_dpp v2, v1 quad_perm:[2,3,0,1] row_mask:0xf bank_mask:0xf
	v_cmp_lt_f32_e64 s[0:1], v1, v2
	v_cndmask_b32_e64 v1, v1, v2, s[0:1]
	s_barrier
	s_nop 0
	v_mov_b32_dpp v2, v1 row_half_mirror row_mask:0xf bank_mask:0xf
	v_cmp_lt_f32_e64 s[0:1], v1, v2
	v_cndmask_b32_e64 v1, v1, v2, s[0:1]
	s_nop 1
	v_mov_b32_dpp v2, v1 row_mirror row_mask:0xf bank_mask:0xf
	v_cmp_lt_f32_e64 s[0:1], v1, v2
	v_cndmask_b32_e64 v1, v1, v2, s[0:1]
	s_nop 1
	v_mov_b32_dpp v2, v1 row_bcast:15 row_mask:0xf bank_mask:0xf
	v_cmp_lt_f32_e64 s[0:1], v1, v2
	v_cndmask_b32_e64 v1, v1, v2, s[0:1]
	s_nop 1
	v_mov_b32_dpp v2, v1 row_bcast:31 row_mask:0xf bank_mask:0xf
	v_cmp_lt_f32_e64 s[0:1], v1, v2
	v_cndmask_b32_e64 v2, v1, v2, s[0:1]
	v_mbcnt_lo_u32_b32 v1, -1, 0
	v_mbcnt_hi_u32_b32 v1, -1, v1
	v_lshl_or_b32 v1, v1, 2, v3
	ds_bpermute_b32 v3, v1, v2
	v_mov_b32_e32 v2, 0
	s_and_saveexec_b64 s[2:3], vcc
	s_cbranch_execz .LBB129_8
; %bb.5:
	s_load_dword s0, s[4:5], 0x4c
	v_lshl_add_u32 v4, v0, 2, 0
	s_mov_b64 s[16:17], 0
	v_mov_b32_e32 v2, 0
	s_mov_b32 s7, 0x3fb8aa3b
	s_waitcnt lgkmcnt(0)
	s_and_b32 s11, s0, 0xffff
	s_lshl_b32 s18, s11, 2
	s_mov_b32 s19, 0xc2ce8ed0
	s_mov_b32 s20, 0x42b17218
	v_mov_b32_e32 v5, 0x7f800000
	v_mov_b32_e32 v6, v0
.LBB129_6:                              ; =>This Inner Loop Header: Depth=1
	ds_read_b32 v7, v4
	v_add_u32_e32 v6, s11, v6
	s_waitcnt lgkmcnt(0)
	v_sub_f32_e32 v7, v7, v3
	v_mul_f32_e32 v8, 0x3fb8aa3b, v7
	v_fma_f32 v9, v7, s7, -v8
	v_rndne_f32_e32 v10, v8
	v_fmac_f32_e32 v9, 0x32a5705f, v7
	v_sub_f32_e32 v8, v8, v10
	v_add_f32_e32 v8, v8, v9
	v_cvt_i32_f32_e32 v10, v10
	v_exp_f32_e32 v8, v8
	v_cmp_ngt_f32_e64 s[0:1], s19, v7
	v_ldexp_f32 v8, v8, v10
	v_cndmask_b32_e64 v8, 0, v8, s[0:1]
	v_cmp_nlt_f32_e64 s[0:1], s20, v7
	v_cndmask_b32_e64 v7, v5, v8, s[0:1]
	v_cmp_le_i32_e64 s[0:1], s8, v6
	ds_write_b32 v4, v7
	v_add_f32_e32 v2, v2, v7
	s_or_b64 s[16:17], s[0:1], s[16:17]
	v_add_u32_e32 v4, s18, v4
	s_andn2_b64 exec, exec, s[16:17]
	s_cbranch_execnz .LBB129_6
; %bb.7:
	s_or_b64 exec, exec, s[16:17]
.LBB129_8:
	s_or_b64 exec, exec, s[2:3]
	s_waitcnt lgkmcnt(0)
	v_mov_b32_dpp v3, v2 quad_perm:[1,0,3,2] row_mask:0xf bank_mask:0xf
	v_add_f32_e32 v2, v2, v3
	s_barrier
	s_nop 0
	v_mov_b32_dpp v3, v2 quad_perm:[2,3,0,1] row_mask:0xf bank_mask:0xf
	v_add_f32_e32 v2, v2, v3
	s_nop 1
	v_mov_b32_dpp v3, v2 row_half_mirror row_mask:0xf bank_mask:0xf
	v_add_f32_e32 v2, v2, v3
	s_nop 1
	v_mov_b32_dpp v3, v2 row_mirror row_mask:0xf bank_mask:0xf
	v_add_f32_e32 v2, v2, v3
	s_nop 1
	v_mov_b32_dpp v3, v2 row_bcast:15 row_mask:0xf bank_mask:0xf
	v_add_f32_e32 v2, v2, v3
	s_nop 1
	v_mov_b32_dpp v3, v2 row_bcast:31 row_mask:0xf bank_mask:0xf
	v_add_f32_e32 v2, v2, v3
	ds_bpermute_b32 v1, v1, v2
	s_and_saveexec_b64 s[0:1], vcc
	s_cbranch_execz .LBB129_11
; %bb.9:
	s_load_dword s7, s[4:5], 0x4c
	v_lshl_add_u32 v2, v0, 2, 0
	s_mov_b64 s[2:3], 0
	v_mov_b32_e32 v3, v0
	s_waitcnt lgkmcnt(0)
	s_and_b32 s7, s7, 0xffff
	s_lshl_b32 s11, s7, 2
.LBB129_10:                             ; =>This Inner Loop Header: Depth=1
	ds_read_b32 v4, v2
	v_add_u32_e32 v3, s7, v3
	v_cmp_le_i32_e32 vcc, s8, v3
	s_or_b64 s[2:3], vcc, s[2:3]
	s_waitcnt lgkmcnt(0)
	v_div_scale_f32 v5, s[16:17], v1, v1, v4
	v_rcp_f32_e32 v6, v5
	v_div_scale_f32 v7, vcc, v4, v1, v4
	v_fma_f32 v8, -v5, v6, 1.0
	v_fmac_f32_e32 v6, v8, v6
	v_mul_f32_e32 v8, v7, v6
	v_fma_f32 v9, -v5, v8, v7
	v_fmac_f32_e32 v8, v9, v6
	v_fma_f32 v5, -v5, v8, v7
	v_div_fmas_f32 v5, v5, v6, v8
	v_div_fixup_f32 v4, v5, v1, v4
	ds_write_b32 v2, v4
	v_add_u32_e32 v2, s11, v2
	s_andn2_b64 exec, exec, s[2:3]
	s_cbranch_execnz .LBB129_10
.LBB129_11:
	s_or_b64 exec, exec, s[0:1]
	s_ashr_i32 s0, s8, 31
	s_lshr_b32 s0, s0, 30
	s_add_i32 s0, s8, s0
	s_ashr_i32 s11, s0, 2
	s_lshl_b32 s0, s8, 2
	s_add_i32 s7, s0, 0
	v_cmp_gt_u32_e32 vcc, 4, v0
	s_waitcnt lgkmcnt(0)
	s_barrier
	s_and_saveexec_b64 s[2:3], vcc
	s_cbranch_execz .LBB129_18
; %bb.12:
	s_load_dword s0, s[4:5], 0x4c
	v_mul_lo_u32 v1, v0, s11
	v_lshl_add_u32 v1, v1, 2, 0
	s_waitcnt lgkmcnt(0)
	s_and_b32 s20, s0, 0xffff
	s_cmp_gt_i32 s8, 3
	s_cselect_b64 s[0:1], -1, 0
	s_mul_i32 s16, s11, s20
	v_cndmask_b32_e64 v2, 0, 1, s[0:1]
	s_lshl_b32 s21, s16, 2
	s_mov_b64 s[16:17], 0
	v_cmp_ne_u32_e64 s[0:1], 1, v2
	v_mov_b32_e32 v2, v0
	s_branch .LBB129_14
.LBB129_13:                             ;   in Loop: Header=BB129_14 Depth=1
	v_lshl_add_u32 v4, v2, 2, s7
	v_add_u32_e32 v2, s20, v2
	v_cmp_lt_u32_e32 vcc, 3, v2
	s_or_b64 s[16:17], vcc, s[16:17]
	v_add_u32_e32 v1, s21, v1
	ds_write_b32 v4, v3
	s_andn2_b64 exec, exec, s[16:17]
	s_cbranch_execz .LBB129_18
.LBB129_14:                             ; =>This Loop Header: Depth=1
                                        ;     Child Loop BB129_16 Depth 2
	s_and_b64 vcc, exec, s[0:1]
	v_mov_b32_e32 v3, 0xff800000
	s_cbranch_vccnz .LBB129_13
; %bb.15:                               ;   in Loop: Header=BB129_14 Depth=1
	v_mul_lo_u32 v4, v2, s11
	v_add_u32_e32 v5, s11, v4
	s_mov_b64 s[18:19], 0
	v_mov_b32_e32 v3, 0xff800000
	v_mov_b32_e32 v6, v1
.LBB129_16:                             ;   Parent Loop BB129_14 Depth=1
                                        ; =>  This Inner Loop Header: Depth=2
	ds_read_b32 v7, v6
	v_add_u32_e32 v4, 1, v4
	v_cmp_ge_i32_e32 vcc, v4, v5
	s_or_b64 s[18:19], vcc, s[18:19]
	v_add_u32_e32 v6, 4, v6
	s_waitcnt lgkmcnt(0)
	v_cmp_gt_f32_e32 vcc, v7, v3
	v_cndmask_b32_e32 v3, v3, v7, vcc
	s_andn2_b64 exec, exec, s[18:19]
	s_cbranch_execnz .LBB129_16
; %bb.17:                               ;   in Loop: Header=BB129_14 Depth=1
	s_or_b64 exec, exec, s[18:19]
	s_branch .LBB129_13
.LBB129_18:
	s_or_b64 exec, exec, s[2:3]
	s_cmp_lt_i32 s10, 1
	s_waitcnt lgkmcnt(0)
	s_barrier
	s_cbranch_scc1 .LBB129_21
; %bb.19:
	v_mov_b32_e32 v1, s7
	s_mov_b32 s0, 0xff800000
	v_mov_b32_e32 v2, 0xff800000
.LBB129_20:                             ; =>This Inner Loop Header: Depth=1
	ds_read2_b32 v[4:5], v1 offset1:1
	ds_read2_b32 v[6:7], v1 offset0:2 offset1:3
	s_waitcnt lgkmcnt(1)
	v_cmp_nlg_f32_e32 vcc, s0, v4
	v_cndmask_b32_e64 v3, 0, 1, vcc
	v_cmp_lg_f32_e32 vcc, s0, v4
	v_cndmask_b32_e32 v4, v2, v4, vcc
	v_readfirstlane_b32 s1, v3
	v_cmp_gt_f32_e32 vcc, v5, v4
	s_lshl_b32 s1, s1, 2
	v_cndmask_b32_e32 v3, v4, v5, vcc
	s_and_b64 s[2:3], vcc, exec
	s_waitcnt lgkmcnt(0)
	v_cmp_gt_f32_e32 vcc, v6, v3
	v_cndmask_b32_e32 v3, v3, v6, vcc
	s_cselect_b32 s1, 1, s1
	s_and_b64 s[2:3], vcc, exec
	v_cmp_ngt_f32_e32 vcc, v7, v3
	s_cselect_b32 s1, 2, s1
	s_and_b64 s[2:3], vcc, exec
	s_cselect_b32 s1, s1, 3
	s_lshl_b32 s1, s1, 2
	s_add_i32 s1, s7, s1
	s_add_i32 s10, s10, -1
	v_mov_b32_e32 v3, s1
	s_cmp_lg_u32 s10, 0
	ds_write_b32 v3, v2
	s_cbranch_scc1 .LBB129_20
.LBB129_21:
	s_lshr_b32 s0, s8, 31
	s_add_i32 s0, s8, s0
	s_ashr_i32 s8, s0, 1
	v_cmp_gt_i32_e32 vcc, s8, v0
	v_lshlrev_b32_e32 v4, 1, v0
	v_lshl_add_u32 v5, v0, 3, 0
	s_and_saveexec_b64 s[2:3], vcc
	s_cbranch_execz .LBB129_26
; %bb.22:
	s_abs_i32 s18, s11
	v_cvt_f32_u32_e32 v2, s18
	s_load_dword s0, s[4:5], 0x4c
	s_sub_i32 s1, 0, s18
	s_ashr_i32 s19, s11, 31
	v_rcp_iflag_f32_e32 v2, v2
	v_lshlrev_b32_e32 v1, 1, v0
	s_waitcnt lgkmcnt(0)
	s_and_b32 s20, s0, 0xffff
	v_lshl_add_u32 v6, v0, 3, 0
	v_mul_f32_e32 v2, 0x4f7ffffe, v2
	v_cvt_u32_f32_e32 v2, v2
	s_mov_b64 s[10:11], 0
	s_lshl_b32 s21, s20, 1
	s_lshl_b32 s22, s20, 3
	v_mul_lo_u32 v3, s1, v2
	v_mul_hi_u32 v3, v2, v3
	v_add_u32_e32 v7, v2, v3
	s_mov_b32 s23, 0xff800000
	v_mov_b32_e32 v2, 0xff800000
	v_mov_b32_e32 v8, v0
	s_branch .LBB129_24
.LBB129_23:                             ;   in Loop: Header=BB129_24 Depth=1
	s_or_b64 exec, exec, s[16:17]
	v_add_u32_e32 v8, s20, v8
	v_cmp_le_i32_e64 s[0:1], s8, v8
	v_add_u32_e32 v1, s21, v1
	s_or_b64 s[10:11], s[0:1], s[10:11]
	v_add_u32_e32 v6, s22, v6
	s_andn2_b64 exec, exec, s[10:11]
	s_cbranch_execz .LBB129_26
.LBB129_24:                             ; =>This Inner Loop Header: Depth=1
	v_mul_hi_u32 v3, v1, v7
	v_mul_lo_u32 v9, v3, s18
	v_sub_u32_e32 v9, v1, v9
	v_add_u32_e32 v10, 1, v3
	v_cmp_le_u32_e64 s[0:1], s18, v9
	v_cndmask_b32_e64 v3, v3, v10, s[0:1]
	v_subrev_u32_e32 v10, s18, v9
	v_cndmask_b32_e64 v9, v9, v10, s[0:1]
	v_add_u32_e32 v10, 1, v3
	v_cmp_le_u32_e64 s[0:1], s18, v9
	v_cndmask_b32_e64 v3, v3, v10, s[0:1]
	v_xor_b32_e32 v3, s19, v3
	v_subrev_u32_e32 v3, s19, v3
	v_lshl_add_u32 v3, v3, 2, s7
	ds_read_b32 v3, v3
	s_waitcnt lgkmcnt(0)
	v_cmp_neq_f32_e64 s[0:1], s23, v3
	s_and_saveexec_b64 s[16:17], s[0:1]
	s_cbranch_execz .LBB129_23
; %bb.25:                               ;   in Loop: Header=BB129_24 Depth=1
	v_mov_b32_e32 v3, v2
	ds_write_b64 v6, v[2:3]
	s_branch .LBB129_23
.LBB129_26:
	s_or_b64 exec, exec, s[2:3]
	s_cmp_lt_i32 s9, 1
	s_waitcnt lgkmcnt(0)
	s_barrier
	s_cbranch_scc1 .LBB129_33
; %bb.27:
	s_add_u32 s2, s4, 64
	s_addc_u32 s3, s5, 0
	s_mov_b32 s7, 0
	v_mov_b32_e32 v2, 0
	v_mov_b32_e32 v6, 0xff800000
                                        ; implicit-def: $vgpr3
                                        ; implicit-def: $vgpr1
	s_branch .LBB129_29
.LBB129_28:                             ;   in Loop: Header=BB129_29 Depth=1
	s_or_b64 exec, exec, s[10:11]
	v_mov_b32_dpp v10, v8 quad_perm:[1,0,3,2] row_mask:0xf bank_mask:0xf
	v_cmp_lt_f32_e64 s[0:1], v8, v10
	v_cndmask_b32_e64 v8, v8, v10, s[0:1]
	v_mov_b32_dpp v9, v7 quad_perm:[1,0,3,2] row_mask:0xf bank_mask:0xf
	v_cndmask_b32_e64 v7, v7, v9, s[0:1]
	v_mov_b32_dpp v10, v8 quad_perm:[2,3,0,1] row_mask:0xf bank_mask:0xf
	v_cmp_gt_f32_e64 s[0:1], v10, v8
	v_cndmask_b32_e64 v8, v8, v10, s[0:1]
	v_mov_b32_dpp v9, v7 quad_perm:[2,3,0,1] row_mask:0xf bank_mask:0xf
	v_cndmask_b32_e64 v7, v7, v9, s[0:1]
	v_mov_b32_dpp v10, v8 row_half_mirror row_mask:0xf bank_mask:0xf
	v_cmp_gt_f32_e64 s[0:1], v10, v8
	v_cndmask_b32_e64 v8, v8, v10, s[0:1]
	v_mov_b32_dpp v9, v7 row_half_mirror row_mask:0xf bank_mask:0xf
	v_cndmask_b32_e64 v7, v7, v9, s[0:1]
	v_mov_b32_dpp v10, v8 row_mirror row_mask:0xf bank_mask:0xf
	v_cmp_gt_f32_e64 s[0:1], v10, v8
	v_cndmask_b32_e64 v8, v8, v10, s[0:1]
	v_mov_b32_dpp v9, v7 row_mirror row_mask:0xf bank_mask:0xf
	v_cndmask_b32_e64 v7, v7, v9, s[0:1]
	v_mov_b32_dpp v10, v8 row_bcast:15 row_mask:0xf bank_mask:0xf
	v_cmp_gt_f32_e64 s[0:1], v10, v8
	v_mov_b32_dpp v9, v7 row_bcast:15 row_mask:0xf bank_mask:0xf
	v_cndmask_b32_e64 v8, v8, v10, s[0:1]
	v_cndmask_b32_e64 v7, v7, v9, s[0:1]
	s_nop 0
	v_mov_b32_dpp v10, v8 row_bcast:31 row_mask:0xf bank_mask:0xf
	v_mov_b32_dpp v9, v7 row_bcast:31 row_mask:0xf bank_mask:0xf
	v_cmp_gt_f32_e64 s[0:1], v10, v8
	v_cndmask_b32_e64 v7, v7, v9, s[0:1]
	v_cndmask_b32_e64 v8, v8, v10, s[0:1]
	v_readlane_b32 s0, v7, 63
	s_lshl_b32 s1, s0, 2
	s_add_i32 s1, s1, 0
	v_mov_b32_e32 v7, s1
	v_readlane_b32 s10, v8, 63
	ds_write_b32 v7, v6
	v_mov_b32_e32 v7, s0
	v_cmp_eq_u32_e64 s[0:1], s7, v0
	v_cndmask_b32_e64 v1, v1, v7, s[0:1]
	v_mov_b32_e32 v7, s10
	s_add_i32 s7, s7, 1
	v_cndmask_b32_e64 v3, v3, v7, s[0:1]
	s_cmp_eq_u32 s7, s9
	v_add_f32_e32 v2, s10, v2
	s_cbranch_scc1 .LBB129_34
.LBB129_29:                             ; =>This Loop Header: Depth=1
                                        ;     Child Loop BB129_31 Depth 2
	v_mov_b32_e32 v7, s7
	v_mov_b32_e32 v8, 0xff800000
	s_and_saveexec_b64 s[10:11], vcc
	s_cbranch_execz .LBB129_28
; %bb.30:                               ;   in Loop: Header=BB129_29 Depth=1
	s_load_dword s0, s[2:3], 0xc
	s_mov_b64 s[16:17], 0
	v_mov_b32_e32 v7, s7
	v_mov_b32_e32 v8, 0xff800000
	;; [unrolled: 1-line block ×3, first 2 shown]
	s_waitcnt lgkmcnt(0)
	s_and_b32 s18, s0, 0xffff
	s_lshl_b32 s19, s18, 1
	s_lshl_b32 s20, s18, 3
	v_mov_b32_e32 v10, v4
	v_mov_b32_e32 v11, v0
.LBB129_31:                             ;   Parent Loop BB129_29 Depth=1
                                        ; =>  This Inner Loop Header: Depth=2
	ds_read_b64 v[12:13], v9
	v_add_u32_e32 v11, s18, v11
	v_cmp_le_i32_e64 s[0:1], s8, v11
	s_or_b64 s[16:17], s[0:1], s[16:17]
	v_add_u32_e32 v14, 1, v10
	s_waitcnt lgkmcnt(0)
	v_cmp_gt_f32_e64 s[0:1], v12, v8
	v_cndmask_b32_e64 v8, v8, v12, s[0:1]
	v_cndmask_b32_e64 v7, v7, v10, s[0:1]
	v_cmp_gt_f32_e64 s[0:1], v13, v8
	v_add_u32_e32 v9, s20, v9
	v_cndmask_b32_e64 v8, v8, v13, s[0:1]
	v_add_u32_e32 v10, s19, v10
	v_cndmask_b32_e64 v7, v7, v14, s[0:1]
	s_andn2_b64 exec, exec, s[16:17]
	s_cbranch_execnz .LBB129_31
; %bb.32:                               ;   in Loop: Header=BB129_29 Depth=1
	s_or_b64 exec, exec, s[16:17]
	s_branch .LBB129_28
.LBB129_33:
	v_mov_b32_e32 v2, 0
                                        ; implicit-def: $vgpr3
                                        ; implicit-def: $vgpr1
.LBB129_34:
	v_cmp_gt_i32_e32 vcc, s9, v0
	s_and_saveexec_b64 s[0:1], vcc
	s_cbranch_execz .LBB129_37
; %bb.35:
	s_load_dword s7, s[4:5], 0x38
	s_load_dwordx2 s[0:1], s[4:5], 0x20
	s_load_dword s8, s[4:5], 0x4c
	s_waitcnt lgkmcnt(0)
	v_div_scale_f32 v4, s[2:3], v2, v2, s7
	v_rcp_f32_e32 v5, v4
	v_div_scale_f32 v6, vcc, s7, v2, s7
	s_ashr_i32 s2, s6, 31
	v_fma_f32 v7, -v4, v5, 1.0
	v_fmac_f32_e32 v5, v7, v5
	v_mul_f32_e32 v7, v6, v5
	v_fma_f32 v8, -v4, v7, v6
	v_fmac_f32_e32 v7, v8, v5
	v_fma_f32 v4, -v4, v7, v6
	s_mul_i32 s1, s6, s1
	s_mul_hi_u32 s3, s6, s0
	v_div_fmas_f32 v4, v4, v5, v7
	s_add_i32 s1, s3, s1
	s_mul_i32 s2, s2, s0
	v_div_fixup_f32 v2, v4, v2, s7
	s_add_i32 s4, s1, s2
	v_mul_f32_e32 v2, v2, v3
	s_mul_i32 s2, s6, s0
	s_and_b32 s3, s8, 0xffff
	s_mov_b64 s[0:1], 0
	v_mov_b32_e32 v3, s4
	v_mov_b32_e32 v4, s13
	;; [unrolled: 1-line block ×3, first 2 shown]
.LBB129_36:                             ; =>This Inner Loop Header: Depth=1
	v_ashrrev_i32_e32 v7, 31, v0
	v_add_co_u32_e32 v6, vcc, s2, v0
	v_addc_co_u32_e32 v7, vcc, v3, v7, vcc
	v_add_u32_e32 v0, s3, v0
	v_cmp_le_i32_e32 vcc, s9, v0
	v_lshlrev_b64 v[6:7], 2, v[6:7]
	s_or_b64 s[0:1], vcc, s[0:1]
	v_add_co_u32_e32 v8, vcc, s12, v6
	v_addc_co_u32_e32 v9, vcc, v4, v7, vcc
	v_add_co_u32_e32 v6, vcc, s14, v6
	v_addc_co_u32_e32 v7, vcc, v5, v7, vcc
	global_store_dword v[8:9], v2, off
	global_store_dword v[6:7], v1, off
	s_andn2_b64 exec, exec, s[0:1]
	s_cbranch_execnz .LBB129_36
.LBB129_37:
	s_endpgm
	.section	.rodata,"a",@progbits
	.p2align	6, 0x0
	.amdhsa_kernel _ZN5aiter19grouped_topk_kernelIN3c108BFloat16EDv2_fLi4ELb1ELb0ELb1EEEvPT_PKS4_PfPimiiiif
		.amdhsa_group_segment_fixed_size 0
		.amdhsa_private_segment_fixed_size 0
		.amdhsa_kernarg_size 320
		.amdhsa_user_sgpr_count 6
		.amdhsa_user_sgpr_private_segment_buffer 1
		.amdhsa_user_sgpr_dispatch_ptr 0
		.amdhsa_user_sgpr_queue_ptr 0
		.amdhsa_user_sgpr_kernarg_segment_ptr 1
		.amdhsa_user_sgpr_dispatch_id 0
		.amdhsa_user_sgpr_flat_scratch_init 0
		.amdhsa_user_sgpr_kernarg_preload_length 0
		.amdhsa_user_sgpr_kernarg_preload_offset 0
		.amdhsa_user_sgpr_private_segment_size 0
		.amdhsa_uses_dynamic_stack 0
		.amdhsa_system_sgpr_private_segment_wavefront_offset 0
		.amdhsa_system_sgpr_workgroup_id_x 1
		.amdhsa_system_sgpr_workgroup_id_y 0
		.amdhsa_system_sgpr_workgroup_id_z 0
		.amdhsa_system_sgpr_workgroup_info 0
		.amdhsa_system_vgpr_workitem_id 0
		.amdhsa_next_free_vgpr 15
		.amdhsa_next_free_sgpr 24
		.amdhsa_accum_offset 16
		.amdhsa_reserve_vcc 1
		.amdhsa_reserve_flat_scratch 0
		.amdhsa_float_round_mode_32 0
		.amdhsa_float_round_mode_16_64 0
		.amdhsa_float_denorm_mode_32 3
		.amdhsa_float_denorm_mode_16_64 3
		.amdhsa_dx10_clamp 1
		.amdhsa_ieee_mode 1
		.amdhsa_fp16_overflow 0
		.amdhsa_tg_split 0
		.amdhsa_exception_fp_ieee_invalid_op 0
		.amdhsa_exception_fp_denorm_src 0
		.amdhsa_exception_fp_ieee_div_zero 0
		.amdhsa_exception_fp_ieee_overflow 0
		.amdhsa_exception_fp_ieee_underflow 0
		.amdhsa_exception_fp_ieee_inexact 0
		.amdhsa_exception_int_div_zero 0
	.end_amdhsa_kernel
	.section	.text._ZN5aiter19grouped_topk_kernelIN3c108BFloat16EDv2_fLi4ELb1ELb0ELb1EEEvPT_PKS4_PfPimiiiif,"axG",@progbits,_ZN5aiter19grouped_topk_kernelIN3c108BFloat16EDv2_fLi4ELb1ELb0ELb1EEEvPT_PKS4_PfPimiiiif,comdat
.Lfunc_end129:
	.size	_ZN5aiter19grouped_topk_kernelIN3c108BFloat16EDv2_fLi4ELb1ELb0ELb1EEEvPT_PKS4_PfPimiiiif, .Lfunc_end129-_ZN5aiter19grouped_topk_kernelIN3c108BFloat16EDv2_fLi4ELb1ELb0ELb1EEEvPT_PKS4_PfPimiiiif
                                        ; -- End function
	.section	.AMDGPU.csdata,"",@progbits
; Kernel info:
; codeLenInByte = 2508
; NumSgprs: 28
; NumVgprs: 15
; NumAgprs: 0
; TotalNumVgprs: 15
; ScratchSize: 0
; MemoryBound: 0
; FloatMode: 240
; IeeeMode: 1
; LDSByteSize: 0 bytes/workgroup (compile time only)
; SGPRBlocks: 3
; VGPRBlocks: 1
; NumSGPRsForWavesPerEU: 28
; NumVGPRsForWavesPerEU: 15
; AccumOffset: 16
; Occupancy: 8
; WaveLimiterHint : 0
; COMPUTE_PGM_RSRC2:SCRATCH_EN: 0
; COMPUTE_PGM_RSRC2:USER_SGPR: 6
; COMPUTE_PGM_RSRC2:TRAP_HANDLER: 0
; COMPUTE_PGM_RSRC2:TGID_X_EN: 1
; COMPUTE_PGM_RSRC2:TGID_Y_EN: 0
; COMPUTE_PGM_RSRC2:TGID_Z_EN: 0
; COMPUTE_PGM_RSRC2:TIDIG_COMP_CNT: 0
; COMPUTE_PGM_RSRC3_GFX90A:ACCUM_OFFSET: 3
; COMPUTE_PGM_RSRC3_GFX90A:TG_SPLIT: 0
	.section	.text._ZN5aiter19grouped_topk_kernelIfDv2_fLi4ELb1ELb0ELb0EEEvPT_PKS2_PfPimiiiif,"axG",@progbits,_ZN5aiter19grouped_topk_kernelIfDv2_fLi4ELb1ELb0ELb0EEEvPT_PKS2_PfPimiiiif,comdat
	.protected	_ZN5aiter19grouped_topk_kernelIfDv2_fLi4ELb1ELb0ELb0EEEvPT_PKS2_PfPimiiiif ; -- Begin function _ZN5aiter19grouped_topk_kernelIfDv2_fLi4ELb1ELb0ELb0EEEvPT_PKS2_PfPimiiiif
	.globl	_ZN5aiter19grouped_topk_kernelIfDv2_fLi4ELb1ELb0ELb0EEEvPT_PKS2_PfPimiiiif
	.p2align	8
	.type	_ZN5aiter19grouped_topk_kernelIfDv2_fLi4ELb1ELb0ELb0EEEvPT_PKS2_PfPimiiiif,@function
_ZN5aiter19grouped_topk_kernelIfDv2_fLi4ELb1ELb0ELb0EEEvPT_PKS2_PfPimiiiif: ; @_ZN5aiter19grouped_topk_kernelIfDv2_fLi4ELb1ELb0ELb0EEEvPT_PKS2_PfPimiiiif
; %bb.0:
	s_load_dwordx4 s[8:11], s[4:5], 0x28
	s_load_dwordx4 s[12:15], s[4:5], 0x10
	s_waitcnt lgkmcnt(0)
	s_lshr_b32 s0, s8, 31
	s_add_i32 s0, s8, s0
	s_ashr_i32 s7, s0, 1
	v_cmp_gt_i32_e64 s[0:1], s7, v0
	s_and_saveexec_b64 s[16:17], s[0:1]
	s_cbranch_execz .LBB130_3
; %bb.1:
	s_load_dword s11, s[4:5], 0x4c
	s_load_dwordx2 s[2:3], s[4:5], 0x0
	s_mul_i32 s18, s6, s8
	s_ashr_i32 s19, s18, 31
	s_lshl_b64 s[18:19], s[18:19], 2
	s_waitcnt lgkmcnt(0)
	s_and_b32 s11, s11, 0xffff
	s_add_u32 s2, s2, s18
	v_lshlrev_b32_e32 v1, 3, v0
	s_addc_u32 s3, s3, s19
	s_mov_b32 s24, 0
	v_mov_b32_e32 v3, s3
	v_add_co_u32_e32 v2, vcc, s2, v1
	v_addc_co_u32_e32 v3, vcc, 0, v3, vcc
	s_lshl_b32 s20, s11, 3
	v_add_u32_e32 v1, 0, v1
	s_mov_b64 s[18:19], 0
	s_mov_b32 s21, 0xbfb8aa3b
	s_mov_b32 s22, 0x42ce8ed0
	;; [unrolled: 1-line block ×3, first 2 shown]
	v_mov_b32_e32 v4, 0x7f800000
	v_mov_b32_e32 v5, s24
	;; [unrolled: 1-line block ×3, first 2 shown]
.LBB130_2:                              ; =>This Inner Loop Header: Depth=1
	global_load_dwordx2 v[8:9], v[2:3], off
	v_add_co_u32_e32 v2, vcc, s20, v2
	v_add_u32_e32 v6, s11, v6
	v_addc_co_u32_e32 v3, vcc, v3, v5, vcc
	v_cmp_le_i32_e32 vcc, s7, v6
	s_or_b64 s[18:19], vcc, s[18:19]
	s_waitcnt vmcnt(0)
	v_mul_f32_e32 v7, 0xbfb8aa3b, v9
	v_mul_f32_e32 v10, 0xbfb8aa3b, v8
	v_rndne_f32_e32 v11, v7
	v_fma_f32 v12, v9, s21, -v7
	v_rndne_f32_e32 v13, v10
	v_fma_f32 v14, v8, s21, -v10
	v_sub_f32_e32 v7, v7, v11
	v_fmac_f32_e32 v12, 0xb2a5705f, v9
	v_sub_f32_e32 v10, v10, v13
	v_fmac_f32_e32 v14, 0xb2a5705f, v8
	v_add_f32_e32 v7, v7, v12
	v_add_f32_e32 v10, v10, v14
	v_cvt_i32_f32_e32 v11, v11
	v_cvt_i32_f32_e32 v13, v13
	v_exp_f32_e32 v7, v7
	v_exp_f32_e32 v10, v10
	v_cmp_nlt_f32_e32 vcc, s22, v8
	v_cmp_nlt_f32_e64 s[2:3], s22, v9
	v_ldexp_f32 v7, v7, v11
	v_ldexp_f32 v10, v10, v13
	v_cndmask_b32_e64 v7, 0, v7, s[2:3]
	v_cndmask_b32_e32 v10, 0, v10, vcc
	v_cmp_ngt_f32_e32 vcc, s23, v8
	v_cmp_ngt_f32_e64 s[2:3], s23, v9
	v_cndmask_b32_e64 v9, v4, v7, s[2:3]
	v_cndmask_b32_e32 v8, v4, v10, vcc
	v_pk_add_f32 v[8:9], v[8:9], 1.0 op_sel_hi:[1,0]
	v_div_scale_f32 v7, s[2:3], v9, v9, 1.0
	v_div_scale_f32 v11, s[2:3], v8, v8, 1.0
	v_rcp_f32_e32 v13, v7
	v_rcp_f32_e32 v14, v11
	v_div_scale_f32 v10, vcc, 1.0, v9, 1.0
	v_fma_f32 v15, -v7, v13, 1.0
	v_fma_f32 v16, -v11, v14, 1.0
	v_fmac_f32_e32 v13, v15, v13
	v_div_scale_f32 v12, s[2:3], 1.0, v8, 1.0
	v_fmac_f32_e32 v14, v16, v14
	v_mul_f32_e32 v15, v10, v13
	v_mul_f32_e32 v16, v12, v14
	v_fma_f32 v17, -v7, v15, v10
	v_fma_f32 v18, -v11, v16, v12
	v_fmac_f32_e32 v15, v17, v13
	v_fmac_f32_e32 v16, v18, v14
	v_fma_f32 v7, -v7, v15, v10
	v_fma_f32 v10, -v11, v16, v12
	v_div_fmas_f32 v7, v7, v13, v15
	s_mov_b64 vcc, s[2:3]
	v_div_fixup_f32 v9, v7, v9, 1.0
	v_div_fmas_f32 v7, v10, v14, v16
	v_div_fixup_f32 v8, v7, v8, 1.0
	ds_write_b64 v1, v[8:9]
	v_add_u32_e32 v1, s20, v1
	s_andn2_b64 exec, exec, s[18:19]
	s_cbranch_execnz .LBB130_2
.LBB130_3:
	s_or_b64 exec, exec, s[16:17]
	s_ashr_i32 s2, s8, 31
	s_lshr_b32 s2, s2, 30
	s_add_i32 s2, s8, s2
	s_ashr_i32 s11, s2, 2
	s_lshl_b32 s2, s8, 2
	s_add_i32 s22, s2, 0
	v_cmp_gt_u32_e32 vcc, 4, v0
	s_waitcnt lgkmcnt(0)
	s_barrier
	s_and_saveexec_b64 s[16:17], vcc
	s_cbranch_execz .LBB130_10
; %bb.4:
	s_load_dword s2, s[4:5], 0x4c
	v_mul_lo_u32 v1, v0, s11
	v_lshl_add_u32 v1, v1, 2, 0
	s_mov_b64 s[18:19], 0
	s_waitcnt lgkmcnt(0)
	s_and_b32 s23, s2, 0xffff
	s_cmp_gt_i32 s8, 3
	s_cselect_b64 s[2:3], -1, 0
	s_mul_i32 s8, s11, s23
	v_cndmask_b32_e64 v2, 0, 1, s[2:3]
	s_lshl_b32 s8, s8, 2
	v_cmp_ne_u32_e64 s[2:3], 1, v2
	v_mov_b32_e32 v2, v0
	s_branch .LBB130_6
.LBB130_5:                              ;   in Loop: Header=BB130_6 Depth=1
	v_lshl_add_u32 v4, v2, 2, s22
	v_add_u32_e32 v2, s23, v2
	v_cmp_lt_u32_e32 vcc, 3, v2
	s_or_b64 s[18:19], vcc, s[18:19]
	v_add_u32_e32 v1, s8, v1
	ds_write_b32 v4, v3
	s_andn2_b64 exec, exec, s[18:19]
	s_cbranch_execz .LBB130_10
.LBB130_6:                              ; =>This Loop Header: Depth=1
                                        ;     Child Loop BB130_8 Depth 2
	s_and_b64 vcc, exec, s[2:3]
	v_mov_b32_e32 v3, 0xff800000
	s_cbranch_vccnz .LBB130_5
; %bb.7:                                ;   in Loop: Header=BB130_6 Depth=1
	v_mul_lo_u32 v4, v2, s11
	v_add_u32_e32 v5, s11, v4
	s_mov_b64 s[20:21], 0
	v_mov_b32_e32 v3, 0xff800000
	v_mov_b32_e32 v6, v1
.LBB130_8:                              ;   Parent Loop BB130_6 Depth=1
                                        ; =>  This Inner Loop Header: Depth=2
	ds_read_b32 v7, v6
	v_add_u32_e32 v4, 1, v4
	v_cmp_ge_i32_e32 vcc, v4, v5
	s_or_b64 s[20:21], vcc, s[20:21]
	v_add_u32_e32 v6, 4, v6
	s_waitcnt lgkmcnt(0)
	v_cmp_gt_f32_e32 vcc, v7, v3
	v_cndmask_b32_e32 v3, v3, v7, vcc
	s_andn2_b64 exec, exec, s[20:21]
	s_cbranch_execnz .LBB130_8
; %bb.9:                                ;   in Loop: Header=BB130_6 Depth=1
	s_or_b64 exec, exec, s[20:21]
	s_branch .LBB130_5
.LBB130_10:
	s_or_b64 exec, exec, s[16:17]
	s_cmp_lt_i32 s10, 1
	s_waitcnt lgkmcnt(0)
	s_barrier
	s_cbranch_scc1 .LBB130_13
; %bb.11:
	v_mov_b32_e32 v1, s22
	s_mov_b32 s2, 0xff800000
	v_mov_b32_e32 v2, 0xff800000
.LBB130_12:                             ; =>This Inner Loop Header: Depth=1
	ds_read2_b32 v[4:5], v1 offset1:1
	ds_read2_b32 v[6:7], v1 offset0:2 offset1:3
	s_waitcnt lgkmcnt(1)
	v_cmp_nlg_f32_e32 vcc, s2, v4
	v_cndmask_b32_e64 v3, 0, 1, vcc
	v_cmp_lg_f32_e32 vcc, s2, v4
	v_cndmask_b32_e32 v4, v2, v4, vcc
	v_readfirstlane_b32 s3, v3
	v_cmp_gt_f32_e32 vcc, v5, v4
	s_lshl_b32 s3, s3, 2
	v_cndmask_b32_e32 v3, v4, v5, vcc
	s_and_b64 s[16:17], vcc, exec
	s_waitcnt lgkmcnt(0)
	v_cmp_gt_f32_e32 vcc, v6, v3
	v_cndmask_b32_e32 v3, v3, v6, vcc
	s_cselect_b32 s3, 1, s3
	s_and_b64 s[16:17], vcc, exec
	v_cmp_ngt_f32_e32 vcc, v7, v3
	s_cselect_b32 s3, 2, s3
	s_and_b64 s[16:17], vcc, exec
	s_cselect_b32 s3, s3, 3
	s_lshl_b32 s3, s3, 2
	s_add_i32 s3, s22, s3
	s_add_i32 s10, s10, -1
	v_mov_b32_e32 v3, s3
	s_cmp_lg_u32 s10, 0
	ds_write_b32 v3, v2
	s_cbranch_scc1 .LBB130_12
.LBB130_13:
	v_lshlrev_b32_e32 v4, 1, v0
	v_lshl_add_u32 v5, v0, 3, 0
	s_and_saveexec_b64 s[2:3], s[0:1]
	s_cbranch_execz .LBB130_18
; %bb.14:
	s_abs_i32 s8, s11
	v_cvt_f32_u32_e32 v2, s8
	s_load_dword s16, s[4:5], 0x4c
	s_sub_i32 s17, 0, s8
	s_ashr_i32 s18, s11, 31
	v_rcp_iflag_f32_e32 v2, v2
	v_lshlrev_b32_e32 v1, 1, v0
	s_waitcnt lgkmcnt(0)
	s_and_b32 s19, s16, 0xffff
	v_lshl_add_u32 v6, v0, 3, 0
	v_mul_f32_e32 v2, 0x4f7ffffe, v2
	v_cvt_u32_f32_e32 v2, v2
	s_mov_b64 s[10:11], 0
	s_lshl_b32 s20, s19, 1
	s_lshl_b32 s21, s19, 3
	v_mul_lo_u32 v3, s17, v2
	v_mul_hi_u32 v3, v2, v3
	v_add_u32_e32 v7, v2, v3
	s_mov_b32 s23, 0xff800000
	v_mov_b32_e32 v2, 0xff800000
	v_mov_b32_e32 v8, v0
	s_branch .LBB130_16
.LBB130_15:                             ;   in Loop: Header=BB130_16 Depth=1
	s_or_b64 exec, exec, s[16:17]
	v_add_u32_e32 v8, s19, v8
	v_cmp_le_i32_e32 vcc, s7, v8
	v_add_u32_e32 v1, s20, v1
	s_or_b64 s[10:11], vcc, s[10:11]
	v_add_u32_e32 v6, s21, v6
	s_andn2_b64 exec, exec, s[10:11]
	s_cbranch_execz .LBB130_18
.LBB130_16:                             ; =>This Inner Loop Header: Depth=1
	v_mul_hi_u32 v3, v1, v7
	v_mul_lo_u32 v9, v3, s8
	v_sub_u32_e32 v9, v1, v9
	v_add_u32_e32 v10, 1, v3
	v_cmp_le_u32_e32 vcc, s8, v9
	v_cndmask_b32_e32 v3, v3, v10, vcc
	v_subrev_u32_e32 v10, s8, v9
	v_cndmask_b32_e32 v9, v9, v10, vcc
	v_add_u32_e32 v10, 1, v3
	v_cmp_le_u32_e32 vcc, s8, v9
	v_cndmask_b32_e32 v3, v3, v10, vcc
	v_xor_b32_e32 v3, s18, v3
	v_subrev_u32_e32 v3, s18, v3
	v_lshl_add_u32 v3, v3, 2, s22
	ds_read_b32 v3, v3
	s_waitcnt lgkmcnt(0)
	v_cmp_neq_f32_e32 vcc, s23, v3
	s_and_saveexec_b64 s[16:17], vcc
	s_cbranch_execz .LBB130_15
; %bb.17:                               ;   in Loop: Header=BB130_16 Depth=1
	v_mov_b32_e32 v3, v2
	ds_write_b64 v6, v[2:3]
	s_branch .LBB130_15
.LBB130_18:
	s_or_b64 exec, exec, s[2:3]
	s_cmp_lt_i32 s9, 1
	s_waitcnt lgkmcnt(0)
	s_barrier
	s_cbranch_scc1 .LBB130_25
; %bb.19:
	s_add_u32 s2, s4, 64
	s_addc_u32 s3, s5, 0
	s_mov_b32 s8, 0
	v_mov_b32_e32 v2, 0
	v_mov_b32_e32 v6, 0xff800000
                                        ; implicit-def: $vgpr3
                                        ; implicit-def: $vgpr1
	s_branch .LBB130_21
.LBB130_20:                             ;   in Loop: Header=BB130_21 Depth=1
	s_or_b64 exec, exec, s[10:11]
	v_mov_b32_dpp v10, v8 quad_perm:[1,0,3,2] row_mask:0xf bank_mask:0xf
	v_cmp_lt_f32_e32 vcc, v8, v10
	v_cndmask_b32_e32 v8, v8, v10, vcc
	v_mov_b32_dpp v9, v7 quad_perm:[1,0,3,2] row_mask:0xf bank_mask:0xf
	v_cndmask_b32_e32 v7, v7, v9, vcc
	v_mov_b32_dpp v10, v8 quad_perm:[2,3,0,1] row_mask:0xf bank_mask:0xf
	v_cmp_gt_f32_e32 vcc, v10, v8
	v_cndmask_b32_e32 v8, v8, v10, vcc
	v_mov_b32_dpp v9, v7 quad_perm:[2,3,0,1] row_mask:0xf bank_mask:0xf
	v_cndmask_b32_e32 v7, v7, v9, vcc
	v_mov_b32_dpp v10, v8 row_half_mirror row_mask:0xf bank_mask:0xf
	v_cmp_gt_f32_e32 vcc, v10, v8
	v_cndmask_b32_e32 v8, v8, v10, vcc
	v_mov_b32_dpp v9, v7 row_half_mirror row_mask:0xf bank_mask:0xf
	v_cndmask_b32_e32 v7, v7, v9, vcc
	v_mov_b32_dpp v10, v8 row_mirror row_mask:0xf bank_mask:0xf
	v_cmp_gt_f32_e32 vcc, v10, v8
	v_cndmask_b32_e32 v8, v8, v10, vcc
	v_mov_b32_dpp v9, v7 row_mirror row_mask:0xf bank_mask:0xf
	v_cndmask_b32_e32 v7, v7, v9, vcc
	v_mov_b32_dpp v10, v8 row_bcast:15 row_mask:0xf bank_mask:0xf
	v_cmp_gt_f32_e32 vcc, v10, v8
	v_mov_b32_dpp v9, v7 row_bcast:15 row_mask:0xf bank_mask:0xf
	v_cndmask_b32_e32 v8, v8, v10, vcc
	v_cndmask_b32_e32 v7, v7, v9, vcc
	s_nop 0
	v_mov_b32_dpp v10, v8 row_bcast:31 row_mask:0xf bank_mask:0xf
	v_mov_b32_dpp v9, v7 row_bcast:31 row_mask:0xf bank_mask:0xf
	v_cmp_gt_f32_e32 vcc, v10, v8
	v_cndmask_b32_e32 v7, v7, v9, vcc
	v_readlane_b32 s11, v7, 63
	s_lshl_b32 s16, s11, 2
	s_add_i32 s16, s16, 0
	v_cndmask_b32_e32 v8, v8, v10, vcc
	v_mov_b32_e32 v7, s16
	v_readlane_b32 s10, v8, 63
	ds_write_b32 v7, v6
	v_mov_b32_e32 v7, s11
	v_cmp_eq_u32_e32 vcc, s8, v0
	v_cndmask_b32_e32 v1, v1, v7, vcc
	v_mov_b32_e32 v7, s10
	s_add_i32 s8, s8, 1
	v_cndmask_b32_e32 v3, v3, v7, vcc
	s_cmp_eq_u32 s8, s9
	v_add_f32_e32 v2, s10, v2
	s_cbranch_scc1 .LBB130_26
.LBB130_21:                             ; =>This Loop Header: Depth=1
                                        ;     Child Loop BB130_23 Depth 2
	v_mov_b32_e32 v7, s8
	v_mov_b32_e32 v8, 0xff800000
	s_and_saveexec_b64 s[10:11], s[0:1]
	s_cbranch_execz .LBB130_20
; %bb.22:                               ;   in Loop: Header=BB130_21 Depth=1
	s_load_dword s18, s[2:3], 0xc
	s_mov_b64 s[16:17], 0
	v_mov_b32_e32 v7, s8
	v_mov_b32_e32 v8, 0xff800000
	;; [unrolled: 1-line block ×3, first 2 shown]
	s_waitcnt lgkmcnt(0)
	s_and_b32 s18, s18, 0xffff
	s_lshl_b32 s19, s18, 1
	s_lshl_b32 s20, s18, 3
	v_mov_b32_e32 v10, v4
	v_mov_b32_e32 v11, v0
.LBB130_23:                             ;   Parent Loop BB130_21 Depth=1
                                        ; =>  This Inner Loop Header: Depth=2
	ds_read_b64 v[12:13], v9
	v_add_u32_e32 v11, s18, v11
	v_cmp_le_i32_e32 vcc, s7, v11
	s_or_b64 s[16:17], vcc, s[16:17]
	v_add_u32_e32 v14, 1, v10
	s_waitcnt lgkmcnt(0)
	v_cmp_gt_f32_e32 vcc, v12, v8
	v_cndmask_b32_e32 v8, v8, v12, vcc
	v_cndmask_b32_e32 v7, v7, v10, vcc
	v_cmp_gt_f32_e32 vcc, v13, v8
	v_add_u32_e32 v9, s20, v9
	v_cndmask_b32_e32 v8, v8, v13, vcc
	v_add_u32_e32 v10, s19, v10
	v_cndmask_b32_e32 v7, v7, v14, vcc
	s_andn2_b64 exec, exec, s[16:17]
	s_cbranch_execnz .LBB130_23
; %bb.24:                               ;   in Loop: Header=BB130_21 Depth=1
	s_or_b64 exec, exec, s[16:17]
	s_branch .LBB130_20
.LBB130_25:
	v_mov_b32_e32 v2, 0
                                        ; implicit-def: $vgpr3
                                        ; implicit-def: $vgpr1
.LBB130_26:
	v_cmp_gt_i32_e32 vcc, s9, v0
	s_and_saveexec_b64 s[0:1], vcc
	s_cbranch_execz .LBB130_29
; %bb.27:
	s_load_dword s7, s[4:5], 0x38
	s_load_dwordx2 s[0:1], s[4:5], 0x20
	s_load_dword s8, s[4:5], 0x4c
	s_waitcnt lgkmcnt(0)
	v_div_scale_f32 v4, s[2:3], v2, v2, s7
	v_rcp_f32_e32 v5, v4
	v_div_scale_f32 v6, vcc, s7, v2, s7
	s_ashr_i32 s2, s6, 31
	v_fma_f32 v7, -v4, v5, 1.0
	v_fmac_f32_e32 v5, v7, v5
	v_mul_f32_e32 v7, v6, v5
	v_fma_f32 v8, -v4, v7, v6
	v_fmac_f32_e32 v7, v8, v5
	v_fma_f32 v4, -v4, v7, v6
	s_mul_i32 s1, s6, s1
	s_mul_hi_u32 s3, s6, s0
	v_div_fmas_f32 v4, v4, v5, v7
	s_add_i32 s1, s3, s1
	s_mul_i32 s2, s2, s0
	v_div_fixup_f32 v2, v4, v2, s7
	s_add_i32 s4, s1, s2
	v_mul_f32_e32 v2, v2, v3
	s_mul_i32 s2, s6, s0
	s_and_b32 s3, s8, 0xffff
	s_mov_b64 s[0:1], 0
	v_mov_b32_e32 v3, s4
	v_mov_b32_e32 v4, s13
	;; [unrolled: 1-line block ×3, first 2 shown]
.LBB130_28:                             ; =>This Inner Loop Header: Depth=1
	v_ashrrev_i32_e32 v7, 31, v0
	v_add_co_u32_e32 v6, vcc, s2, v0
	v_addc_co_u32_e32 v7, vcc, v3, v7, vcc
	v_add_u32_e32 v0, s3, v0
	v_cmp_le_i32_e32 vcc, s9, v0
	v_lshlrev_b64 v[6:7], 2, v[6:7]
	s_or_b64 s[0:1], vcc, s[0:1]
	v_add_co_u32_e32 v8, vcc, s12, v6
	v_addc_co_u32_e32 v9, vcc, v4, v7, vcc
	v_add_co_u32_e32 v6, vcc, s14, v6
	v_addc_co_u32_e32 v7, vcc, v5, v7, vcc
	global_store_dword v[8:9], v2, off
	global_store_dword v[6:7], v1, off
	s_andn2_b64 exec, exec, s[0:1]
	s_cbranch_execnz .LBB130_28
.LBB130_29:
	s_endpgm
	.section	.rodata,"a",@progbits
	.p2align	6, 0x0
	.amdhsa_kernel _ZN5aiter19grouped_topk_kernelIfDv2_fLi4ELb1ELb0ELb0EEEvPT_PKS2_PfPimiiiif
		.amdhsa_group_segment_fixed_size 0
		.amdhsa_private_segment_fixed_size 0
		.amdhsa_kernarg_size 320
		.amdhsa_user_sgpr_count 6
		.amdhsa_user_sgpr_private_segment_buffer 1
		.amdhsa_user_sgpr_dispatch_ptr 0
		.amdhsa_user_sgpr_queue_ptr 0
		.amdhsa_user_sgpr_kernarg_segment_ptr 1
		.amdhsa_user_sgpr_dispatch_id 0
		.amdhsa_user_sgpr_flat_scratch_init 0
		.amdhsa_user_sgpr_kernarg_preload_length 0
		.amdhsa_user_sgpr_kernarg_preload_offset 0
		.amdhsa_user_sgpr_private_segment_size 0
		.amdhsa_uses_dynamic_stack 0
		.amdhsa_system_sgpr_private_segment_wavefront_offset 0
		.amdhsa_system_sgpr_workgroup_id_x 1
		.amdhsa_system_sgpr_workgroup_id_y 0
		.amdhsa_system_sgpr_workgroup_id_z 0
		.amdhsa_system_sgpr_workgroup_info 0
		.amdhsa_system_vgpr_workitem_id 0
		.amdhsa_next_free_vgpr 19
		.amdhsa_next_free_sgpr 25
		.amdhsa_accum_offset 20
		.amdhsa_reserve_vcc 1
		.amdhsa_reserve_flat_scratch 0
		.amdhsa_float_round_mode_32 0
		.amdhsa_float_round_mode_16_64 0
		.amdhsa_float_denorm_mode_32 3
		.amdhsa_float_denorm_mode_16_64 3
		.amdhsa_dx10_clamp 1
		.amdhsa_ieee_mode 1
		.amdhsa_fp16_overflow 0
		.amdhsa_tg_split 0
		.amdhsa_exception_fp_ieee_invalid_op 0
		.amdhsa_exception_fp_denorm_src 0
		.amdhsa_exception_fp_ieee_div_zero 0
		.amdhsa_exception_fp_ieee_overflow 0
		.amdhsa_exception_fp_ieee_underflow 0
		.amdhsa_exception_fp_ieee_inexact 0
		.amdhsa_exception_int_div_zero 0
	.end_amdhsa_kernel
	.section	.text._ZN5aiter19grouped_topk_kernelIfDv2_fLi4ELb1ELb0ELb0EEEvPT_PKS2_PfPimiiiif,"axG",@progbits,_ZN5aiter19grouped_topk_kernelIfDv2_fLi4ELb1ELb0ELb0EEEvPT_PKS2_PfPimiiiif,comdat
.Lfunc_end130:
	.size	_ZN5aiter19grouped_topk_kernelIfDv2_fLi4ELb1ELb0ELb0EEEvPT_PKS2_PfPimiiiif, .Lfunc_end130-_ZN5aiter19grouped_topk_kernelIfDv2_fLi4ELb1ELb0ELb0EEEvPT_PKS2_PfPimiiiif
                                        ; -- End function
	.section	.AMDGPU.csdata,"",@progbits
; Kernel info:
; codeLenInByte = 1936
; NumSgprs: 29
; NumVgprs: 19
; NumAgprs: 0
; TotalNumVgprs: 19
; ScratchSize: 0
; MemoryBound: 0
; FloatMode: 240
; IeeeMode: 1
; LDSByteSize: 0 bytes/workgroup (compile time only)
; SGPRBlocks: 3
; VGPRBlocks: 2
; NumSGPRsForWavesPerEU: 29
; NumVGPRsForWavesPerEU: 19
; AccumOffset: 20
; Occupancy: 8
; WaveLimiterHint : 0
; COMPUTE_PGM_RSRC2:SCRATCH_EN: 0
; COMPUTE_PGM_RSRC2:USER_SGPR: 6
; COMPUTE_PGM_RSRC2:TRAP_HANDLER: 0
; COMPUTE_PGM_RSRC2:TGID_X_EN: 1
; COMPUTE_PGM_RSRC2:TGID_Y_EN: 0
; COMPUTE_PGM_RSRC2:TGID_Z_EN: 0
; COMPUTE_PGM_RSRC2:TIDIG_COMP_CNT: 0
; COMPUTE_PGM_RSRC3_GFX90A:ACCUM_OFFSET: 4
; COMPUTE_PGM_RSRC3_GFX90A:TG_SPLIT: 0
	.section	.text._ZN5aiter19grouped_topk_kernelIN3c104HalfEDv2_fLi4ELb1ELb0ELb0EEEvPT_PKS4_PfPimiiiif,"axG",@progbits,_ZN5aiter19grouped_topk_kernelIN3c104HalfEDv2_fLi4ELb1ELb0ELb0EEEvPT_PKS4_PfPimiiiif,comdat
	.protected	_ZN5aiter19grouped_topk_kernelIN3c104HalfEDv2_fLi4ELb1ELb0ELb0EEEvPT_PKS4_PfPimiiiif ; -- Begin function _ZN5aiter19grouped_topk_kernelIN3c104HalfEDv2_fLi4ELb1ELb0ELb0EEEvPT_PKS4_PfPimiiiif
	.globl	_ZN5aiter19grouped_topk_kernelIN3c104HalfEDv2_fLi4ELb1ELb0ELb0EEEvPT_PKS4_PfPimiiiif
	.p2align	8
	.type	_ZN5aiter19grouped_topk_kernelIN3c104HalfEDv2_fLi4ELb1ELb0ELb0EEEvPT_PKS4_PfPimiiiif,@function
_ZN5aiter19grouped_topk_kernelIN3c104HalfEDv2_fLi4ELb1ELb0ELb0EEEvPT_PKS4_PfPimiiiif: ; @_ZN5aiter19grouped_topk_kernelIN3c104HalfEDv2_fLi4ELb1ELb0ELb0EEEvPT_PKS4_PfPimiiiif
; %bb.0:
	s_load_dwordx4 s[8:11], s[4:5], 0x28
	s_load_dwordx4 s[12:15], s[4:5], 0x10
	v_lshl_add_u32 v1, v0, 3, 0
	s_waitcnt lgkmcnt(0)
	s_lshr_b32 s0, s8, 31
	s_add_i32 s0, s8, s0
	s_ashr_i32 s7, s0, 1
	v_cmp_gt_i32_e64 s[0:1], s7, v0
	s_and_saveexec_b64 s[16:17], s[0:1]
	s_cbranch_execz .LBB131_3
; %bb.1:
	s_load_dword s11, s[4:5], 0x4c
	s_load_dwordx2 s[2:3], s[4:5], 0x0
	s_mul_i32 s18, s6, s8
	s_ashr_i32 s19, s18, 31
	s_lshl_b64 s[18:19], s[18:19], 1
	s_waitcnt lgkmcnt(0)
	s_and_b32 s11, s11, 0xffff
	s_add_u32 s2, s2, s18
	v_lshlrev_b32_e32 v2, 2, v0
	s_addc_u32 s3, s3, s19
	s_mov_b32 s26, 0
	v_mov_b32_e32 v3, s3
	v_add_co_u32_e32 v2, vcc, s2, v2
	v_addc_co_u32_e32 v3, vcc, 0, v3, vcc
	s_lshl_b32 s20, s11, 2
	v_lshl_add_u32 v4, v0, 3, 0
	s_lshl_b32 s21, s11, 3
	s_mov_b64 s[18:19], 0
	s_mov_b32 s22, 0x3fb8aa3b
	s_mov_b32 s23, 0x32a5705f
	;; [unrolled: 1-line block ×4, first 2 shown]
	v_mov_b32_e32 v5, 0x7f800000
	v_mov_b32_e32 v6, s26
	;; [unrolled: 1-line block ×3, first 2 shown]
.LBB131_2:                              ; =>This Inner Loop Header: Depth=1
	global_load_dword v8, v[2:3], off
	v_add_co_u32_e32 v2, vcc, s20, v2
	v_add_u32_e32 v7, s11, v7
	v_addc_co_u32_e32 v3, vcc, v3, v6, vcc
	v_cmp_le_i32_e32 vcc, s7, v7
	s_or_b64 s[18:19], vcc, s[18:19]
	s_waitcnt vmcnt(0)
	v_cvt_f32_f16_e64 v9, -v8
	v_cvt_f32_f16_sdwa v10, -v8 dst_sel:DWORD dst_unused:UNUSED_PAD src0_sel:WORD_1
	v_mul_f32_e32 v11, 0x3fb8aa3b, v9
	v_mul_f32_e32 v12, 0x3fb8aa3b, v10
	v_rndne_f32_e32 v13, v11
	v_fma_mix_f32 v14, -v8, s22, -v11 op_sel_hi:[1,0,0]
	v_rndne_f32_e32 v15, v12
	v_fma_mix_f32 v16, -v8, s22, -v12 op_sel:[1,0,0] op_sel_hi:[1,0,0]
	v_sub_f32_e32 v11, v11, v13
	v_fma_mix_f32 v14, -v8, s23, v14 op_sel_hi:[1,0,0]
	v_sub_f32_e32 v12, v12, v15
	v_fma_mix_f32 v8, -v8, s23, v16 op_sel:[1,0,0] op_sel_hi:[1,0,0]
	v_add_f32_e32 v11, v11, v14
	v_add_f32_e32 v8, v12, v8
	v_cvt_i32_f32_e32 v13, v13
	v_cvt_i32_f32_e32 v15, v15
	v_exp_f32_e32 v11, v11
	v_exp_f32_e32 v8, v8
	v_cmp_ngt_f32_e32 vcc, s24, v10
	v_cmp_ngt_f32_e64 s[2:3], s24, v9
	v_ldexp_f32 v11, v11, v13
	v_ldexp_f32 v8, v8, v15
	v_cndmask_b32_e64 v11, 0, v11, s[2:3]
	v_cndmask_b32_e32 v12, 0, v8, vcc
	v_cmp_nlt_f32_e32 vcc, s25, v10
	v_cmp_nlt_f32_e64 s[2:3], s25, v9
	v_cndmask_b32_e64 v8, v5, v11, s[2:3]
	v_cndmask_b32_e32 v9, v5, v12, vcc
	v_pk_add_f32 v[8:9], v[8:9], 1.0 op_sel_hi:[1,0]
	v_div_scale_f32 v10, s[2:3], v9, v9, 1.0
	v_div_scale_f32 v12, s[2:3], v8, v8, 1.0
	v_rcp_f32_e32 v14, v10
	v_rcp_f32_e32 v15, v12
	v_div_scale_f32 v11, vcc, 1.0, v9, 1.0
	v_fma_f32 v16, -v10, v14, 1.0
	v_fma_f32 v17, -v12, v15, 1.0
	v_fmac_f32_e32 v14, v16, v14
	v_div_scale_f32 v13, s[2:3], 1.0, v8, 1.0
	v_fmac_f32_e32 v15, v17, v15
	v_mul_f32_e32 v16, v11, v14
	v_mul_f32_e32 v17, v13, v15
	v_fma_f32 v18, -v10, v16, v11
	v_fma_f32 v19, -v12, v17, v13
	v_fmac_f32_e32 v16, v18, v14
	v_fmac_f32_e32 v17, v19, v15
	v_fma_f32 v10, -v10, v16, v11
	v_fma_f32 v11, -v12, v17, v13
	v_div_fmas_f32 v10, v10, v14, v16
	s_mov_b64 vcc, s[2:3]
	v_div_fixup_f32 v9, v10, v9, 1.0
	v_div_fmas_f32 v10, v11, v15, v17
	v_div_fixup_f32 v8, v10, v8, 1.0
	ds_write_b64 v4, v[8:9]
	v_add_u32_e32 v4, s21, v4
	s_andn2_b64 exec, exec, s[18:19]
	s_cbranch_execnz .LBB131_2
.LBB131_3:
	s_or_b64 exec, exec, s[16:17]
	s_ashr_i32 s2, s8, 31
	s_lshr_b32 s2, s2, 30
	s_add_i32 s2, s8, s2
	s_ashr_i32 s11, s2, 2
	s_lshl_b32 s2, s8, 2
	s_add_i32 s22, s2, 0
	v_cmp_gt_u32_e32 vcc, 4, v0
	s_waitcnt lgkmcnt(0)
	s_barrier
	s_and_saveexec_b64 s[16:17], vcc
	s_cbranch_execz .LBB131_10
; %bb.4:
	s_load_dword s2, s[4:5], 0x4c
	v_mul_lo_u32 v2, v0, s11
	v_lshl_add_u32 v2, v2, 2, 0
	s_mov_b64 s[18:19], 0
	s_waitcnt lgkmcnt(0)
	s_and_b32 s23, s2, 0xffff
	s_cmp_gt_i32 s8, 3
	s_cselect_b64 s[2:3], -1, 0
	s_mul_i32 s8, s11, s23
	v_cndmask_b32_e64 v3, 0, 1, s[2:3]
	s_lshl_b32 s8, s8, 2
	v_cmp_ne_u32_e64 s[2:3], 1, v3
	v_mov_b32_e32 v3, v0
	s_branch .LBB131_6
.LBB131_5:                              ;   in Loop: Header=BB131_6 Depth=1
	v_lshl_add_u32 v5, v3, 2, s22
	v_add_u32_e32 v3, s23, v3
	v_cmp_lt_u32_e32 vcc, 3, v3
	s_or_b64 s[18:19], vcc, s[18:19]
	v_add_u32_e32 v2, s8, v2
	ds_write_b32 v5, v4
	s_andn2_b64 exec, exec, s[18:19]
	s_cbranch_execz .LBB131_10
.LBB131_6:                              ; =>This Loop Header: Depth=1
                                        ;     Child Loop BB131_8 Depth 2
	s_and_b64 vcc, exec, s[2:3]
	v_mov_b32_e32 v4, 0xff800000
	s_cbranch_vccnz .LBB131_5
; %bb.7:                                ;   in Loop: Header=BB131_6 Depth=1
	v_mul_lo_u32 v5, v3, s11
	v_add_u32_e32 v6, s11, v5
	s_mov_b64 s[20:21], 0
	v_mov_b32_e32 v4, 0xff800000
	v_mov_b32_e32 v7, v2
.LBB131_8:                              ;   Parent Loop BB131_6 Depth=1
                                        ; =>  This Inner Loop Header: Depth=2
	ds_read_b32 v8, v7
	v_add_u32_e32 v5, 1, v5
	v_cmp_ge_i32_e32 vcc, v5, v6
	s_or_b64 s[20:21], vcc, s[20:21]
	v_add_u32_e32 v7, 4, v7
	s_waitcnt lgkmcnt(0)
	v_cmp_gt_f32_e32 vcc, v8, v4
	v_cndmask_b32_e32 v4, v4, v8, vcc
	s_andn2_b64 exec, exec, s[20:21]
	s_cbranch_execnz .LBB131_8
; %bb.9:                                ;   in Loop: Header=BB131_6 Depth=1
	s_or_b64 exec, exec, s[20:21]
	s_branch .LBB131_5
.LBB131_10:
	s_or_b64 exec, exec, s[16:17]
	s_cmp_lt_i32 s10, 1
	s_waitcnt lgkmcnt(0)
	s_barrier
	s_cbranch_scc1 .LBB131_13
; %bb.11:
	v_mov_b32_e32 v2, s22
	s_mov_b32 s2, 0xff800000
	v_mov_b32_e32 v3, 0xff800000
.LBB131_12:                             ; =>This Inner Loop Header: Depth=1
	ds_read2_b32 v[4:5], v2 offset1:1
	ds_read2_b32 v[6:7], v2 offset0:2 offset1:3
	s_waitcnt lgkmcnt(1)
	v_cmp_nlg_f32_e32 vcc, s2, v4
	v_cndmask_b32_e64 v8, 0, 1, vcc
	v_cmp_lg_f32_e32 vcc, s2, v4
	v_cndmask_b32_e32 v4, v3, v4, vcc
	v_readfirstlane_b32 s3, v8
	v_cmp_gt_f32_e32 vcc, v5, v4
	s_lshl_b32 s3, s3, 2
	v_cndmask_b32_e32 v4, v4, v5, vcc
	s_and_b64 s[16:17], vcc, exec
	s_waitcnt lgkmcnt(0)
	v_cmp_gt_f32_e32 vcc, v6, v4
	v_cndmask_b32_e32 v4, v4, v6, vcc
	s_cselect_b32 s3, 1, s3
	s_and_b64 s[16:17], vcc, exec
	v_cmp_ngt_f32_e32 vcc, v7, v4
	s_cselect_b32 s3, 2, s3
	s_and_b64 s[16:17], vcc, exec
	s_cselect_b32 s3, s3, 3
	s_lshl_b32 s3, s3, 2
	s_add_i32 s3, s22, s3
	s_add_i32 s10, s10, -1
	v_mov_b32_e32 v4, s3
	s_cmp_lg_u32 s10, 0
	ds_write_b32 v4, v3
	s_cbranch_scc1 .LBB131_12
.LBB131_13:
	v_lshlrev_b32_e32 v4, 1, v0
	s_and_saveexec_b64 s[2:3], s[0:1]
	s_cbranch_execz .LBB131_18
; %bb.14:
	s_abs_i32 s8, s11
	v_cvt_f32_u32_e32 v2, s8
	s_load_dword s16, s[4:5], 0x4c
	s_sub_i32 s17, 0, s8
	s_ashr_i32 s18, s11, 31
	v_rcp_iflag_f32_e32 v2, v2
	v_lshlrev_b32_e32 v5, 1, v0
	s_waitcnt lgkmcnt(0)
	s_and_b32 s19, s16, 0xffff
	v_lshl_add_u32 v6, v0, 3, 0
	v_mul_f32_e32 v2, 0x4f7ffffe, v2
	v_cvt_u32_f32_e32 v2, v2
	s_mov_b64 s[10:11], 0
	s_lshl_b32 s20, s19, 1
	s_lshl_b32 s21, s19, 3
	v_mul_lo_u32 v3, s17, v2
	v_mul_hi_u32 v3, v2, v3
	v_add_u32_e32 v7, v2, v3
	s_mov_b32 s23, 0xff800000
	v_mov_b32_e32 v2, 0xff800000
	v_mov_b32_e32 v8, v0
	s_branch .LBB131_16
.LBB131_15:                             ;   in Loop: Header=BB131_16 Depth=1
	s_or_b64 exec, exec, s[16:17]
	v_add_u32_e32 v8, s19, v8
	v_cmp_le_i32_e32 vcc, s7, v8
	v_add_u32_e32 v5, s20, v5
	s_or_b64 s[10:11], vcc, s[10:11]
	v_add_u32_e32 v6, s21, v6
	s_andn2_b64 exec, exec, s[10:11]
	s_cbranch_execz .LBB131_18
.LBB131_16:                             ; =>This Inner Loop Header: Depth=1
	v_mul_hi_u32 v3, v5, v7
	v_mul_lo_u32 v9, v3, s8
	v_sub_u32_e32 v9, v5, v9
	v_add_u32_e32 v10, 1, v3
	v_cmp_le_u32_e32 vcc, s8, v9
	v_cndmask_b32_e32 v3, v3, v10, vcc
	v_subrev_u32_e32 v10, s8, v9
	v_cndmask_b32_e32 v9, v9, v10, vcc
	v_add_u32_e32 v10, 1, v3
	v_cmp_le_u32_e32 vcc, s8, v9
	v_cndmask_b32_e32 v3, v3, v10, vcc
	v_xor_b32_e32 v3, s18, v3
	v_subrev_u32_e32 v3, s18, v3
	v_lshl_add_u32 v3, v3, 2, s22
	ds_read_b32 v3, v3
	s_waitcnt lgkmcnt(0)
	v_cmp_neq_f32_e32 vcc, s23, v3
	s_and_saveexec_b64 s[16:17], vcc
	s_cbranch_execz .LBB131_15
; %bb.17:                               ;   in Loop: Header=BB131_16 Depth=1
	v_mov_b32_e32 v3, v2
	ds_write_b64 v6, v[2:3]
	s_branch .LBB131_15
.LBB131_18:
	s_or_b64 exec, exec, s[2:3]
	s_cmp_lt_i32 s9, 1
	s_waitcnt lgkmcnt(0)
	s_barrier
	s_cbranch_scc1 .LBB131_25
; %bb.19:
	s_add_u32 s2, s4, 64
	s_addc_u32 s3, s5, 0
	s_mov_b32 s8, 0
	v_mov_b32_e32 v3, 0
	v_mov_b32_e32 v6, 0xff800000
                                        ; implicit-def: $vgpr5
                                        ; implicit-def: $vgpr2
	s_branch .LBB131_21
.LBB131_20:                             ;   in Loop: Header=BB131_21 Depth=1
	s_or_b64 exec, exec, s[10:11]
	v_mov_b32_dpp v10, v8 quad_perm:[1,0,3,2] row_mask:0xf bank_mask:0xf
	v_cmp_lt_f32_e32 vcc, v8, v10
	v_cndmask_b32_e32 v8, v8, v10, vcc
	v_mov_b32_dpp v9, v7 quad_perm:[1,0,3,2] row_mask:0xf bank_mask:0xf
	v_cndmask_b32_e32 v7, v7, v9, vcc
	v_mov_b32_dpp v10, v8 quad_perm:[2,3,0,1] row_mask:0xf bank_mask:0xf
	v_cmp_gt_f32_e32 vcc, v10, v8
	v_cndmask_b32_e32 v8, v8, v10, vcc
	v_mov_b32_dpp v9, v7 quad_perm:[2,3,0,1] row_mask:0xf bank_mask:0xf
	v_cndmask_b32_e32 v7, v7, v9, vcc
	v_mov_b32_dpp v10, v8 row_half_mirror row_mask:0xf bank_mask:0xf
	v_cmp_gt_f32_e32 vcc, v10, v8
	v_cndmask_b32_e32 v8, v8, v10, vcc
	v_mov_b32_dpp v9, v7 row_half_mirror row_mask:0xf bank_mask:0xf
	v_cndmask_b32_e32 v7, v7, v9, vcc
	v_mov_b32_dpp v10, v8 row_mirror row_mask:0xf bank_mask:0xf
	v_cmp_gt_f32_e32 vcc, v10, v8
	v_cndmask_b32_e32 v8, v8, v10, vcc
	v_mov_b32_dpp v9, v7 row_mirror row_mask:0xf bank_mask:0xf
	v_cndmask_b32_e32 v7, v7, v9, vcc
	v_mov_b32_dpp v10, v8 row_bcast:15 row_mask:0xf bank_mask:0xf
	v_cmp_gt_f32_e32 vcc, v10, v8
	v_mov_b32_dpp v9, v7 row_bcast:15 row_mask:0xf bank_mask:0xf
	v_cndmask_b32_e32 v8, v8, v10, vcc
	v_cndmask_b32_e32 v7, v7, v9, vcc
	s_nop 0
	v_mov_b32_dpp v10, v8 row_bcast:31 row_mask:0xf bank_mask:0xf
	v_mov_b32_dpp v9, v7 row_bcast:31 row_mask:0xf bank_mask:0xf
	v_cmp_gt_f32_e32 vcc, v10, v8
	v_cndmask_b32_e32 v7, v7, v9, vcc
	v_readlane_b32 s11, v7, 63
	s_lshl_b32 s16, s11, 2
	s_add_i32 s16, s16, 0
	v_cndmask_b32_e32 v8, v8, v10, vcc
	v_mov_b32_e32 v7, s16
	v_readlane_b32 s10, v8, 63
	ds_write_b32 v7, v6
	v_mov_b32_e32 v7, s11
	v_cmp_eq_u32_e32 vcc, s8, v0
	v_cndmask_b32_e32 v2, v2, v7, vcc
	v_mov_b32_e32 v7, s10
	s_add_i32 s8, s8, 1
	v_cndmask_b32_e32 v5, v5, v7, vcc
	s_cmp_eq_u32 s8, s9
	v_add_f32_e32 v3, s10, v3
	s_cbranch_scc1 .LBB131_26
.LBB131_21:                             ; =>This Loop Header: Depth=1
                                        ;     Child Loop BB131_23 Depth 2
	v_mov_b32_e32 v7, s8
	v_mov_b32_e32 v8, 0xff800000
	s_and_saveexec_b64 s[10:11], s[0:1]
	s_cbranch_execz .LBB131_20
; %bb.22:                               ;   in Loop: Header=BB131_21 Depth=1
	s_load_dword s18, s[2:3], 0xc
	s_mov_b64 s[16:17], 0
	v_mov_b32_e32 v7, s8
	v_mov_b32_e32 v8, 0xff800000
	;; [unrolled: 1-line block ×3, first 2 shown]
	s_waitcnt lgkmcnt(0)
	s_and_b32 s18, s18, 0xffff
	s_lshl_b32 s19, s18, 1
	s_lshl_b32 s20, s18, 3
	v_mov_b32_e32 v10, v4
	v_mov_b32_e32 v11, v0
.LBB131_23:                             ;   Parent Loop BB131_21 Depth=1
                                        ; =>  This Inner Loop Header: Depth=2
	ds_read_b64 v[12:13], v9
	v_add_u32_e32 v11, s18, v11
	v_cmp_le_i32_e32 vcc, s7, v11
	s_or_b64 s[16:17], vcc, s[16:17]
	v_add_u32_e32 v14, 1, v10
	s_waitcnt lgkmcnt(0)
	v_cmp_gt_f32_e32 vcc, v12, v8
	v_cndmask_b32_e32 v8, v8, v12, vcc
	v_cndmask_b32_e32 v7, v7, v10, vcc
	v_cmp_gt_f32_e32 vcc, v13, v8
	v_add_u32_e32 v9, s20, v9
	v_cndmask_b32_e32 v8, v8, v13, vcc
	v_add_u32_e32 v10, s19, v10
	v_cndmask_b32_e32 v7, v7, v14, vcc
	s_andn2_b64 exec, exec, s[16:17]
	s_cbranch_execnz .LBB131_23
; %bb.24:                               ;   in Loop: Header=BB131_21 Depth=1
	s_or_b64 exec, exec, s[16:17]
	s_branch .LBB131_20
.LBB131_25:
	v_mov_b32_e32 v3, 0
                                        ; implicit-def: $vgpr5
                                        ; implicit-def: $vgpr2
.LBB131_26:
	v_cmp_gt_i32_e32 vcc, s9, v0
	s_and_saveexec_b64 s[0:1], vcc
	s_cbranch_execz .LBB131_29
; %bb.27:
	s_load_dword s7, s[4:5], 0x38
	s_load_dwordx2 s[0:1], s[4:5], 0x20
	s_load_dword s8, s[4:5], 0x4c
	s_waitcnt lgkmcnt(0)
	v_div_scale_f32 v1, s[2:3], v3, v3, s7
	v_rcp_f32_e32 v4, v1
	v_div_scale_f32 v6, vcc, s7, v3, s7
	s_ashr_i32 s2, s6, 31
	v_fma_f32 v7, -v1, v4, 1.0
	v_fmac_f32_e32 v4, v7, v4
	v_mul_f32_e32 v7, v6, v4
	v_fma_f32 v8, -v1, v7, v6
	v_fmac_f32_e32 v7, v8, v4
	v_fma_f32 v1, -v1, v7, v6
	s_mul_i32 s1, s6, s1
	s_mul_hi_u32 s3, s6, s0
	v_div_fmas_f32 v1, v1, v4, v7
	s_add_i32 s1, s3, s1
	s_mul_i32 s2, s2, s0
	v_div_fixup_f32 v1, v1, v3, s7
	s_add_i32 s4, s1, s2
	v_mul_f32_e32 v1, v1, v5
	s_mul_i32 s2, s6, s0
	s_and_b32 s3, s8, 0xffff
	s_mov_b64 s[0:1], 0
	v_mov_b32_e32 v3, s4
	v_mov_b32_e32 v4, s13
	;; [unrolled: 1-line block ×3, first 2 shown]
.LBB131_28:                             ; =>This Inner Loop Header: Depth=1
	v_ashrrev_i32_e32 v7, 31, v0
	v_add_co_u32_e32 v6, vcc, s2, v0
	v_addc_co_u32_e32 v7, vcc, v3, v7, vcc
	v_add_u32_e32 v0, s3, v0
	v_cmp_le_i32_e32 vcc, s9, v0
	v_lshlrev_b64 v[6:7], 2, v[6:7]
	s_or_b64 s[0:1], vcc, s[0:1]
	v_add_co_u32_e32 v8, vcc, s12, v6
	v_addc_co_u32_e32 v9, vcc, v4, v7, vcc
	v_add_co_u32_e32 v6, vcc, s14, v6
	v_addc_co_u32_e32 v7, vcc, v5, v7, vcc
	global_store_dword v[8:9], v1, off
	global_store_dword v[6:7], v2, off
	s_andn2_b64 exec, exec, s[0:1]
	s_cbranch_execnz .LBB131_28
.LBB131_29:
	s_endpgm
	.section	.rodata,"a",@progbits
	.p2align	6, 0x0
	.amdhsa_kernel _ZN5aiter19grouped_topk_kernelIN3c104HalfEDv2_fLi4ELb1ELb0ELb0EEEvPT_PKS4_PfPimiiiif
		.amdhsa_group_segment_fixed_size 0
		.amdhsa_private_segment_fixed_size 0
		.amdhsa_kernarg_size 320
		.amdhsa_user_sgpr_count 6
		.amdhsa_user_sgpr_private_segment_buffer 1
		.amdhsa_user_sgpr_dispatch_ptr 0
		.amdhsa_user_sgpr_queue_ptr 0
		.amdhsa_user_sgpr_kernarg_segment_ptr 1
		.amdhsa_user_sgpr_dispatch_id 0
		.amdhsa_user_sgpr_flat_scratch_init 0
		.amdhsa_user_sgpr_kernarg_preload_length 0
		.amdhsa_user_sgpr_kernarg_preload_offset 0
		.amdhsa_user_sgpr_private_segment_size 0
		.amdhsa_uses_dynamic_stack 0
		.amdhsa_system_sgpr_private_segment_wavefront_offset 0
		.amdhsa_system_sgpr_workgroup_id_x 1
		.amdhsa_system_sgpr_workgroup_id_y 0
		.amdhsa_system_sgpr_workgroup_id_z 0
		.amdhsa_system_sgpr_workgroup_info 0
		.amdhsa_system_vgpr_workitem_id 0
		.amdhsa_next_free_vgpr 20
		.amdhsa_next_free_sgpr 27
		.amdhsa_accum_offset 20
		.amdhsa_reserve_vcc 1
		.amdhsa_reserve_flat_scratch 0
		.amdhsa_float_round_mode_32 0
		.amdhsa_float_round_mode_16_64 0
		.amdhsa_float_denorm_mode_32 3
		.amdhsa_float_denorm_mode_16_64 3
		.amdhsa_dx10_clamp 1
		.amdhsa_ieee_mode 1
		.amdhsa_fp16_overflow 0
		.amdhsa_tg_split 0
		.amdhsa_exception_fp_ieee_invalid_op 0
		.amdhsa_exception_fp_denorm_src 0
		.amdhsa_exception_fp_ieee_div_zero 0
		.amdhsa_exception_fp_ieee_overflow 0
		.amdhsa_exception_fp_ieee_underflow 0
		.amdhsa_exception_fp_ieee_inexact 0
		.amdhsa_exception_int_div_zero 0
	.end_amdhsa_kernel
	.section	.text._ZN5aiter19grouped_topk_kernelIN3c104HalfEDv2_fLi4ELb1ELb0ELb0EEEvPT_PKS4_PfPimiiiif,"axG",@progbits,_ZN5aiter19grouped_topk_kernelIN3c104HalfEDv2_fLi4ELb1ELb0ELb0EEEvPT_PKS4_PfPimiiiif,comdat
.Lfunc_end131:
	.size	_ZN5aiter19grouped_topk_kernelIN3c104HalfEDv2_fLi4ELb1ELb0ELb0EEEvPT_PKS4_PfPimiiiif, .Lfunc_end131-_ZN5aiter19grouped_topk_kernelIN3c104HalfEDv2_fLi4ELb1ELb0ELb0EEEvPT_PKS4_PfPimiiiif
                                        ; -- End function
	.section	.AMDGPU.csdata,"",@progbits
; Kernel info:
; codeLenInByte = 1968
; NumSgprs: 31
; NumVgprs: 20
; NumAgprs: 0
; TotalNumVgprs: 20
; ScratchSize: 0
; MemoryBound: 0
; FloatMode: 240
; IeeeMode: 1
; LDSByteSize: 0 bytes/workgroup (compile time only)
; SGPRBlocks: 3
; VGPRBlocks: 2
; NumSGPRsForWavesPerEU: 31
; NumVGPRsForWavesPerEU: 20
; AccumOffset: 20
; Occupancy: 8
; WaveLimiterHint : 0
; COMPUTE_PGM_RSRC2:SCRATCH_EN: 0
; COMPUTE_PGM_RSRC2:USER_SGPR: 6
; COMPUTE_PGM_RSRC2:TRAP_HANDLER: 0
; COMPUTE_PGM_RSRC2:TGID_X_EN: 1
; COMPUTE_PGM_RSRC2:TGID_Y_EN: 0
; COMPUTE_PGM_RSRC2:TGID_Z_EN: 0
; COMPUTE_PGM_RSRC2:TIDIG_COMP_CNT: 0
; COMPUTE_PGM_RSRC3_GFX90A:ACCUM_OFFSET: 4
; COMPUTE_PGM_RSRC3_GFX90A:TG_SPLIT: 0
	.section	.text._ZN5aiter19grouped_topk_kernelIN3c108BFloat16EDv2_fLi4ELb1ELb0ELb0EEEvPT_PKS4_PfPimiiiif,"axG",@progbits,_ZN5aiter19grouped_topk_kernelIN3c108BFloat16EDv2_fLi4ELb1ELb0ELb0EEEvPT_PKS4_PfPimiiiif,comdat
	.protected	_ZN5aiter19grouped_topk_kernelIN3c108BFloat16EDv2_fLi4ELb1ELb0ELb0EEEvPT_PKS4_PfPimiiiif ; -- Begin function _ZN5aiter19grouped_topk_kernelIN3c108BFloat16EDv2_fLi4ELb1ELb0ELb0EEEvPT_PKS4_PfPimiiiif
	.globl	_ZN5aiter19grouped_topk_kernelIN3c108BFloat16EDv2_fLi4ELb1ELb0ELb0EEEvPT_PKS4_PfPimiiiif
	.p2align	8
	.type	_ZN5aiter19grouped_topk_kernelIN3c108BFloat16EDv2_fLi4ELb1ELb0ELb0EEEvPT_PKS4_PfPimiiiif,@function
_ZN5aiter19grouped_topk_kernelIN3c108BFloat16EDv2_fLi4ELb1ELb0ELb0EEEvPT_PKS4_PfPimiiiif: ; @_ZN5aiter19grouped_topk_kernelIN3c108BFloat16EDv2_fLi4ELb1ELb0ELb0EEEvPT_PKS4_PfPimiiiif
; %bb.0:
	s_load_dwordx4 s[8:11], s[4:5], 0x28
	s_load_dwordx4 s[12:15], s[4:5], 0x10
	v_lshl_add_u32 v1, v0, 3, 0
	s_waitcnt lgkmcnt(0)
	s_lshr_b32 s0, s8, 31
	s_add_i32 s0, s8, s0
	s_ashr_i32 s7, s0, 1
	v_cmp_gt_i32_e64 s[0:1], s7, v0
	s_and_saveexec_b64 s[16:17], s[0:1]
	s_cbranch_execz .LBB132_3
; %bb.1:
	s_load_dword s11, s[4:5], 0x4c
	s_load_dwordx2 s[2:3], s[4:5], 0x0
	s_mul_i32 s18, s6, s8
	s_ashr_i32 s19, s18, 31
	s_lshl_b64 s[18:19], s[18:19], 1
	s_waitcnt lgkmcnt(0)
	s_and_b32 s11, s11, 0xffff
	s_add_u32 s2, s2, s18
	v_lshlrev_b32_e32 v2, 2, v0
	s_addc_u32 s3, s3, s19
	s_mov_b32 s25, 0
	v_mov_b32_e32 v3, s3
	v_add_co_u32_e32 v2, vcc, s2, v2
	v_addc_co_u32_e32 v3, vcc, 0, v3, vcc
	s_lshl_b32 s20, s11, 2
	v_lshl_add_u32 v4, v0, 3, 0
	s_lshl_b32 s21, s11, 3
	s_mov_b64 s[18:19], 0
	s_mov_b32 s22, 0xbfb8aa3b
	s_mov_b32 s23, 0x42ce8ed0
	;; [unrolled: 1-line block ×3, first 2 shown]
	v_mov_b32_e32 v5, 0x7f800000
	v_mov_b32_e32 v6, s25
	;; [unrolled: 1-line block ×3, first 2 shown]
.LBB132_2:                              ; =>This Inner Loop Header: Depth=1
	global_load_dword v8, v[2:3], off
	v_add_co_u32_e32 v2, vcc, s20, v2
	v_add_u32_e32 v7, s11, v7
	v_addc_co_u32_e32 v3, vcc, v3, v6, vcc
	v_cmp_le_i32_e32 vcc, s7, v7
	s_or_b64 s[18:19], vcc, s[18:19]
	s_waitcnt vmcnt(0)
	v_cvt_f32_u32_sdwa v9, v8 dst_sel:DWORD dst_unused:UNUSED_PAD src0_sel:WORD_1
	v_cvt_f32_u32_sdwa v8, v8 dst_sel:DWORD dst_unused:UNUSED_PAD src0_sel:WORD_0
	v_mul_f32_e32 v10, 0xbfb8aa3b, v9
	v_mul_f32_e32 v11, 0xbfb8aa3b, v8
	v_fma_f32 v12, v9, s22, -v10
	v_rndne_f32_e32 v13, v10
	v_fma_f32 v14, v8, s22, -v11
	v_rndne_f32_e32 v15, v11
	v_fmac_f32_e32 v12, 0xb2a5705f, v9
	v_sub_f32_e32 v10, v10, v13
	v_fmac_f32_e32 v14, 0xb2a5705f, v8
	v_sub_f32_e32 v11, v11, v15
	v_add_f32_e32 v10, v10, v12
	v_add_f32_e32 v11, v11, v14
	v_cvt_i32_f32_e32 v13, v13
	v_cvt_i32_f32_e32 v15, v15
	v_exp_f32_e32 v10, v10
	v_exp_f32_e32 v11, v11
	v_cmp_nlt_f32_e32 vcc, s23, v8
	v_cmp_nlt_f32_e64 s[2:3], s23, v9
	v_ldexp_f32 v10, v10, v13
	v_ldexp_f32 v11, v11, v15
	v_cndmask_b32_e64 v10, 0, v10, s[2:3]
	v_cndmask_b32_e32 v11, 0, v11, vcc
	v_cmp_ngt_f32_e32 vcc, s24, v8
	v_cmp_ngt_f32_e64 s[2:3], s24, v9
	v_cndmask_b32_e64 v9, v5, v10, s[2:3]
	v_cndmask_b32_e32 v8, v5, v11, vcc
	v_pk_add_f32 v[8:9], v[8:9], 1.0 op_sel_hi:[1,0]
	v_div_scale_f32 v10, s[2:3], v9, v9, 1.0
	v_div_scale_f32 v12, s[2:3], v8, v8, 1.0
	v_rcp_f32_e32 v14, v10
	v_rcp_f32_e32 v15, v12
	v_div_scale_f32 v11, vcc, 1.0, v9, 1.0
	v_fma_f32 v16, -v10, v14, 1.0
	v_fma_f32 v17, -v12, v15, 1.0
	v_fmac_f32_e32 v14, v16, v14
	v_div_scale_f32 v13, s[2:3], 1.0, v8, 1.0
	v_fmac_f32_e32 v15, v17, v15
	v_mul_f32_e32 v16, v11, v14
	v_mul_f32_e32 v17, v13, v15
	v_fma_f32 v18, -v10, v16, v11
	v_fma_f32 v19, -v12, v17, v13
	v_fmac_f32_e32 v16, v18, v14
	v_fmac_f32_e32 v17, v19, v15
	v_fma_f32 v10, -v10, v16, v11
	v_fma_f32 v11, -v12, v17, v13
	v_div_fmas_f32 v10, v10, v14, v16
	s_mov_b64 vcc, s[2:3]
	v_div_fixup_f32 v9, v10, v9, 1.0
	v_div_fmas_f32 v10, v11, v15, v17
	v_div_fixup_f32 v8, v10, v8, 1.0
	ds_write_b64 v4, v[8:9]
	v_add_u32_e32 v4, s21, v4
	s_andn2_b64 exec, exec, s[18:19]
	s_cbranch_execnz .LBB132_2
.LBB132_3:
	s_or_b64 exec, exec, s[16:17]
	s_ashr_i32 s2, s8, 31
	s_lshr_b32 s2, s2, 30
	s_add_i32 s2, s8, s2
	s_ashr_i32 s11, s2, 2
	s_lshl_b32 s2, s8, 2
	s_add_i32 s22, s2, 0
	v_cmp_gt_u32_e32 vcc, 4, v0
	s_waitcnt lgkmcnt(0)
	s_barrier
	s_and_saveexec_b64 s[16:17], vcc
	s_cbranch_execz .LBB132_10
; %bb.4:
	s_load_dword s2, s[4:5], 0x4c
	v_mul_lo_u32 v2, v0, s11
	v_lshl_add_u32 v2, v2, 2, 0
	s_mov_b64 s[18:19], 0
	s_waitcnt lgkmcnt(0)
	s_and_b32 s23, s2, 0xffff
	s_cmp_gt_i32 s8, 3
	s_cselect_b64 s[2:3], -1, 0
	s_mul_i32 s8, s11, s23
	v_cndmask_b32_e64 v3, 0, 1, s[2:3]
	s_lshl_b32 s8, s8, 2
	v_cmp_ne_u32_e64 s[2:3], 1, v3
	v_mov_b32_e32 v3, v0
	s_branch .LBB132_6
.LBB132_5:                              ;   in Loop: Header=BB132_6 Depth=1
	v_lshl_add_u32 v5, v3, 2, s22
	v_add_u32_e32 v3, s23, v3
	v_cmp_lt_u32_e32 vcc, 3, v3
	s_or_b64 s[18:19], vcc, s[18:19]
	v_add_u32_e32 v2, s8, v2
	ds_write_b32 v5, v4
	s_andn2_b64 exec, exec, s[18:19]
	s_cbranch_execz .LBB132_10
.LBB132_6:                              ; =>This Loop Header: Depth=1
                                        ;     Child Loop BB132_8 Depth 2
	s_and_b64 vcc, exec, s[2:3]
	v_mov_b32_e32 v4, 0xff800000
	s_cbranch_vccnz .LBB132_5
; %bb.7:                                ;   in Loop: Header=BB132_6 Depth=1
	v_mul_lo_u32 v5, v3, s11
	v_add_u32_e32 v6, s11, v5
	s_mov_b64 s[20:21], 0
	v_mov_b32_e32 v4, 0xff800000
	v_mov_b32_e32 v7, v2
.LBB132_8:                              ;   Parent Loop BB132_6 Depth=1
                                        ; =>  This Inner Loop Header: Depth=2
	ds_read_b32 v8, v7
	v_add_u32_e32 v5, 1, v5
	v_cmp_ge_i32_e32 vcc, v5, v6
	s_or_b64 s[20:21], vcc, s[20:21]
	v_add_u32_e32 v7, 4, v7
	s_waitcnt lgkmcnt(0)
	v_cmp_gt_f32_e32 vcc, v8, v4
	v_cndmask_b32_e32 v4, v4, v8, vcc
	s_andn2_b64 exec, exec, s[20:21]
	s_cbranch_execnz .LBB132_8
; %bb.9:                                ;   in Loop: Header=BB132_6 Depth=1
	s_or_b64 exec, exec, s[20:21]
	s_branch .LBB132_5
.LBB132_10:
	s_or_b64 exec, exec, s[16:17]
	s_cmp_lt_i32 s10, 1
	s_waitcnt lgkmcnt(0)
	s_barrier
	s_cbranch_scc1 .LBB132_13
; %bb.11:
	v_mov_b32_e32 v2, s22
	s_mov_b32 s2, 0xff800000
	v_mov_b32_e32 v3, 0xff800000
.LBB132_12:                             ; =>This Inner Loop Header: Depth=1
	ds_read2_b32 v[4:5], v2 offset1:1
	ds_read2_b32 v[6:7], v2 offset0:2 offset1:3
	s_waitcnt lgkmcnt(1)
	v_cmp_nlg_f32_e32 vcc, s2, v4
	v_cndmask_b32_e64 v8, 0, 1, vcc
	v_cmp_lg_f32_e32 vcc, s2, v4
	v_cndmask_b32_e32 v4, v3, v4, vcc
	v_readfirstlane_b32 s3, v8
	v_cmp_gt_f32_e32 vcc, v5, v4
	s_lshl_b32 s3, s3, 2
	v_cndmask_b32_e32 v4, v4, v5, vcc
	s_and_b64 s[16:17], vcc, exec
	s_waitcnt lgkmcnt(0)
	v_cmp_gt_f32_e32 vcc, v6, v4
	v_cndmask_b32_e32 v4, v4, v6, vcc
	s_cselect_b32 s3, 1, s3
	s_and_b64 s[16:17], vcc, exec
	v_cmp_ngt_f32_e32 vcc, v7, v4
	s_cselect_b32 s3, 2, s3
	s_and_b64 s[16:17], vcc, exec
	s_cselect_b32 s3, s3, 3
	s_lshl_b32 s3, s3, 2
	s_add_i32 s3, s22, s3
	s_add_i32 s10, s10, -1
	v_mov_b32_e32 v4, s3
	s_cmp_lg_u32 s10, 0
	ds_write_b32 v4, v3
	s_cbranch_scc1 .LBB132_12
.LBB132_13:
	v_lshlrev_b32_e32 v4, 1, v0
	s_and_saveexec_b64 s[2:3], s[0:1]
	s_cbranch_execz .LBB132_18
; %bb.14:
	s_abs_i32 s8, s11
	v_cvt_f32_u32_e32 v2, s8
	s_load_dword s16, s[4:5], 0x4c
	s_sub_i32 s17, 0, s8
	s_ashr_i32 s18, s11, 31
	v_rcp_iflag_f32_e32 v2, v2
	v_lshlrev_b32_e32 v5, 1, v0
	s_waitcnt lgkmcnt(0)
	s_and_b32 s19, s16, 0xffff
	v_lshl_add_u32 v6, v0, 3, 0
	v_mul_f32_e32 v2, 0x4f7ffffe, v2
	v_cvt_u32_f32_e32 v2, v2
	s_mov_b64 s[10:11], 0
	s_lshl_b32 s20, s19, 1
	s_lshl_b32 s21, s19, 3
	v_mul_lo_u32 v3, s17, v2
	v_mul_hi_u32 v3, v2, v3
	v_add_u32_e32 v7, v2, v3
	s_mov_b32 s23, 0xff800000
	v_mov_b32_e32 v2, 0xff800000
	v_mov_b32_e32 v8, v0
	s_branch .LBB132_16
.LBB132_15:                             ;   in Loop: Header=BB132_16 Depth=1
	s_or_b64 exec, exec, s[16:17]
	v_add_u32_e32 v8, s19, v8
	v_cmp_le_i32_e32 vcc, s7, v8
	v_add_u32_e32 v5, s20, v5
	s_or_b64 s[10:11], vcc, s[10:11]
	v_add_u32_e32 v6, s21, v6
	s_andn2_b64 exec, exec, s[10:11]
	s_cbranch_execz .LBB132_18
.LBB132_16:                             ; =>This Inner Loop Header: Depth=1
	v_mul_hi_u32 v3, v5, v7
	v_mul_lo_u32 v9, v3, s8
	v_sub_u32_e32 v9, v5, v9
	v_add_u32_e32 v10, 1, v3
	v_cmp_le_u32_e32 vcc, s8, v9
	v_cndmask_b32_e32 v3, v3, v10, vcc
	v_subrev_u32_e32 v10, s8, v9
	v_cndmask_b32_e32 v9, v9, v10, vcc
	v_add_u32_e32 v10, 1, v3
	v_cmp_le_u32_e32 vcc, s8, v9
	v_cndmask_b32_e32 v3, v3, v10, vcc
	v_xor_b32_e32 v3, s18, v3
	v_subrev_u32_e32 v3, s18, v3
	v_lshl_add_u32 v3, v3, 2, s22
	ds_read_b32 v3, v3
	s_waitcnt lgkmcnt(0)
	v_cmp_neq_f32_e32 vcc, s23, v3
	s_and_saveexec_b64 s[16:17], vcc
	s_cbranch_execz .LBB132_15
; %bb.17:                               ;   in Loop: Header=BB132_16 Depth=1
	v_mov_b32_e32 v3, v2
	ds_write_b64 v6, v[2:3]
	s_branch .LBB132_15
.LBB132_18:
	s_or_b64 exec, exec, s[2:3]
	s_cmp_lt_i32 s9, 1
	s_waitcnt lgkmcnt(0)
	s_barrier
	s_cbranch_scc1 .LBB132_25
; %bb.19:
	s_add_u32 s2, s4, 64
	s_addc_u32 s3, s5, 0
	s_mov_b32 s8, 0
	v_mov_b32_e32 v3, 0
	v_mov_b32_e32 v6, 0xff800000
                                        ; implicit-def: $vgpr5
                                        ; implicit-def: $vgpr2
	s_branch .LBB132_21
.LBB132_20:                             ;   in Loop: Header=BB132_21 Depth=1
	s_or_b64 exec, exec, s[10:11]
	v_mov_b32_dpp v10, v8 quad_perm:[1,0,3,2] row_mask:0xf bank_mask:0xf
	v_cmp_lt_f32_e32 vcc, v8, v10
	v_cndmask_b32_e32 v8, v8, v10, vcc
	v_mov_b32_dpp v9, v7 quad_perm:[1,0,3,2] row_mask:0xf bank_mask:0xf
	v_cndmask_b32_e32 v7, v7, v9, vcc
	v_mov_b32_dpp v10, v8 quad_perm:[2,3,0,1] row_mask:0xf bank_mask:0xf
	v_cmp_gt_f32_e32 vcc, v10, v8
	v_cndmask_b32_e32 v8, v8, v10, vcc
	v_mov_b32_dpp v9, v7 quad_perm:[2,3,0,1] row_mask:0xf bank_mask:0xf
	v_cndmask_b32_e32 v7, v7, v9, vcc
	v_mov_b32_dpp v10, v8 row_half_mirror row_mask:0xf bank_mask:0xf
	v_cmp_gt_f32_e32 vcc, v10, v8
	v_cndmask_b32_e32 v8, v8, v10, vcc
	v_mov_b32_dpp v9, v7 row_half_mirror row_mask:0xf bank_mask:0xf
	v_cndmask_b32_e32 v7, v7, v9, vcc
	v_mov_b32_dpp v10, v8 row_mirror row_mask:0xf bank_mask:0xf
	v_cmp_gt_f32_e32 vcc, v10, v8
	v_cndmask_b32_e32 v8, v8, v10, vcc
	v_mov_b32_dpp v9, v7 row_mirror row_mask:0xf bank_mask:0xf
	v_cndmask_b32_e32 v7, v7, v9, vcc
	v_mov_b32_dpp v10, v8 row_bcast:15 row_mask:0xf bank_mask:0xf
	v_cmp_gt_f32_e32 vcc, v10, v8
	v_mov_b32_dpp v9, v7 row_bcast:15 row_mask:0xf bank_mask:0xf
	v_cndmask_b32_e32 v8, v8, v10, vcc
	v_cndmask_b32_e32 v7, v7, v9, vcc
	s_nop 0
	v_mov_b32_dpp v10, v8 row_bcast:31 row_mask:0xf bank_mask:0xf
	v_mov_b32_dpp v9, v7 row_bcast:31 row_mask:0xf bank_mask:0xf
	v_cmp_gt_f32_e32 vcc, v10, v8
	v_cndmask_b32_e32 v7, v7, v9, vcc
	v_readlane_b32 s11, v7, 63
	s_lshl_b32 s16, s11, 2
	s_add_i32 s16, s16, 0
	v_cndmask_b32_e32 v8, v8, v10, vcc
	v_mov_b32_e32 v7, s16
	v_readlane_b32 s10, v8, 63
	ds_write_b32 v7, v6
	v_mov_b32_e32 v7, s11
	v_cmp_eq_u32_e32 vcc, s8, v0
	v_cndmask_b32_e32 v2, v2, v7, vcc
	v_mov_b32_e32 v7, s10
	s_add_i32 s8, s8, 1
	v_cndmask_b32_e32 v5, v5, v7, vcc
	s_cmp_eq_u32 s8, s9
	v_add_f32_e32 v3, s10, v3
	s_cbranch_scc1 .LBB132_26
.LBB132_21:                             ; =>This Loop Header: Depth=1
                                        ;     Child Loop BB132_23 Depth 2
	v_mov_b32_e32 v7, s8
	v_mov_b32_e32 v8, 0xff800000
	s_and_saveexec_b64 s[10:11], s[0:1]
	s_cbranch_execz .LBB132_20
; %bb.22:                               ;   in Loop: Header=BB132_21 Depth=1
	s_load_dword s18, s[2:3], 0xc
	s_mov_b64 s[16:17], 0
	v_mov_b32_e32 v7, s8
	v_mov_b32_e32 v8, 0xff800000
	;; [unrolled: 1-line block ×3, first 2 shown]
	s_waitcnt lgkmcnt(0)
	s_and_b32 s18, s18, 0xffff
	s_lshl_b32 s19, s18, 1
	s_lshl_b32 s20, s18, 3
	v_mov_b32_e32 v10, v4
	v_mov_b32_e32 v11, v0
.LBB132_23:                             ;   Parent Loop BB132_21 Depth=1
                                        ; =>  This Inner Loop Header: Depth=2
	ds_read_b64 v[12:13], v9
	v_add_u32_e32 v11, s18, v11
	v_cmp_le_i32_e32 vcc, s7, v11
	s_or_b64 s[16:17], vcc, s[16:17]
	v_add_u32_e32 v14, 1, v10
	s_waitcnt lgkmcnt(0)
	v_cmp_gt_f32_e32 vcc, v12, v8
	v_cndmask_b32_e32 v8, v8, v12, vcc
	v_cndmask_b32_e32 v7, v7, v10, vcc
	v_cmp_gt_f32_e32 vcc, v13, v8
	v_add_u32_e32 v9, s20, v9
	v_cndmask_b32_e32 v8, v8, v13, vcc
	v_add_u32_e32 v10, s19, v10
	v_cndmask_b32_e32 v7, v7, v14, vcc
	s_andn2_b64 exec, exec, s[16:17]
	s_cbranch_execnz .LBB132_23
; %bb.24:                               ;   in Loop: Header=BB132_21 Depth=1
	s_or_b64 exec, exec, s[16:17]
	s_branch .LBB132_20
.LBB132_25:
	v_mov_b32_e32 v3, 0
                                        ; implicit-def: $vgpr5
                                        ; implicit-def: $vgpr2
.LBB132_26:
	v_cmp_gt_i32_e32 vcc, s9, v0
	s_and_saveexec_b64 s[0:1], vcc
	s_cbranch_execz .LBB132_29
; %bb.27:
	s_load_dword s7, s[4:5], 0x38
	s_load_dwordx2 s[0:1], s[4:5], 0x20
	s_load_dword s8, s[4:5], 0x4c
	s_waitcnt lgkmcnt(0)
	v_div_scale_f32 v1, s[2:3], v3, v3, s7
	v_rcp_f32_e32 v4, v1
	v_div_scale_f32 v6, vcc, s7, v3, s7
	s_ashr_i32 s2, s6, 31
	v_fma_f32 v7, -v1, v4, 1.0
	v_fmac_f32_e32 v4, v7, v4
	v_mul_f32_e32 v7, v6, v4
	v_fma_f32 v8, -v1, v7, v6
	v_fmac_f32_e32 v7, v8, v4
	v_fma_f32 v1, -v1, v7, v6
	s_mul_i32 s1, s6, s1
	s_mul_hi_u32 s3, s6, s0
	v_div_fmas_f32 v1, v1, v4, v7
	s_add_i32 s1, s3, s1
	s_mul_i32 s2, s2, s0
	v_div_fixup_f32 v1, v1, v3, s7
	s_add_i32 s4, s1, s2
	v_mul_f32_e32 v1, v1, v5
	s_mul_i32 s2, s6, s0
	s_and_b32 s3, s8, 0xffff
	s_mov_b64 s[0:1], 0
	v_mov_b32_e32 v3, s4
	v_mov_b32_e32 v4, s13
	;; [unrolled: 1-line block ×3, first 2 shown]
.LBB132_28:                             ; =>This Inner Loop Header: Depth=1
	v_ashrrev_i32_e32 v7, 31, v0
	v_add_co_u32_e32 v6, vcc, s2, v0
	v_addc_co_u32_e32 v7, vcc, v3, v7, vcc
	v_add_u32_e32 v0, s3, v0
	v_cmp_le_i32_e32 vcc, s9, v0
	v_lshlrev_b64 v[6:7], 2, v[6:7]
	s_or_b64 s[0:1], vcc, s[0:1]
	v_add_co_u32_e32 v8, vcc, s12, v6
	v_addc_co_u32_e32 v9, vcc, v4, v7, vcc
	v_add_co_u32_e32 v6, vcc, s14, v6
	v_addc_co_u32_e32 v7, vcc, v5, v7, vcc
	global_store_dword v[8:9], v1, off
	global_store_dword v[6:7], v2, off
	s_andn2_b64 exec, exec, s[0:1]
	s_cbranch_execnz .LBB132_28
.LBB132_29:
	s_endpgm
	.section	.rodata,"a",@progbits
	.p2align	6, 0x0
	.amdhsa_kernel _ZN5aiter19grouped_topk_kernelIN3c108BFloat16EDv2_fLi4ELb1ELb0ELb0EEEvPT_PKS4_PfPimiiiif
		.amdhsa_group_segment_fixed_size 0
		.amdhsa_private_segment_fixed_size 0
		.amdhsa_kernarg_size 320
		.amdhsa_user_sgpr_count 6
		.amdhsa_user_sgpr_private_segment_buffer 1
		.amdhsa_user_sgpr_dispatch_ptr 0
		.amdhsa_user_sgpr_queue_ptr 0
		.amdhsa_user_sgpr_kernarg_segment_ptr 1
		.amdhsa_user_sgpr_dispatch_id 0
		.amdhsa_user_sgpr_flat_scratch_init 0
		.amdhsa_user_sgpr_kernarg_preload_length 0
		.amdhsa_user_sgpr_kernarg_preload_offset 0
		.amdhsa_user_sgpr_private_segment_size 0
		.amdhsa_uses_dynamic_stack 0
		.amdhsa_system_sgpr_private_segment_wavefront_offset 0
		.amdhsa_system_sgpr_workgroup_id_x 1
		.amdhsa_system_sgpr_workgroup_id_y 0
		.amdhsa_system_sgpr_workgroup_id_z 0
		.amdhsa_system_sgpr_workgroup_info 0
		.amdhsa_system_vgpr_workitem_id 0
		.amdhsa_next_free_vgpr 20
		.amdhsa_next_free_sgpr 26
		.amdhsa_accum_offset 20
		.amdhsa_reserve_vcc 1
		.amdhsa_reserve_flat_scratch 0
		.amdhsa_float_round_mode_32 0
		.amdhsa_float_round_mode_16_64 0
		.amdhsa_float_denorm_mode_32 3
		.amdhsa_float_denorm_mode_16_64 3
		.amdhsa_dx10_clamp 1
		.amdhsa_ieee_mode 1
		.amdhsa_fp16_overflow 0
		.amdhsa_tg_split 0
		.amdhsa_exception_fp_ieee_invalid_op 0
		.amdhsa_exception_fp_denorm_src 0
		.amdhsa_exception_fp_ieee_div_zero 0
		.amdhsa_exception_fp_ieee_overflow 0
		.amdhsa_exception_fp_ieee_underflow 0
		.amdhsa_exception_fp_ieee_inexact 0
		.amdhsa_exception_int_div_zero 0
	.end_amdhsa_kernel
	.section	.text._ZN5aiter19grouped_topk_kernelIN3c108BFloat16EDv2_fLi4ELb1ELb0ELb0EEEvPT_PKS4_PfPimiiiif,"axG",@progbits,_ZN5aiter19grouped_topk_kernelIN3c108BFloat16EDv2_fLi4ELb1ELb0ELb0EEEvPT_PKS4_PfPimiiiif,comdat
.Lfunc_end132:
	.size	_ZN5aiter19grouped_topk_kernelIN3c108BFloat16EDv2_fLi4ELb1ELb0ELb0EEEvPT_PKS4_PfPimiiiif, .Lfunc_end132-_ZN5aiter19grouped_topk_kernelIN3c108BFloat16EDv2_fLi4ELb1ELb0ELb0EEEvPT_PKS4_PfPimiiiif
                                        ; -- End function
	.section	.AMDGPU.csdata,"",@progbits
; Kernel info:
; codeLenInByte = 1960
; NumSgprs: 30
; NumVgprs: 20
; NumAgprs: 0
; TotalNumVgprs: 20
; ScratchSize: 0
; MemoryBound: 0
; FloatMode: 240
; IeeeMode: 1
; LDSByteSize: 0 bytes/workgroup (compile time only)
; SGPRBlocks: 3
; VGPRBlocks: 2
; NumSGPRsForWavesPerEU: 30
; NumVGPRsForWavesPerEU: 20
; AccumOffset: 20
; Occupancy: 8
; WaveLimiterHint : 0
; COMPUTE_PGM_RSRC2:SCRATCH_EN: 0
; COMPUTE_PGM_RSRC2:USER_SGPR: 6
; COMPUTE_PGM_RSRC2:TRAP_HANDLER: 0
; COMPUTE_PGM_RSRC2:TGID_X_EN: 1
; COMPUTE_PGM_RSRC2:TGID_Y_EN: 0
; COMPUTE_PGM_RSRC2:TGID_Z_EN: 0
; COMPUTE_PGM_RSRC2:TIDIG_COMP_CNT: 0
; COMPUTE_PGM_RSRC3_GFX90A:ACCUM_OFFSET: 4
; COMPUTE_PGM_RSRC3_GFX90A:TG_SPLIT: 0
	.section	.text._ZN5aiter28grouped_topk_opt_sort_kernelIfDv2_fLi4ELb0ELb1ELb0EEEvPT_PKS2_PfPimiiiif,"axG",@progbits,_ZN5aiter28grouped_topk_opt_sort_kernelIfDv2_fLi4ELb0ELb1ELb0EEEvPT_PKS2_PfPimiiiif,comdat
	.protected	_ZN5aiter28grouped_topk_opt_sort_kernelIfDv2_fLi4ELb0ELb1ELb0EEEvPT_PKS2_PfPimiiiif ; -- Begin function _ZN5aiter28grouped_topk_opt_sort_kernelIfDv2_fLi4ELb0ELb1ELb0EEEvPT_PKS2_PfPimiiiif
	.globl	_ZN5aiter28grouped_topk_opt_sort_kernelIfDv2_fLi4ELb0ELb1ELb0EEEvPT_PKS2_PfPimiiiif
	.p2align	8
	.type	_ZN5aiter28grouped_topk_opt_sort_kernelIfDv2_fLi4ELb0ELb1ELb0EEEvPT_PKS2_PfPimiiiif,@function
_ZN5aiter28grouped_topk_opt_sort_kernelIfDv2_fLi4ELb0ELb1ELb0EEEvPT_PKS2_PfPimiiiif: ; @_ZN5aiter28grouped_topk_opt_sort_kernelIfDv2_fLi4ELb0ELb1ELb0EEEvPT_PKS2_PfPimiiiif
; %bb.0:
	s_load_dword s7, s[4:5], 0x28
	s_load_dwordx4 s[0:3], s[4:5], 0x0
	s_load_dword s8, s[4:5], 0x30
	v_lshlrev_b32_e32 v1, 3, v0
	v_mbcnt_lo_u32_b32 v6, -1, 0
	s_waitcnt lgkmcnt(0)
	s_mul_i32 s4, s6, s7
	s_ashr_i32 s5, s4, 31
	s_lshl_b64 s[4:5], s[4:5], 2
	s_add_u32 s0, s0, s4
	s_addc_u32 s1, s1, s5
	global_load_dwordx2 v[2:3], v1, s[0:1]
	global_load_dwordx2 v[4:5], v1, s[2:3]
	s_mov_b32 s0, 0x652b82fe
	v_mbcnt_hi_u32_b32 v6, -1, v6
	v_lshrrev_b32_e32 v7, 1, v0
	s_mov_b32 s1, 0xbff71547
	v_and_b32_e32 v15, 64, v6
	v_xor_b32_e32 v16, v7, v0
	v_and_b32_e32 v13, 2, v0
	s_mov_b32 s2, 0xc2fc0000
	v_mov_b32_e32 v10, 0xff800000
	v_mov_b32_e32 v11, 0x7f800000
	v_cmp_eq_u32_e32 vcc, 0, v13
	v_mov_b32_e32 v8, 0x42800000
	v_cndmask_b32_e32 v13, v10, v11, vcc
	v_mov_b32_e32 v9, 0x1f800000
	v_and_b32_e32 v14, 1, v0
	s_mov_b32 s3, 0xff800000
	v_lshlrev_b32_e32 v12, 4, v0
	v_add_u32_e32 v1, 0, v1
	s_waitcnt vmcnt(1)
	v_cvt_f64_f32_e32 v[6:7], v2
	v_cvt_f64_f32_e32 v[2:3], v3
	v_mul_f64 v[6:7], v[6:7], s[0:1]
	v_mul_f64 v[2:3], v[2:3], s[0:1]
	v_cvt_f32_f64_e32 v6, v[6:7]
	v_cvt_f32_f64_e32 v2, v[2:3]
	v_cmp_gt_f32_e32 vcc, s2, v6
	v_cmp_gt_f32_e64 s[0:1], s2, v2
	v_cndmask_b32_e32 v3, 0, v8, vcc
	v_cndmask_b32_e64 v7, 0, v8, s[0:1]
	v_add_f32_e32 v3, v6, v3
	v_add_f32_e32 v2, v2, v7
	v_exp_f32_e32 v3, v3
	v_exp_f32_e32 v2, v2
	v_cndmask_b32_e32 v6, 1.0, v9, vcc
	v_cndmask_b32_e64 v7, 1.0, v9, s[0:1]
	v_fma_f32 v3, v3, v6, 1.0
	v_fma_f32 v6, v2, v7, 1.0
	v_rcp_f32_e32 v2, v3
	v_rcp_f32_e32 v3, v6
	v_cmp_eq_u32_e32 vcc, 0, v14
	v_cndmask_b32_e32 v6, v10, v11, vcc
	v_and_or_b32 v7, v12, 48, v15
	s_waitcnt vmcnt(0)
	v_pk_add_f32 v[2:3], v[4:5], v[2:3]
	v_cmp_o_f32_e32 vcc, v3, v3
	v_cndmask_b32_e32 v3, v10, v3, vcc
	v_cmp_o_f32_e32 vcc, v2, v2
	v_cndmask_b32_e32 v2, v10, v2, vcc
	v_med3_f32 v4, v3, v2, s3
	v_max_f32_e32 v5, v3, v2
	v_lshlrev_b32_e32 v7, 2, v7
	v_add_f32_e32 v4, v5, v4
	ds_bpermute_b32 v4, v7, v4
	v_and_b32_e32 v5, 1, v16
	v_cmp_eq_u32_e32 vcc, 0, v5
	v_cndmask_b32_e32 v5, v10, v11, vcc
	v_lshlrev_b32_e32 v7, 2, v15
	s_waitcnt lgkmcnt(0)
	v_mov_b32_dpp v8, v4 quad_perm:[1,0,3,2] row_mask:0xf bank_mask:0xf bound_ctrl:1
	v_med3_f32 v5, v4, v8, v5
	ds_write_b64 v1, v[2:3]
	s_nop 0
	v_mov_b32_dpp v8, v5 quad_perm:[2,3,0,1] row_mask:0xf bank_mask:0xf bound_ctrl:1
	v_med3_f32 v5, v5, v8, v13
	s_nop 1
	v_mov_b32_dpp v8, v5 quad_perm:[1,0,3,2] row_mask:0xf bank_mask:0xf bound_ctrl:1
	v_med3_f32 v5, v5, v8, v6
	ds_bpermute_b32 v5, v7, v5 offset:12
	s_waitcnt lgkmcnt(0)
	v_cmp_gt_f32_e32 vcc, v4, v5
	v_cndmask_b32_e64 v1, 0, 1, vcc
	v_cmp_eq_f32_e64 s[0:1], v4, v5
	v_cndmask_b32_e64 v2, 0, 1, s[0:1]
	v_mov_b32_dpp v1, v1 row_shr:1 row_mask:0xf bank_mask:0xf bound_ctrl:1
	v_addc_co_u32_e64 v3, s[4:5], 0, v1, vcc
	v_mov_b32_dpp v2, v2 row_shr:1 row_mask:0xf bank_mask:0xf bound_ctrl:1
	s_nop 0
	v_mov_b32_dpp v3, v3 row_shr:2 row_mask:0xf bank_mask:0xf bound_ctrl:1
	v_cmp_ge_f32_e64 s[2:3], v4, v5
	v_addc_co_u32_e64 v4, s[4:5], 0, v2, s[0:1]
	v_addc_co_u32_e32 v1, vcc, v3, v1, vcc
	v_readlane_b32 s4, v1, 3
	v_mov_b32_e32 v3, s4
	v_addc_co_u32_e64 v2, vcc, v3, v2, s[0:1]
	s_nop 1
	v_add_u32_dpp v2, v4, v2 row_shr:2 row_mask:0xf bank_mask:0xf bound_ctrl:1
	v_cndmask_b32_e64 v1, v1, v2, s[0:1]
	v_cmp_ge_i32_e32 vcc, s8, v1
	s_and_b64 s[0:1], s[2:3], vcc
	v_cmp_gt_u32_e32 vcc, 4, v0
	s_and_b64 s[2:3], vcc, s[0:1]
	s_and_saveexec_b64 s[0:1], s[2:3]
	s_cbranch_execz .LBB133_2
; %bb.1:
	s_lshl_b32 s2, s7, 2
	s_add_i32 s2, s2, 0
	v_lshl_add_u32 v1, v1, 2, s2
	ds_write_b32 v1, v0 offset:12
.LBB133_2:
	s_or_b64 exec, exec, s[0:1]
	s_waitcnt lgkmcnt(0)
	s_barrier
	s_endpgm
	.section	.rodata,"a",@progbits
	.p2align	6, 0x0
	.amdhsa_kernel _ZN5aiter28grouped_topk_opt_sort_kernelIfDv2_fLi4ELb0ELb1ELb0EEEvPT_PKS2_PfPimiiiif
		.amdhsa_group_segment_fixed_size 0
		.amdhsa_private_segment_fixed_size 0
		.amdhsa_kernarg_size 60
		.amdhsa_user_sgpr_count 6
		.amdhsa_user_sgpr_private_segment_buffer 1
		.amdhsa_user_sgpr_dispatch_ptr 0
		.amdhsa_user_sgpr_queue_ptr 0
		.amdhsa_user_sgpr_kernarg_segment_ptr 1
		.amdhsa_user_sgpr_dispatch_id 0
		.amdhsa_user_sgpr_flat_scratch_init 0
		.amdhsa_user_sgpr_kernarg_preload_length 0
		.amdhsa_user_sgpr_kernarg_preload_offset 0
		.amdhsa_user_sgpr_private_segment_size 0
		.amdhsa_uses_dynamic_stack 0
		.amdhsa_system_sgpr_private_segment_wavefront_offset 0
		.amdhsa_system_sgpr_workgroup_id_x 1
		.amdhsa_system_sgpr_workgroup_id_y 0
		.amdhsa_system_sgpr_workgroup_id_z 0
		.amdhsa_system_sgpr_workgroup_info 0
		.amdhsa_system_vgpr_workitem_id 0
		.amdhsa_next_free_vgpr 17
		.amdhsa_next_free_sgpr 9
		.amdhsa_accum_offset 20
		.amdhsa_reserve_vcc 1
		.amdhsa_reserve_flat_scratch 0
		.amdhsa_float_round_mode_32 0
		.amdhsa_float_round_mode_16_64 0
		.amdhsa_float_denorm_mode_32 3
		.amdhsa_float_denorm_mode_16_64 3
		.amdhsa_dx10_clamp 1
		.amdhsa_ieee_mode 1
		.amdhsa_fp16_overflow 0
		.amdhsa_tg_split 0
		.amdhsa_exception_fp_ieee_invalid_op 0
		.amdhsa_exception_fp_denorm_src 0
		.amdhsa_exception_fp_ieee_div_zero 0
		.amdhsa_exception_fp_ieee_overflow 0
		.amdhsa_exception_fp_ieee_underflow 0
		.amdhsa_exception_fp_ieee_inexact 0
		.amdhsa_exception_int_div_zero 0
	.end_amdhsa_kernel
	.section	.text._ZN5aiter28grouped_topk_opt_sort_kernelIfDv2_fLi4ELb0ELb1ELb0EEEvPT_PKS2_PfPimiiiif,"axG",@progbits,_ZN5aiter28grouped_topk_opt_sort_kernelIfDv2_fLi4ELb0ELb1ELb0EEEvPT_PKS2_PfPimiiiif,comdat
.Lfunc_end133:
	.size	_ZN5aiter28grouped_topk_opt_sort_kernelIfDv2_fLi4ELb0ELb1ELb0EEEvPT_PKS2_PfPimiiiif, .Lfunc_end133-_ZN5aiter28grouped_topk_opt_sort_kernelIfDv2_fLi4ELb0ELb1ELb0EEEvPT_PKS2_PfPimiiiif
                                        ; -- End function
	.section	.AMDGPU.csdata,"",@progbits
; Kernel info:
; codeLenInByte = 652
; NumSgprs: 13
; NumVgprs: 17
; NumAgprs: 0
; TotalNumVgprs: 17
; ScratchSize: 0
; MemoryBound: 0
; FloatMode: 240
; IeeeMode: 1
; LDSByteSize: 0 bytes/workgroup (compile time only)
; SGPRBlocks: 1
; VGPRBlocks: 2
; NumSGPRsForWavesPerEU: 13
; NumVGPRsForWavesPerEU: 17
; AccumOffset: 20
; Occupancy: 8
; WaveLimiterHint : 0
; COMPUTE_PGM_RSRC2:SCRATCH_EN: 0
; COMPUTE_PGM_RSRC2:USER_SGPR: 6
; COMPUTE_PGM_RSRC2:TRAP_HANDLER: 0
; COMPUTE_PGM_RSRC2:TGID_X_EN: 1
; COMPUTE_PGM_RSRC2:TGID_Y_EN: 0
; COMPUTE_PGM_RSRC2:TGID_Z_EN: 0
; COMPUTE_PGM_RSRC2:TIDIG_COMP_CNT: 0
; COMPUTE_PGM_RSRC3_GFX90A:ACCUM_OFFSET: 4
; COMPUTE_PGM_RSRC3_GFX90A:TG_SPLIT: 0
	.section	.text._ZN5aiter28grouped_topk_opt_sort_kernelIN3c104HalfEDv2_fLi4ELb0ELb1ELb0EEEvPT_PKS4_PfPimiiiif,"axG",@progbits,_ZN5aiter28grouped_topk_opt_sort_kernelIN3c104HalfEDv2_fLi4ELb0ELb1ELb0EEEvPT_PKS4_PfPimiiiif,comdat
	.protected	_ZN5aiter28grouped_topk_opt_sort_kernelIN3c104HalfEDv2_fLi4ELb0ELb1ELb0EEEvPT_PKS4_PfPimiiiif ; -- Begin function _ZN5aiter28grouped_topk_opt_sort_kernelIN3c104HalfEDv2_fLi4ELb0ELb1ELb0EEEvPT_PKS4_PfPimiiiif
	.globl	_ZN5aiter28grouped_topk_opt_sort_kernelIN3c104HalfEDv2_fLi4ELb0ELb1ELb0EEEvPT_PKS4_PfPimiiiif
	.p2align	8
	.type	_ZN5aiter28grouped_topk_opt_sort_kernelIN3c104HalfEDv2_fLi4ELb0ELb1ELb0EEEvPT_PKS4_PfPimiiiif,@function
_ZN5aiter28grouped_topk_opt_sort_kernelIN3c104HalfEDv2_fLi4ELb0ELb1ELb0EEEvPT_PKS4_PfPimiiiif: ; @_ZN5aiter28grouped_topk_opt_sort_kernelIN3c104HalfEDv2_fLi4ELb0ELb1ELb0EEEvPT_PKS4_PfPimiiiif
; %bb.0:
	s_load_dword s7, s[4:5], 0x28
	s_load_dwordx4 s[0:3], s[4:5], 0x0
	s_load_dword s8, s[4:5], 0x30
	v_lshlrev_b32_e32 v1, 2, v0
	v_mbcnt_lo_u32_b32 v4, -1, 0
	s_waitcnt lgkmcnt(0)
	s_mul_i32 s4, s6, s7
	s_ashr_i32 s5, s4, 31
	s_lshl_b64 s[4:5], s[4:5], 1
	s_add_u32 s0, s0, s4
	s_addc_u32 s1, s1, s5
	global_load_dword v2, v1, s[0:1]
	global_load_dword v3, v1, s[2:3]
	v_mbcnt_hi_u32_b32 v4, -1, v4
	v_and_b32_e32 v6, 2, v0
	v_and_b32_e32 v13, 64, v4
	v_cmp_eq_u32_e32 vcc, 0, v6
	s_mov_b32 s0, 0x652b82fe
	v_lshrrev_b32_e32 v5, 1, v0
	s_mov_b32 s1, 0xbff71547
	v_xor_b32_e32 v14, v5, v0
	s_mov_b32 s2, 0xc2fc0000
	v_mov_b32_e32 v9, 0xff800000
	v_mov_b32_e32 v10, 0x7f800000
	;; [unrolled: 1-line block ×3, first 2 shown]
	v_cndmask_b32_e32 v15, v9, v10, vcc
	v_mov_b32_e32 v8, 0x1f800000
	v_and_b32_e32 v12, 1, v0
	s_mov_b32 s3, 0xff800000
	v_lshlrev_b32_e32 v11, 4, v0
	s_waitcnt vmcnt(1)
	v_cvt_f32_f16_e32 v4, v2
	v_cvt_f32_f16_sdwa v6, v2 dst_sel:DWORD dst_unused:UNUSED_PAD src0_sel:WORD_1
	s_waitcnt vmcnt(0)
	v_cvt_f32_f16_e32 v2, v3
	v_cvt_f32_f16_sdwa v3, v3 dst_sel:DWORD dst_unused:UNUSED_PAD src0_sel:WORD_1
	v_cvt_f64_f32_e32 v[4:5], v4
	v_cvt_f64_f32_e32 v[6:7], v6
	v_mul_f64 v[4:5], v[4:5], s[0:1]
	v_mul_f64 v[6:7], v[6:7], s[0:1]
	v_cvt_f32_f64_e32 v4, v[4:5]
	v_cvt_f32_f64_e32 v5, v[6:7]
	v_cmp_gt_f32_e32 vcc, s2, v4
	v_cmp_gt_f32_e64 s[0:1], s2, v5
	v_cndmask_b32_e32 v6, 0, v1, vcc
	v_cndmask_b32_e64 v1, 0, v1, s[0:1]
	v_add_f32_e32 v4, v4, v6
	v_add_f32_e32 v1, v5, v1
	v_exp_f32_e32 v4, v4
	v_exp_f32_e32 v1, v1
	v_cndmask_b32_e32 v5, 1.0, v8, vcc
	v_cndmask_b32_e64 v6, 1.0, v8, s[0:1]
	v_fma_f32 v4, v4, v5, 1.0
	v_fma_f32 v1, v1, v6, 1.0
	v_rcp_f32_e32 v4, v4
	v_rcp_f32_e32 v5, v1
	v_cmp_eq_u32_e32 vcc, 0, v12
	v_cndmask_b32_e32 v1, v9, v10, vcc
	v_and_or_b32 v6, v11, 48, v13
	v_pk_add_f32 v[2:3], v[4:5], v[2:3]
	v_cmp_o_f32_e32 vcc, v3, v3
	v_cndmask_b32_e32 v3, v9, v3, vcc
	v_cmp_o_f32_e32 vcc, v2, v2
	v_cndmask_b32_e32 v2, v9, v2, vcc
	v_med3_f32 v4, v3, v2, s3
	v_max_f32_e32 v5, v3, v2
	v_lshlrev_b32_e32 v6, 2, v6
	v_add_f32_e32 v4, v5, v4
	ds_bpermute_b32 v4, v6, v4
	v_and_b32_e32 v5, 1, v14
	v_cmp_eq_u32_e32 vcc, 0, v5
	v_cndmask_b32_e32 v5, v9, v10, vcc
	v_lshlrev_b32_e32 v6, 2, v13
	s_waitcnt lgkmcnt(0)
	v_mov_b32_dpp v7, v4 quad_perm:[1,0,3,2] row_mask:0xf bank_mask:0xf bound_ctrl:1
	v_med3_f32 v5, v4, v7, v5
	s_nop 1
	v_mov_b32_dpp v7, v5 quad_perm:[2,3,0,1] row_mask:0xf bank_mask:0xf bound_ctrl:1
	v_med3_f32 v5, v5, v7, v15
	s_nop 1
	v_mov_b32_dpp v7, v5 quad_perm:[1,0,3,2] row_mask:0xf bank_mask:0xf bound_ctrl:1
	v_med3_f32 v1, v5, v7, v1
	ds_bpermute_b32 v1, v6, v1 offset:12
	v_lshl_add_u32 v5, v0, 3, 0
	ds_write_b64 v5, v[2:3]
	s_waitcnt lgkmcnt(1)
	v_cmp_gt_f32_e32 vcc, v4, v1
	v_cndmask_b32_e64 v2, 0, 1, vcc
	v_cmp_eq_f32_e64 s[0:1], v4, v1
	v_cndmask_b32_e64 v3, 0, 1, s[0:1]
	v_cmp_ge_f32_e64 s[2:3], v4, v1
	v_mov_b32_dpp v1, v2 row_shr:1 row_mask:0xf bank_mask:0xf bound_ctrl:1
	v_mov_b32_dpp v2, v3 row_shr:1 row_mask:0xf bank_mask:0xf bound_ctrl:1
	v_addc_co_u32_e64 v3, s[4:5], 0, v1, vcc
	v_addc_co_u32_e64 v4, s[4:5], 0, v2, s[0:1]
	s_nop 0
	v_mov_b32_dpp v3, v3 row_shr:2 row_mask:0xf bank_mask:0xf bound_ctrl:1
	v_addc_co_u32_e32 v1, vcc, v3, v1, vcc
	v_readlane_b32 s4, v1, 3
	v_mov_b32_e32 v3, s4
	v_addc_co_u32_e64 v2, vcc, v3, v2, s[0:1]
	s_nop 1
	v_add_u32_dpp v2, v4, v2 row_shr:2 row_mask:0xf bank_mask:0xf bound_ctrl:1
	v_cndmask_b32_e64 v1, v1, v2, s[0:1]
	v_cmp_ge_i32_e32 vcc, s8, v1
	s_and_b64 s[0:1], s[2:3], vcc
	v_cmp_gt_u32_e32 vcc, 4, v0
	s_and_b64 s[2:3], vcc, s[0:1]
	s_and_saveexec_b64 s[0:1], s[2:3]
	s_cbranch_execz .LBB134_2
; %bb.1:
	s_lshl_b32 s2, s7, 2
	s_add_i32 s2, s2, 0
	v_lshl_add_u32 v1, v1, 2, s2
	ds_write_b32 v1, v0 offset:12
.LBB134_2:
	s_or_b64 exec, exec, s[0:1]
	s_waitcnt lgkmcnt(0)
	s_barrier
	s_endpgm
	.section	.rodata,"a",@progbits
	.p2align	6, 0x0
	.amdhsa_kernel _ZN5aiter28grouped_topk_opt_sort_kernelIN3c104HalfEDv2_fLi4ELb0ELb1ELb0EEEvPT_PKS4_PfPimiiiif
		.amdhsa_group_segment_fixed_size 0
		.amdhsa_private_segment_fixed_size 0
		.amdhsa_kernarg_size 60
		.amdhsa_user_sgpr_count 6
		.amdhsa_user_sgpr_private_segment_buffer 1
		.amdhsa_user_sgpr_dispatch_ptr 0
		.amdhsa_user_sgpr_queue_ptr 0
		.amdhsa_user_sgpr_kernarg_segment_ptr 1
		.amdhsa_user_sgpr_dispatch_id 0
		.amdhsa_user_sgpr_flat_scratch_init 0
		.amdhsa_user_sgpr_kernarg_preload_length 0
		.amdhsa_user_sgpr_kernarg_preload_offset 0
		.amdhsa_user_sgpr_private_segment_size 0
		.amdhsa_uses_dynamic_stack 0
		.amdhsa_system_sgpr_private_segment_wavefront_offset 0
		.amdhsa_system_sgpr_workgroup_id_x 1
		.amdhsa_system_sgpr_workgroup_id_y 0
		.amdhsa_system_sgpr_workgroup_id_z 0
		.amdhsa_system_sgpr_workgroup_info 0
		.amdhsa_system_vgpr_workitem_id 0
		.amdhsa_next_free_vgpr 16
		.amdhsa_next_free_sgpr 9
		.amdhsa_accum_offset 16
		.amdhsa_reserve_vcc 1
		.amdhsa_reserve_flat_scratch 0
		.amdhsa_float_round_mode_32 0
		.amdhsa_float_round_mode_16_64 0
		.amdhsa_float_denorm_mode_32 3
		.amdhsa_float_denorm_mode_16_64 3
		.amdhsa_dx10_clamp 1
		.amdhsa_ieee_mode 1
		.amdhsa_fp16_overflow 0
		.amdhsa_tg_split 0
		.amdhsa_exception_fp_ieee_invalid_op 0
		.amdhsa_exception_fp_denorm_src 0
		.amdhsa_exception_fp_ieee_div_zero 0
		.amdhsa_exception_fp_ieee_overflow 0
		.amdhsa_exception_fp_ieee_underflow 0
		.amdhsa_exception_fp_ieee_inexact 0
		.amdhsa_exception_int_div_zero 0
	.end_amdhsa_kernel
	.section	.text._ZN5aiter28grouped_topk_opt_sort_kernelIN3c104HalfEDv2_fLi4ELb0ELb1ELb0EEEvPT_PKS4_PfPimiiiif,"axG",@progbits,_ZN5aiter28grouped_topk_opt_sort_kernelIN3c104HalfEDv2_fLi4ELb0ELb1ELb0EEEvPT_PKS4_PfPimiiiif,comdat
.Lfunc_end134:
	.size	_ZN5aiter28grouped_topk_opt_sort_kernelIN3c104HalfEDv2_fLi4ELb0ELb1ELb0EEEvPT_PKS4_PfPimiiiif, .Lfunc_end134-_ZN5aiter28grouped_topk_opt_sort_kernelIN3c104HalfEDv2_fLi4ELb0ELb1ELb0EEEvPT_PKS4_PfPimiiiif
                                        ; -- End function
	.section	.AMDGPU.csdata,"",@progbits
; Kernel info:
; codeLenInByte = 680
; NumSgprs: 13
; NumVgprs: 16
; NumAgprs: 0
; TotalNumVgprs: 16
; ScratchSize: 0
; MemoryBound: 0
; FloatMode: 240
; IeeeMode: 1
; LDSByteSize: 0 bytes/workgroup (compile time only)
; SGPRBlocks: 1
; VGPRBlocks: 1
; NumSGPRsForWavesPerEU: 13
; NumVGPRsForWavesPerEU: 16
; AccumOffset: 16
; Occupancy: 8
; WaveLimiterHint : 0
; COMPUTE_PGM_RSRC2:SCRATCH_EN: 0
; COMPUTE_PGM_RSRC2:USER_SGPR: 6
; COMPUTE_PGM_RSRC2:TRAP_HANDLER: 0
; COMPUTE_PGM_RSRC2:TGID_X_EN: 1
; COMPUTE_PGM_RSRC2:TGID_Y_EN: 0
; COMPUTE_PGM_RSRC2:TGID_Z_EN: 0
; COMPUTE_PGM_RSRC2:TIDIG_COMP_CNT: 0
; COMPUTE_PGM_RSRC3_GFX90A:ACCUM_OFFSET: 3
; COMPUTE_PGM_RSRC3_GFX90A:TG_SPLIT: 0
	.section	.text._ZN5aiter28grouped_topk_opt_sort_kernelIN3c108BFloat16EDv2_fLi4ELb0ELb1ELb0EEEvPT_PKS4_PfPimiiiif,"axG",@progbits,_ZN5aiter28grouped_topk_opt_sort_kernelIN3c108BFloat16EDv2_fLi4ELb0ELb1ELb0EEEvPT_PKS4_PfPimiiiif,comdat
	.protected	_ZN5aiter28grouped_topk_opt_sort_kernelIN3c108BFloat16EDv2_fLi4ELb0ELb1ELb0EEEvPT_PKS4_PfPimiiiif ; -- Begin function _ZN5aiter28grouped_topk_opt_sort_kernelIN3c108BFloat16EDv2_fLi4ELb0ELb1ELb0EEEvPT_PKS4_PfPimiiiif
	.globl	_ZN5aiter28grouped_topk_opt_sort_kernelIN3c108BFloat16EDv2_fLi4ELb0ELb1ELb0EEEvPT_PKS4_PfPimiiiif
	.p2align	8
	.type	_ZN5aiter28grouped_topk_opt_sort_kernelIN3c108BFloat16EDv2_fLi4ELb0ELb1ELb0EEEvPT_PKS4_PfPimiiiif,@function
_ZN5aiter28grouped_topk_opt_sort_kernelIN3c108BFloat16EDv2_fLi4ELb0ELb1ELb0EEEvPT_PKS4_PfPimiiiif: ; @_ZN5aiter28grouped_topk_opt_sort_kernelIN3c108BFloat16EDv2_fLi4ELb0ELb1ELb0EEEvPT_PKS4_PfPimiiiif
; %bb.0:
	s_load_dword s7, s[4:5], 0x28
	s_load_dwordx4 s[0:3], s[4:5], 0x0
	s_load_dword s8, s[4:5], 0x30
	v_lshlrev_b32_e32 v1, 2, v0
	v_mbcnt_lo_u32_b32 v3, -1, 0
	s_waitcnt lgkmcnt(0)
	s_mul_i32 s4, s6, s7
	s_ashr_i32 s5, s4, 31
	s_lshl_b64 s[4:5], s[4:5], 1
	s_add_u32 s0, s0, s4
	s_addc_u32 s1, s1, s5
	global_load_dword v2, v1, s[0:1]
	global_load_dword v4, v1, s[2:3]
	v_lshrrev_b32_e32 v5, 1, v0
	v_and_b32_e32 v6, 2, v0
	s_mov_b32 s0, 0x652b82fe
	v_mbcnt_hi_u32_b32 v3, -1, v3
	v_xor_b32_e32 v14, v5, v0
	v_cmp_eq_u32_e32 vcc, 0, v6
	s_mov_b32 s1, 0xbff71547
	v_and_b32_e32 v13, 64, v3
	s_mov_b32 s2, 0xc2fc0000
	v_mov_b32_e32 v9, 0xff800000
	v_mov_b32_e32 v10, 0x7f800000
	;; [unrolled: 1-line block ×3, first 2 shown]
	v_cndmask_b32_e32 v15, v9, v10, vcc
	v_mov_b32_e32 v8, 0x1f800000
	v_and_b32_e32 v12, 1, v0
	s_mov_b32 s3, 0xff800000
	v_lshlrev_b32_e32 v11, 4, v0
	s_waitcnt vmcnt(1)
	v_and_b32_e32 v5, 0xffff, v2
	v_lshrrev_b32_e32 v6, 16, v2
	s_waitcnt vmcnt(0)
	v_cvt_f32_u32_sdwa v3, v4 dst_sel:DWORD dst_unused:UNUSED_PAD src0_sel:WORD_1
	v_cvt_f32_u32_sdwa v2, v4 dst_sel:DWORD dst_unused:UNUSED_PAD src0_sel:WORD_0
	v_cvt_f64_u32_e32 v[4:5], v5
	v_cvt_f64_u32_e32 v[6:7], v6
	v_mul_f64 v[4:5], v[4:5], s[0:1]
	v_mul_f64 v[6:7], v[6:7], s[0:1]
	v_cvt_f32_f64_e32 v4, v[4:5]
	v_cvt_f32_f64_e32 v5, v[6:7]
	v_cmp_gt_f32_e32 vcc, s2, v4
	v_cmp_gt_f32_e64 s[0:1], s2, v5
	v_cndmask_b32_e32 v6, 0, v1, vcc
	v_cndmask_b32_e64 v1, 0, v1, s[0:1]
	v_add_f32_e32 v4, v4, v6
	v_add_f32_e32 v1, v5, v1
	v_exp_f32_e32 v4, v4
	v_exp_f32_e32 v1, v1
	v_cndmask_b32_e32 v5, 1.0, v8, vcc
	v_cndmask_b32_e64 v6, 1.0, v8, s[0:1]
	v_fma_f32 v4, v4, v5, 1.0
	v_fma_f32 v1, v1, v6, 1.0
	v_rcp_f32_e32 v4, v4
	v_rcp_f32_e32 v5, v1
	v_cmp_eq_u32_e32 vcc, 0, v12
	v_cndmask_b32_e32 v1, v9, v10, vcc
	v_and_or_b32 v6, v11, 48, v13
	v_pk_add_f32 v[2:3], v[4:5], v[2:3]
	v_cmp_o_f32_e32 vcc, v3, v3
	v_cndmask_b32_e32 v3, v9, v3, vcc
	v_cmp_o_f32_e32 vcc, v2, v2
	v_cndmask_b32_e32 v2, v9, v2, vcc
	v_med3_f32 v4, v3, v2, s3
	v_max_f32_e32 v5, v3, v2
	v_lshlrev_b32_e32 v6, 2, v6
	v_add_f32_e32 v4, v5, v4
	ds_bpermute_b32 v4, v6, v4
	v_and_b32_e32 v5, 1, v14
	v_cmp_eq_u32_e32 vcc, 0, v5
	v_cndmask_b32_e32 v5, v9, v10, vcc
	v_lshlrev_b32_e32 v6, 2, v13
	s_waitcnt lgkmcnt(0)
	v_mov_b32_dpp v7, v4 quad_perm:[1,0,3,2] row_mask:0xf bank_mask:0xf bound_ctrl:1
	v_med3_f32 v5, v4, v7, v5
	s_nop 1
	v_mov_b32_dpp v7, v5 quad_perm:[2,3,0,1] row_mask:0xf bank_mask:0xf bound_ctrl:1
	v_med3_f32 v5, v5, v7, v15
	s_nop 1
	v_mov_b32_dpp v7, v5 quad_perm:[1,0,3,2] row_mask:0xf bank_mask:0xf bound_ctrl:1
	v_med3_f32 v1, v5, v7, v1
	ds_bpermute_b32 v1, v6, v1 offset:12
	v_lshl_add_u32 v5, v0, 3, 0
	ds_write_b64 v5, v[2:3]
	s_waitcnt lgkmcnt(1)
	v_cmp_gt_f32_e32 vcc, v4, v1
	v_cndmask_b32_e64 v2, 0, 1, vcc
	v_cmp_eq_f32_e64 s[0:1], v4, v1
	v_cndmask_b32_e64 v3, 0, 1, s[0:1]
	v_cmp_ge_f32_e64 s[2:3], v4, v1
	v_mov_b32_dpp v1, v2 row_shr:1 row_mask:0xf bank_mask:0xf bound_ctrl:1
	v_mov_b32_dpp v2, v3 row_shr:1 row_mask:0xf bank_mask:0xf bound_ctrl:1
	v_addc_co_u32_e64 v3, s[4:5], 0, v1, vcc
	v_addc_co_u32_e64 v4, s[4:5], 0, v2, s[0:1]
	s_nop 0
	v_mov_b32_dpp v3, v3 row_shr:2 row_mask:0xf bank_mask:0xf bound_ctrl:1
	v_addc_co_u32_e32 v1, vcc, v3, v1, vcc
	v_readlane_b32 s4, v1, 3
	v_mov_b32_e32 v3, s4
	v_addc_co_u32_e64 v2, vcc, v3, v2, s[0:1]
	s_nop 1
	v_add_u32_dpp v2, v4, v2 row_shr:2 row_mask:0xf bank_mask:0xf bound_ctrl:1
	v_cndmask_b32_e64 v1, v1, v2, s[0:1]
	v_cmp_ge_i32_e32 vcc, s8, v1
	s_and_b64 s[0:1], s[2:3], vcc
	v_cmp_gt_u32_e32 vcc, 4, v0
	s_and_b64 s[2:3], vcc, s[0:1]
	s_and_saveexec_b64 s[0:1], s[2:3]
	s_cbranch_execz .LBB135_2
; %bb.1:
	s_lshl_b32 s2, s7, 2
	s_add_i32 s2, s2, 0
	v_lshl_add_u32 v1, v1, 2, s2
	ds_write_b32 v1, v0 offset:12
.LBB135_2:
	s_or_b64 exec, exec, s[0:1]
	s_waitcnt lgkmcnt(0)
	s_barrier
	s_endpgm
	.section	.rodata,"a",@progbits
	.p2align	6, 0x0
	.amdhsa_kernel _ZN5aiter28grouped_topk_opt_sort_kernelIN3c108BFloat16EDv2_fLi4ELb0ELb1ELb0EEEvPT_PKS4_PfPimiiiif
		.amdhsa_group_segment_fixed_size 0
		.amdhsa_private_segment_fixed_size 0
		.amdhsa_kernarg_size 60
		.amdhsa_user_sgpr_count 6
		.amdhsa_user_sgpr_private_segment_buffer 1
		.amdhsa_user_sgpr_dispatch_ptr 0
		.amdhsa_user_sgpr_queue_ptr 0
		.amdhsa_user_sgpr_kernarg_segment_ptr 1
		.amdhsa_user_sgpr_dispatch_id 0
		.amdhsa_user_sgpr_flat_scratch_init 0
		.amdhsa_user_sgpr_kernarg_preload_length 0
		.amdhsa_user_sgpr_kernarg_preload_offset 0
		.amdhsa_user_sgpr_private_segment_size 0
		.amdhsa_uses_dynamic_stack 0
		.amdhsa_system_sgpr_private_segment_wavefront_offset 0
		.amdhsa_system_sgpr_workgroup_id_x 1
		.amdhsa_system_sgpr_workgroup_id_y 0
		.amdhsa_system_sgpr_workgroup_id_z 0
		.amdhsa_system_sgpr_workgroup_info 0
		.amdhsa_system_vgpr_workitem_id 0
		.amdhsa_next_free_vgpr 16
		.amdhsa_next_free_sgpr 9
		.amdhsa_accum_offset 16
		.amdhsa_reserve_vcc 1
		.amdhsa_reserve_flat_scratch 0
		.amdhsa_float_round_mode_32 0
		.amdhsa_float_round_mode_16_64 0
		.amdhsa_float_denorm_mode_32 3
		.amdhsa_float_denorm_mode_16_64 3
		.amdhsa_dx10_clamp 1
		.amdhsa_ieee_mode 1
		.amdhsa_fp16_overflow 0
		.amdhsa_tg_split 0
		.amdhsa_exception_fp_ieee_invalid_op 0
		.amdhsa_exception_fp_denorm_src 0
		.amdhsa_exception_fp_ieee_div_zero 0
		.amdhsa_exception_fp_ieee_overflow 0
		.amdhsa_exception_fp_ieee_underflow 0
		.amdhsa_exception_fp_ieee_inexact 0
		.amdhsa_exception_int_div_zero 0
	.end_amdhsa_kernel
	.section	.text._ZN5aiter28grouped_topk_opt_sort_kernelIN3c108BFloat16EDv2_fLi4ELb0ELb1ELb0EEEvPT_PKS4_PfPimiiiif,"axG",@progbits,_ZN5aiter28grouped_topk_opt_sort_kernelIN3c108BFloat16EDv2_fLi4ELb0ELb1ELb0EEEvPT_PKS4_PfPimiiiif,comdat
.Lfunc_end135:
	.size	_ZN5aiter28grouped_topk_opt_sort_kernelIN3c108BFloat16EDv2_fLi4ELb0ELb1ELb0EEEvPT_PKS4_PfPimiiiif, .Lfunc_end135-_ZN5aiter28grouped_topk_opt_sort_kernelIN3c108BFloat16EDv2_fLi4ELb0ELb1ELb0EEEvPT_PKS4_PfPimiiiif
                                        ; -- End function
	.section	.AMDGPU.csdata,"",@progbits
; Kernel info:
; codeLenInByte = 684
; NumSgprs: 13
; NumVgprs: 16
; NumAgprs: 0
; TotalNumVgprs: 16
; ScratchSize: 0
; MemoryBound: 0
; FloatMode: 240
; IeeeMode: 1
; LDSByteSize: 0 bytes/workgroup (compile time only)
; SGPRBlocks: 1
; VGPRBlocks: 1
; NumSGPRsForWavesPerEU: 13
; NumVGPRsForWavesPerEU: 16
; AccumOffset: 16
; Occupancy: 8
; WaveLimiterHint : 0
; COMPUTE_PGM_RSRC2:SCRATCH_EN: 0
; COMPUTE_PGM_RSRC2:USER_SGPR: 6
; COMPUTE_PGM_RSRC2:TRAP_HANDLER: 0
; COMPUTE_PGM_RSRC2:TGID_X_EN: 1
; COMPUTE_PGM_RSRC2:TGID_Y_EN: 0
; COMPUTE_PGM_RSRC2:TGID_Z_EN: 0
; COMPUTE_PGM_RSRC2:TIDIG_COMP_CNT: 0
; COMPUTE_PGM_RSRC3_GFX90A:ACCUM_OFFSET: 3
; COMPUTE_PGM_RSRC3_GFX90A:TG_SPLIT: 0
	.section	.text._ZN5aiter19grouped_topk_kernelIfDv2_fLi4ELb0ELb1ELb0EEEvPT_PKS2_PfPimiiiif,"axG",@progbits,_ZN5aiter19grouped_topk_kernelIfDv2_fLi4ELb0ELb1ELb0EEEvPT_PKS2_PfPimiiiif,comdat
	.protected	_ZN5aiter19grouped_topk_kernelIfDv2_fLi4ELb0ELb1ELb0EEEvPT_PKS2_PfPimiiiif ; -- Begin function _ZN5aiter19grouped_topk_kernelIfDv2_fLi4ELb0ELb1ELb0EEEvPT_PKS2_PfPimiiiif
	.globl	_ZN5aiter19grouped_topk_kernelIfDv2_fLi4ELb0ELb1ELb0EEEvPT_PKS2_PfPimiiiif
	.p2align	8
	.type	_ZN5aiter19grouped_topk_kernelIfDv2_fLi4ELb0ELb1ELb0EEEvPT_PKS2_PfPimiiiif,@function
_ZN5aiter19grouped_topk_kernelIfDv2_fLi4ELb0ELb1ELb0EEEvPT_PKS2_PfPimiiiif: ; @_ZN5aiter19grouped_topk_kernelIfDv2_fLi4ELb0ELb1ELb0EEEvPT_PKS2_PfPimiiiif
; %bb.0:
	s_load_dwordx4 s[12:15], s[4:5], 0x28
	s_load_dwordx4 s[16:19], s[4:5], 0x8
	s_load_dwordx2 s[10:11], s[4:5], 0x18
	s_waitcnt lgkmcnt(0)
	s_lshr_b32 s0, s12, 31
	s_add_i32 s0, s12, s0
	s_ashr_i32 s7, s0, 1
	v_cmp_gt_i32_e64 s[0:1], s7, v0
	s_and_saveexec_b64 s[8:9], s[0:1]
	s_cbranch_execz .LBB136_3
; %bb.1:
	s_load_dwordx2 s[2:3], s[4:5], 0x0
	s_load_dword s22, s[4:5], 0x4c
	s_mul_i32 s20, s6, s12
	s_ashr_i32 s21, s20, 31
	s_lshl_b64 s[20:21], s[20:21], 2
	s_waitcnt lgkmcnt(0)
	s_add_u32 s15, s2, s20
	s_addc_u32 s2, s3, s21
	s_and_b32 s22, s22, 0xffff
	s_mov_b32 s3, 0
	v_lshlrev_b32_e32 v2, 3, v0
	v_mov_b32_e32 v1, 0
	s_lshl_b32 s23, s22, 3
	v_add_u32_e32 v3, 0, v2
	s_mov_b64 s[20:21], 0
	v_mov_b32_e32 v4, s2
	v_mov_b32_e32 v5, s17
	s_mov_b32 s24, 0xbfb8aa3b
	s_mov_b32 s25, 0x42ce8ed0
	;; [unrolled: 1-line block ×3, first 2 shown]
	v_mov_b32_e32 v6, 0x7f800000
	v_mov_b32_e32 v7, s3
	;; [unrolled: 1-line block ×3, first 2 shown]
.LBB136_2:                              ; =>This Inner Loop Header: Depth=1
	v_add_co_u32_e32 v10, vcc, s15, v2
	v_addc_co_u32_e32 v11, vcc, v4, v1, vcc
	global_load_dwordx2 v[10:11], v[10:11], off
	v_add_co_u32_e32 v12, vcc, s16, v2
	v_addc_co_u32_e32 v13, vcc, v5, v1, vcc
	global_load_dwordx2 v[12:13], v[12:13], off
	v_add_co_u32_e32 v2, vcc, s23, v2
	v_add_u32_e32 v8, s22, v8
	v_addc_co_u32_e32 v1, vcc, v1, v7, vcc
	v_cmp_le_i32_e32 vcc, s7, v8
	s_or_b64 s[20:21], vcc, s[20:21]
	s_waitcnt vmcnt(1)
	v_mul_f32_e32 v9, 0xbfb8aa3b, v11
	v_mul_f32_e32 v14, 0xbfb8aa3b, v10
	v_fma_f32 v15, v11, s24, -v9
	v_rndne_f32_e32 v16, v9
	v_fma_f32 v17, v10, s24, -v14
	v_rndne_f32_e32 v18, v14
	v_fmac_f32_e32 v15, 0xb2a5705f, v11
	v_sub_f32_e32 v9, v9, v16
	v_fmac_f32_e32 v17, 0xb2a5705f, v10
	v_sub_f32_e32 v14, v14, v18
	v_add_f32_e32 v9, v9, v15
	v_add_f32_e32 v14, v14, v17
	v_cvt_i32_f32_e32 v16, v16
	v_cvt_i32_f32_e32 v18, v18
	v_exp_f32_e32 v9, v9
	v_exp_f32_e32 v14, v14
	v_cmp_nlt_f32_e32 vcc, s25, v10
	v_cmp_nlt_f32_e64 s[2:3], s25, v11
	v_ldexp_f32 v9, v9, v16
	v_ldexp_f32 v14, v14, v18
	v_cndmask_b32_e64 v9, 0, v9, s[2:3]
	v_cndmask_b32_e32 v14, 0, v14, vcc
	v_cmp_ngt_f32_e32 vcc, s26, v10
	v_cmp_ngt_f32_e64 s[2:3], s26, v11
	v_cndmask_b32_e64 v11, v6, v9, s[2:3]
	v_cndmask_b32_e32 v10, v6, v14, vcc
	v_pk_add_f32 v[10:11], v[10:11], 1.0 op_sel_hi:[1,0]
	v_div_scale_f32 v9, s[2:3], v11, v11, 1.0
	v_div_scale_f32 v15, s[2:3], v10, v10, 1.0
	v_rcp_f32_e32 v17, v9
	v_rcp_f32_e32 v18, v15
	v_div_scale_f32 v14, vcc, 1.0, v11, 1.0
	v_fma_f32 v19, -v9, v17, 1.0
	v_fma_f32 v20, -v15, v18, 1.0
	v_fmac_f32_e32 v17, v19, v17
	v_div_scale_f32 v16, s[2:3], 1.0, v10, 1.0
	v_fmac_f32_e32 v18, v20, v18
	v_mul_f32_e32 v19, v14, v17
	v_mul_f32_e32 v20, v16, v18
	v_fma_f32 v21, -v9, v19, v14
	v_fma_f32 v22, -v15, v20, v16
	v_fmac_f32_e32 v19, v21, v17
	v_fmac_f32_e32 v20, v22, v18
	v_fma_f32 v9, -v9, v19, v14
	v_fma_f32 v14, -v15, v20, v16
	v_div_fmas_f32 v9, v9, v17, v19
	s_mov_b64 vcc, s[2:3]
	v_div_fixup_f32 v11, v9, v11, 1.0
	v_div_fmas_f32 v9, v14, v18, v20
	v_div_fixup_f32 v10, v9, v10, 1.0
	s_waitcnt vmcnt(0)
	v_pk_add_f32 v[10:11], v[12:13], v[10:11]
	ds_write_b64 v3, v[10:11]
	v_add_u32_e32 v3, s23, v3
	s_andn2_b64 exec, exec, s[20:21]
	s_cbranch_execnz .LBB136_2
.LBB136_3:
	s_or_b64 exec, exec, s[8:9]
	s_ashr_i32 s2, s12, 31
	s_lshr_b32 s3, s2, 30
	s_add_i32 s3, s12, s3
	s_ashr_i32 s15, s3, 2
	s_lshl_b32 s3, s12, 2
	s_add_i32 s28, s3, 0
	v_cmp_gt_u32_e32 vcc, 64, v0
	s_waitcnt lgkmcnt(0)
	s_barrier
	s_and_saveexec_b64 s[20:21], vcc
	s_cbranch_execz .LBB136_12
; %bb.4:
	s_load_dword s8, s[4:5], 0x4c
	v_lshrrev_b32_e32 v2, 4, v0
	s_lshr_b32 s2, s2, 29
	v_and_b32_e32 v1, 15, v0
	s_add_i32 s2, s12, s2
	s_waitcnt lgkmcnt(0)
	s_bfe_u32 s29, s8, 0xc0004
	v_mul_lo_u32 v3, s15, v2
	s_ashr_i32 s12, s2, 3
	v_lshlrev_b32_e32 v3, 2, v3
	v_lshlrev_b32_e32 v4, 3, v1
	s_mul_i32 s8, s15, s29
	v_cmp_gt_i32_e32 vcc, s12, v1
	v_cmp_eq_u32_e64 s[2:3], 0, v1
	v_add3_u32 v3, v3, v4, 0
	s_lshl_b32 s30, s8, 2
	s_mov_b64 s[22:23], 0
	s_branch .LBB136_6
.LBB136_5:                              ;   in Loop: Header=BB136_6 Depth=1
	s_or_b64 exec, exec, s[8:9]
	v_add_u32_e32 v2, s29, v2
	v_cmp_lt_u32_e64 s[8:9], 3, v2
	s_or_b64 s[22:23], s[8:9], s[22:23]
	v_add_u32_e32 v3, s30, v3
	s_andn2_b64 exec, exec, s[22:23]
	s_cbranch_execz .LBB136_12
.LBB136_6:                              ; =>This Loop Header: Depth=1
                                        ;     Child Loop BB136_8 Depth 2
	v_mov_b32_e32 v4, 0xff800000
	v_mov_b32_e32 v7, 0xff800000
	s_and_saveexec_b64 s[24:25], vcc
	s_cbranch_execz .LBB136_10
; %bb.7:                                ;   in Loop: Header=BB136_6 Depth=1
	s_mov_b64 s[26:27], 0
	v_mov_b32_e32 v4, 0xff800000
	v_mov_b32_e32 v5, v3
	;; [unrolled: 1-line block ×4, first 2 shown]
.LBB136_8:                              ;   Parent Loop BB136_6 Depth=1
                                        ; =>  This Inner Loop Header: Depth=2
	ds_read_b64 v[8:9], v5
	v_add_u32_e32 v6, 16, v6
	v_max_f32_e32 v7, v7, v7
	v_cmp_le_i32_e64 s[8:9], s12, v6
	s_or_b64 s[26:27], s[8:9], s[26:27]
	s_waitcnt lgkmcnt(0)
	v_max_f32_e32 v11, v8, v8
	v_max_f32_e32 v7, v11, v7
	v_cmp_gt_f32_e64 s[8:9], v8, v4
	v_max_f32_e32 v10, v4, v4
	v_cndmask_b32_e64 v7, v7, v4, s[8:9]
	v_max_f32_e32 v12, v9, v9
	v_max_f32_e32 v10, v11, v10
	;; [unrolled: 1-line block ×4, first 2 shown]
	v_cmp_gt_f32_e64 s[8:9], v9, v10
	v_add_u32_e32 v5, 0x80, v5
	v_max_f32_e32 v4, v12, v10
	v_cndmask_b32_e64 v7, v7, v10, s[8:9]
	s_andn2_b64 exec, exec, s[26:27]
	s_cbranch_execnz .LBB136_8
; %bb.9:                                ;   in Loop: Header=BB136_6 Depth=1
	s_or_b64 exec, exec, s[26:27]
.LBB136_10:                             ;   in Loop: Header=BB136_6 Depth=1
	s_or_b64 exec, exec, s[24:25]
	s_and_saveexec_b64 s[8:9], s[2:3]
	s_cbranch_execz .LBB136_5
; %bb.11:                               ;   in Loop: Header=BB136_6 Depth=1
	v_lshl_add_u32 v5, v2, 2, s28
	v_add_f32_e32 v4, v7, v4
	ds_write_b32 v5, v4
	s_branch .LBB136_5
.LBB136_12:
	s_or_b64 exec, exec, s[20:21]
	s_cmp_lt_i32 s14, 1
	s_waitcnt lgkmcnt(0)
	s_barrier
	s_cbranch_scc1 .LBB136_15
; %bb.13:
	v_mov_b32_e32 v1, s28
	s_mov_b32 s2, 0xff800000
	v_mov_b32_e32 v2, 0xff800000
.LBB136_14:                             ; =>This Inner Loop Header: Depth=1
	ds_read2_b32 v[4:5], v1 offset1:1
	ds_read2_b32 v[6:7], v1 offset0:2 offset1:3
	s_waitcnt lgkmcnt(1)
	v_cmp_nlg_f32_e32 vcc, s2, v4
	v_cndmask_b32_e64 v3, 0, 1, vcc
	v_cmp_lg_f32_e32 vcc, s2, v4
	v_cndmask_b32_e32 v4, v2, v4, vcc
	v_readfirstlane_b32 s3, v3
	v_cmp_gt_f32_e32 vcc, v5, v4
	s_lshl_b32 s3, s3, 2
	v_cndmask_b32_e32 v3, v4, v5, vcc
	s_and_b64 s[8:9], vcc, exec
	s_waitcnt lgkmcnt(0)
	v_cmp_gt_f32_e32 vcc, v6, v3
	v_cndmask_b32_e32 v3, v3, v6, vcc
	s_cselect_b32 s3, 1, s3
	s_and_b64 s[8:9], vcc, exec
	v_cmp_ngt_f32_e32 vcc, v7, v3
	s_cselect_b32 s3, 2, s3
	s_and_b64 s[8:9], vcc, exec
	s_cselect_b32 s3, s3, 3
	s_lshl_b32 s3, s3, 2
	s_add_i32 s3, s28, s3
	s_add_i32 s14, s14, -1
	v_mov_b32_e32 v3, s3
	s_cmp_lg_u32 s14, 0
	ds_write_b32 v3, v2
	s_cbranch_scc1 .LBB136_14
.LBB136_15:
	v_lshlrev_b32_e32 v1, 1, v0
	v_lshl_add_u32 v4, v0, 3, 0
	s_and_saveexec_b64 s[2:3], s[0:1]
	s_cbranch_execz .LBB136_20
; %bb.16:
	s_abs_i32 s12, s15
	v_cvt_f32_u32_e32 v2, s12
	s_load_dword s14, s[4:5], 0x4c
	s_ashr_i32 s20, s15, 31
	s_sub_i32 s15, 0, s12
	v_rcp_iflag_f32_e32 v2, v2
	v_lshlrev_b32_e32 v5, 1, v0
	s_waitcnt lgkmcnt(0)
	s_and_b32 s21, s14, 0xffff
	v_lshl_add_u32 v6, v0, 3, 0
	v_mul_f32_e32 v2, 0x4f7ffffe, v2
	v_cvt_u32_f32_e32 v2, v2
	s_mov_b64 s[8:9], 0
	s_lshl_b32 s22, s21, 1
	s_lshl_b32 s23, s21, 3
	v_mul_lo_u32 v3, s15, v2
	v_mul_hi_u32 v3, v2, v3
	v_add_u32_e32 v7, v2, v3
	s_mov_b32 s24, 0xff800000
	v_mov_b32_e32 v2, 0xff800000
	v_mov_b32_e32 v8, v0
	s_branch .LBB136_18
.LBB136_17:                             ;   in Loop: Header=BB136_18 Depth=1
	s_or_b64 exec, exec, s[14:15]
	v_add_u32_e32 v8, s21, v8
	v_cmp_le_i32_e32 vcc, s7, v8
	v_add_u32_e32 v5, s22, v5
	s_or_b64 s[8:9], vcc, s[8:9]
	v_add_u32_e32 v6, s23, v6
	s_andn2_b64 exec, exec, s[8:9]
	s_cbranch_execz .LBB136_20
.LBB136_18:                             ; =>This Inner Loop Header: Depth=1
	v_mul_hi_u32 v3, v5, v7
	v_mul_lo_u32 v9, v3, s12
	v_sub_u32_e32 v9, v5, v9
	v_add_u32_e32 v10, 1, v3
	v_cmp_le_u32_e32 vcc, s12, v9
	v_cndmask_b32_e32 v3, v3, v10, vcc
	v_subrev_u32_e32 v10, s12, v9
	v_cndmask_b32_e32 v9, v9, v10, vcc
	v_add_u32_e32 v10, 1, v3
	v_cmp_le_u32_e32 vcc, s12, v9
	v_cndmask_b32_e32 v3, v3, v10, vcc
	v_xor_b32_e32 v3, s20, v3
	v_subrev_u32_e32 v3, s20, v3
	v_lshl_add_u32 v3, v3, 2, s28
	ds_read_b32 v3, v3
	s_waitcnt lgkmcnt(0)
	v_cmp_neq_f32_e32 vcc, s24, v3
	s_and_saveexec_b64 s[14:15], vcc
	s_cbranch_execz .LBB136_17
; %bb.19:                               ;   in Loop: Header=BB136_18 Depth=1
	v_mov_b32_e32 v3, v2
	ds_write_b64 v6, v[2:3]
	s_branch .LBB136_17
.LBB136_20:
	s_or_b64 exec, exec, s[2:3]
	s_cmp_lt_i32 s13, 1
	s_waitcnt lgkmcnt(0)
	s_barrier
	s_cbranch_scc1 .LBB136_27
; %bb.21:
	s_add_u32 s2, s4, 64
	s_addc_u32 s3, s5, 0
	s_mov_b32 s12, 0
	v_mov_b32_e32 v5, 0xff800000
                                        ; implicit-def: $vgpr3
                                        ; implicit-def: $vgpr2
	s_branch .LBB136_23
.LBB136_22:                             ;   in Loop: Header=BB136_23 Depth=1
	s_or_b64 exec, exec, s[8:9]
	v_mov_b32_dpp v9, v7 quad_perm:[1,0,3,2] row_mask:0xf bank_mask:0xf
	v_cmp_lt_f32_e32 vcc, v7, v9
	v_cndmask_b32_e32 v7, v7, v9, vcc
	v_mov_b32_dpp v8, v6 quad_perm:[1,0,3,2] row_mask:0xf bank_mask:0xf
	v_cndmask_b32_e32 v6, v6, v8, vcc
	v_mov_b32_dpp v9, v7 quad_perm:[2,3,0,1] row_mask:0xf bank_mask:0xf
	v_cmp_gt_f32_e32 vcc, v9, v7
	v_cndmask_b32_e32 v7, v7, v9, vcc
	v_mov_b32_dpp v8, v6 quad_perm:[2,3,0,1] row_mask:0xf bank_mask:0xf
	v_cndmask_b32_e32 v6, v6, v8, vcc
	v_mov_b32_dpp v9, v7 row_half_mirror row_mask:0xf bank_mask:0xf
	v_cmp_gt_f32_e32 vcc, v9, v7
	v_cndmask_b32_e32 v7, v7, v9, vcc
	v_mov_b32_dpp v8, v6 row_half_mirror row_mask:0xf bank_mask:0xf
	v_cndmask_b32_e32 v6, v6, v8, vcc
	v_mov_b32_dpp v9, v7 row_mirror row_mask:0xf bank_mask:0xf
	v_cmp_gt_f32_e32 vcc, v9, v7
	v_cndmask_b32_e32 v7, v7, v9, vcc
	v_mov_b32_dpp v8, v6 row_mirror row_mask:0xf bank_mask:0xf
	v_cndmask_b32_e32 v6, v6, v8, vcc
	v_mov_b32_dpp v9, v7 row_bcast:15 row_mask:0xf bank_mask:0xf
	v_cmp_gt_f32_e32 vcc, v9, v7
	v_mov_b32_dpp v8, v6 row_bcast:15 row_mask:0xf bank_mask:0xf
	v_cndmask_b32_e32 v7, v7, v9, vcc
	v_cndmask_b32_e32 v6, v6, v8, vcc
	s_nop 0
	v_mov_b32_dpp v9, v7 row_bcast:31 row_mask:0xf bank_mask:0xf
	v_mov_b32_dpp v8, v6 row_bcast:31 row_mask:0xf bank_mask:0xf
	v_cmp_gt_f32_e32 vcc, v9, v7
	v_cndmask_b32_e32 v6, v6, v8, vcc
	v_readlane_b32 s8, v6, 63
	s_ashr_i32 s9, s8, 31
	s_lshl_b64 s[14:15], s[8:9], 2
	s_add_u32 s14, s16, s14
	s_addc_u32 s15, s17, s15
	s_load_dword s9, s[14:15], 0x0
	v_cndmask_b32_e32 v6, v7, v9, vcc
	v_readlane_b32 s14, v6, 63
	v_cmp_eq_u32_e32 vcc, s12, v0
	s_add_i32 s12, s12, 1
	s_waitcnt lgkmcnt(0)
	v_mov_b32_e32 v6, s9
	s_lshl_b32 s9, s8, 2
	s_add_i32 s9, s9, 0
	v_mov_b32_e32 v7, s9
	v_sub_f32_e32 v6, s14, v6
	ds_write_b32 v7, v5
	v_mov_b32_e32 v7, s8
	v_cndmask_b32_e32 v2, v2, v7, vcc
	s_cmp_eq_u32 s12, s13
	v_cndmask_b32_e32 v3, v3, v6, vcc
	s_cbranch_scc1 .LBB136_28
.LBB136_23:                             ; =>This Loop Header: Depth=1
                                        ;     Child Loop BB136_25 Depth 2
	v_mov_b32_e32 v6, s12
	v_mov_b32_e32 v7, 0xff800000
	s_and_saveexec_b64 s[8:9], s[0:1]
	s_cbranch_execz .LBB136_22
; %bb.24:                               ;   in Loop: Header=BB136_23 Depth=1
	s_load_dword s20, s[2:3], 0xc
	s_mov_b64 s[14:15], 0
	v_mov_b32_e32 v6, s12
	v_mov_b32_e32 v7, 0xff800000
	;; [unrolled: 1-line block ×3, first 2 shown]
	s_waitcnt lgkmcnt(0)
	s_and_b32 s20, s20, 0xffff
	s_lshl_b32 s21, s20, 1
	s_lshl_b32 s22, s20, 3
	v_mov_b32_e32 v9, v1
	v_mov_b32_e32 v10, v0
.LBB136_25:                             ;   Parent Loop BB136_23 Depth=1
                                        ; =>  This Inner Loop Header: Depth=2
	ds_read_b64 v[12:13], v8
	v_add_u32_e32 v10, s20, v10
	v_cmp_le_i32_e32 vcc, s7, v10
	s_or_b64 s[14:15], vcc, s[14:15]
	v_add_u32_e32 v11, 1, v9
	s_waitcnt lgkmcnt(0)
	v_cmp_gt_f32_e32 vcc, v12, v7
	v_cndmask_b32_e32 v7, v7, v12, vcc
	v_cndmask_b32_e32 v6, v6, v9, vcc
	v_cmp_gt_f32_e32 vcc, v13, v7
	v_add_u32_e32 v8, s22, v8
	v_cndmask_b32_e32 v7, v7, v13, vcc
	v_add_u32_e32 v9, s21, v9
	v_cndmask_b32_e32 v6, v6, v11, vcc
	s_andn2_b64 exec, exec, s[14:15]
	s_cbranch_execnz .LBB136_25
; %bb.26:                               ;   in Loop: Header=BB136_23 Depth=1
	s_or_b64 exec, exec, s[14:15]
	s_branch .LBB136_22
.LBB136_27:
                                        ; implicit-def: $vgpr3
                                        ; implicit-def: $vgpr2
.LBB136_28:
	v_cmp_gt_i32_e32 vcc, s13, v0
	s_and_saveexec_b64 s[0:1], vcc
	s_cbranch_execz .LBB136_31
; %bb.29:
	s_load_dword s2, s[4:5], 0x38
	s_load_dwordx2 s[0:1], s[4:5], 0x20
	s_ashr_i32 s3, s6, 31
	s_load_dword s4, s[4:5], 0x4c
	v_mov_b32_e32 v4, s19
	s_waitcnt lgkmcnt(0)
	v_mul_f32_e32 v1, s2, v3
	s_mul_i32 s1, s6, s1
	s_mul_hi_u32 s2, s6, s0
	s_add_i32 s1, s2, s1
	s_mul_i32 s3, s3, s0
	s_add_i32 s5, s1, s3
	s_mul_i32 s2, s6, s0
	s_and_b32 s3, s4, 0xffff
	s_mov_b64 s[0:1], 0
	v_mov_b32_e32 v3, s5
	v_mov_b32_e32 v5, s11
.LBB136_30:                             ; =>This Inner Loop Header: Depth=1
	v_ashrrev_i32_e32 v7, 31, v0
	v_add_co_u32_e32 v6, vcc, s2, v0
	v_addc_co_u32_e32 v7, vcc, v3, v7, vcc
	v_add_u32_e32 v0, s3, v0
	v_cmp_le_i32_e32 vcc, s13, v0
	v_lshlrev_b64 v[6:7], 2, v[6:7]
	s_or_b64 s[0:1], vcc, s[0:1]
	v_add_co_u32_e32 v8, vcc, s18, v6
	v_addc_co_u32_e32 v9, vcc, v4, v7, vcc
	v_add_co_u32_e32 v6, vcc, s10, v6
	v_addc_co_u32_e32 v7, vcc, v5, v7, vcc
	global_store_dword v[8:9], v1, off
	global_store_dword v[6:7], v2, off
	s_andn2_b64 exec, exec, s[0:1]
	s_cbranch_execnz .LBB136_30
.LBB136_31:
	s_endpgm
	.section	.rodata,"a",@progbits
	.p2align	6, 0x0
	.amdhsa_kernel _ZN5aiter19grouped_topk_kernelIfDv2_fLi4ELb0ELb1ELb0EEEvPT_PKS2_PfPimiiiif
		.amdhsa_group_segment_fixed_size 0
		.amdhsa_private_segment_fixed_size 0
		.amdhsa_kernarg_size 320
		.amdhsa_user_sgpr_count 6
		.amdhsa_user_sgpr_private_segment_buffer 1
		.amdhsa_user_sgpr_dispatch_ptr 0
		.amdhsa_user_sgpr_queue_ptr 0
		.amdhsa_user_sgpr_kernarg_segment_ptr 1
		.amdhsa_user_sgpr_dispatch_id 0
		.amdhsa_user_sgpr_flat_scratch_init 0
		.amdhsa_user_sgpr_kernarg_preload_length 0
		.amdhsa_user_sgpr_kernarg_preload_offset 0
		.amdhsa_user_sgpr_private_segment_size 0
		.amdhsa_uses_dynamic_stack 0
		.amdhsa_system_sgpr_private_segment_wavefront_offset 0
		.amdhsa_system_sgpr_workgroup_id_x 1
		.amdhsa_system_sgpr_workgroup_id_y 0
		.amdhsa_system_sgpr_workgroup_id_z 0
		.amdhsa_system_sgpr_workgroup_info 0
		.amdhsa_system_vgpr_workitem_id 0
		.amdhsa_next_free_vgpr 23
		.amdhsa_next_free_sgpr 31
		.amdhsa_accum_offset 24
		.amdhsa_reserve_vcc 1
		.amdhsa_reserve_flat_scratch 0
		.amdhsa_float_round_mode_32 0
		.amdhsa_float_round_mode_16_64 0
		.amdhsa_float_denorm_mode_32 3
		.amdhsa_float_denorm_mode_16_64 3
		.amdhsa_dx10_clamp 1
		.amdhsa_ieee_mode 1
		.amdhsa_fp16_overflow 0
		.amdhsa_tg_split 0
		.amdhsa_exception_fp_ieee_invalid_op 0
		.amdhsa_exception_fp_denorm_src 0
		.amdhsa_exception_fp_ieee_div_zero 0
		.amdhsa_exception_fp_ieee_overflow 0
		.amdhsa_exception_fp_ieee_underflow 0
		.amdhsa_exception_fp_ieee_inexact 0
		.amdhsa_exception_int_div_zero 0
	.end_amdhsa_kernel
	.section	.text._ZN5aiter19grouped_topk_kernelIfDv2_fLi4ELb0ELb1ELb0EEEvPT_PKS2_PfPimiiiif,"axG",@progbits,_ZN5aiter19grouped_topk_kernelIfDv2_fLi4ELb0ELb1ELb0EEEvPT_PKS2_PfPimiiiif,comdat
.Lfunc_end136:
	.size	_ZN5aiter19grouped_topk_kernelIfDv2_fLi4ELb0ELb1ELb0EEEvPT_PKS2_PfPimiiiif, .Lfunc_end136-_ZN5aiter19grouped_topk_kernelIfDv2_fLi4ELb0ELb1ELb0EEEvPT_PKS2_PfPimiiiif
                                        ; -- End function
	.section	.AMDGPU.csdata,"",@progbits
; Kernel info:
; codeLenInByte = 2040
; NumSgprs: 35
; NumVgprs: 23
; NumAgprs: 0
; TotalNumVgprs: 23
; ScratchSize: 0
; MemoryBound: 0
; FloatMode: 240
; IeeeMode: 1
; LDSByteSize: 0 bytes/workgroup (compile time only)
; SGPRBlocks: 4
; VGPRBlocks: 2
; NumSGPRsForWavesPerEU: 35
; NumVGPRsForWavesPerEU: 23
; AccumOffset: 24
; Occupancy: 8
; WaveLimiterHint : 0
; COMPUTE_PGM_RSRC2:SCRATCH_EN: 0
; COMPUTE_PGM_RSRC2:USER_SGPR: 6
; COMPUTE_PGM_RSRC2:TRAP_HANDLER: 0
; COMPUTE_PGM_RSRC2:TGID_X_EN: 1
; COMPUTE_PGM_RSRC2:TGID_Y_EN: 0
; COMPUTE_PGM_RSRC2:TGID_Z_EN: 0
; COMPUTE_PGM_RSRC2:TIDIG_COMP_CNT: 0
; COMPUTE_PGM_RSRC3_GFX90A:ACCUM_OFFSET: 5
; COMPUTE_PGM_RSRC3_GFX90A:TG_SPLIT: 0
	.section	.text._ZN5aiter19grouped_topk_kernelIN3c104HalfEDv2_fLi4ELb0ELb1ELb0EEEvPT_PKS4_PfPimiiiif,"axG",@progbits,_ZN5aiter19grouped_topk_kernelIN3c104HalfEDv2_fLi4ELb0ELb1ELb0EEEvPT_PKS4_PfPimiiiif,comdat
	.protected	_ZN5aiter19grouped_topk_kernelIN3c104HalfEDv2_fLi4ELb0ELb1ELb0EEEvPT_PKS4_PfPimiiiif ; -- Begin function _ZN5aiter19grouped_topk_kernelIN3c104HalfEDv2_fLi4ELb0ELb1ELb0EEEvPT_PKS4_PfPimiiiif
	.globl	_ZN5aiter19grouped_topk_kernelIN3c104HalfEDv2_fLi4ELb0ELb1ELb0EEEvPT_PKS4_PfPimiiiif
	.p2align	8
	.type	_ZN5aiter19grouped_topk_kernelIN3c104HalfEDv2_fLi4ELb0ELb1ELb0EEEvPT_PKS4_PfPimiiiif,@function
_ZN5aiter19grouped_topk_kernelIN3c104HalfEDv2_fLi4ELb0ELb1ELb0EEEvPT_PKS4_PfPimiiiif: ; @_ZN5aiter19grouped_topk_kernelIN3c104HalfEDv2_fLi4ELb0ELb1ELb0EEEvPT_PKS4_PfPimiiiif
; %bb.0:
	s_load_dwordx4 s[12:15], s[4:5], 0x28
	s_load_dwordx4 s[16:19], s[4:5], 0x8
	s_load_dwordx2 s[10:11], s[4:5], 0x18
	v_lshl_add_u32 v4, v0, 3, 0
	s_waitcnt lgkmcnt(0)
	s_lshr_b32 s0, s12, 31
	s_add_i32 s0, s12, s0
	s_ashr_i32 s7, s0, 1
	v_cmp_gt_i32_e64 s[0:1], s7, v0
	s_and_saveexec_b64 s[8:9], s[0:1]
	s_cbranch_execz .LBB137_3
; %bb.1:
	s_load_dwordx2 s[2:3], s[4:5], 0x0
	s_load_dword s22, s[4:5], 0x4c
	s_mul_i32 s20, s6, s12
	s_ashr_i32 s21, s20, 31
	s_lshl_b64 s[20:21], s[20:21], 1
	s_waitcnt lgkmcnt(0)
	s_add_u32 s15, s2, s20
	s_addc_u32 s2, s3, s21
	s_and_b32 s22, s22, 0xffff
	s_mov_b32 s3, 0
	v_lshlrev_b32_e32 v2, 2, v0
	v_mov_b32_e32 v1, 0
	s_lshl_b32 s23, s22, 2
	v_lshl_add_u32 v3, v0, 3, 0
	s_lshl_b32 s24, s22, 3
	s_mov_b64 s[20:21], 0
	v_mov_b32_e32 v5, s2
	v_mov_b32_e32 v6, s17
	s_mov_b32 s25, 0x3fb8aa3b
	s_mov_b32 s26, 0x32a5705f
	;; [unrolled: 1-line block ×4, first 2 shown]
	v_mov_b32_e32 v7, 0x7f800000
	v_mov_b32_e32 v8, s3
	;; [unrolled: 1-line block ×3, first 2 shown]
.LBB137_2:                              ; =>This Inner Loop Header: Depth=1
	v_add_co_u32_e32 v10, vcc, s15, v2
	v_addc_co_u32_e32 v11, vcc, v5, v1, vcc
	v_add_co_u32_e32 v12, vcc, s16, v2
	v_addc_co_u32_e32 v13, vcc, v6, v1, vcc
	global_load_dword v14, v[10:11], off
	global_load_dword v15, v[12:13], off
	v_add_co_u32_e32 v2, vcc, s23, v2
	v_add_u32_e32 v9, s22, v9
	v_addc_co_u32_e32 v1, vcc, v1, v8, vcc
	v_cmp_le_i32_e32 vcc, s7, v9
	s_or_b64 s[20:21], vcc, s[20:21]
	s_waitcnt vmcnt(1)
	v_cvt_f32_f16_e64 v12, -v14
	v_cvt_f32_f16_sdwa v13, -v14 dst_sel:DWORD dst_unused:UNUSED_PAD src0_sel:WORD_1
	s_waitcnt vmcnt(0)
	v_cvt_f32_f16_e32 v10, v15
	v_cvt_f32_f16_sdwa v11, v15 dst_sel:DWORD dst_unused:UNUSED_PAD src0_sel:WORD_1
	v_mul_f32_e32 v15, 0x3fb8aa3b, v12
	v_mul_f32_e32 v16, 0x3fb8aa3b, v13
	v_fma_mix_f32 v17, -v14, s25, -v15 op_sel_hi:[1,0,0]
	v_rndne_f32_e32 v18, v15
	v_fma_mix_f32 v19, -v14, s25, -v16 op_sel:[1,0,0] op_sel_hi:[1,0,0]
	v_rndne_f32_e32 v20, v16
	v_fma_mix_f32 v17, -v14, s26, v17 op_sel_hi:[1,0,0]
	v_sub_f32_e32 v15, v15, v18
	v_fma_mix_f32 v14, -v14, s26, v19 op_sel:[1,0,0] op_sel_hi:[1,0,0]
	v_sub_f32_e32 v16, v16, v20
	v_add_f32_e32 v15, v15, v17
	v_add_f32_e32 v14, v16, v14
	v_cvt_i32_f32_e32 v18, v18
	v_cvt_i32_f32_e32 v19, v20
	v_exp_f32_e32 v15, v15
	v_exp_f32_e32 v14, v14
	v_cmp_ngt_f32_e32 vcc, s27, v13
	v_cmp_ngt_f32_e64 s[2:3], s27, v12
	v_ldexp_f32 v15, v15, v18
	v_ldexp_f32 v14, v14, v19
	v_cndmask_b32_e64 v15, 0, v15, s[2:3]
	v_cndmask_b32_e32 v14, 0, v14, vcc
	v_cmp_nlt_f32_e32 vcc, s28, v13
	v_cmp_nlt_f32_e64 s[2:3], s28, v12
	v_cndmask_b32_e64 v12, v7, v15, s[2:3]
	v_cndmask_b32_e32 v13, v7, v14, vcc
	v_pk_add_f32 v[12:13], v[12:13], 1.0 op_sel_hi:[1,0]
	v_div_scale_f32 v14, s[2:3], v13, v13, 1.0
	v_div_scale_f32 v16, s[2:3], v12, v12, 1.0
	v_rcp_f32_e32 v18, v14
	v_rcp_f32_e32 v19, v16
	v_div_scale_f32 v15, vcc, 1.0, v13, 1.0
	v_fma_f32 v20, -v14, v18, 1.0
	v_fma_f32 v21, -v16, v19, 1.0
	v_fmac_f32_e32 v18, v20, v18
	v_div_scale_f32 v17, s[2:3], 1.0, v12, 1.0
	v_fmac_f32_e32 v19, v21, v19
	v_mul_f32_e32 v20, v15, v18
	v_mul_f32_e32 v21, v17, v19
	v_fma_f32 v22, -v14, v20, v15
	v_fma_f32 v23, -v16, v21, v17
	v_fmac_f32_e32 v20, v22, v18
	v_fmac_f32_e32 v21, v23, v19
	v_fma_f32 v14, -v14, v20, v15
	v_fma_f32 v15, -v16, v21, v17
	v_div_fmas_f32 v14, v14, v18, v20
	s_mov_b64 vcc, s[2:3]
	v_div_fixup_f32 v13, v14, v13, 1.0
	v_div_fmas_f32 v14, v15, v19, v21
	v_div_fixup_f32 v12, v14, v12, 1.0
	v_pk_add_f32 v[10:11], v[12:13], v[10:11]
	ds_write_b64 v3, v[10:11]
	v_add_u32_e32 v3, s24, v3
	s_andn2_b64 exec, exec, s[20:21]
	s_cbranch_execnz .LBB137_2
.LBB137_3:
	s_or_b64 exec, exec, s[8:9]
	s_ashr_i32 s2, s12, 31
	s_lshr_b32 s3, s2, 30
	s_add_i32 s3, s12, s3
	s_ashr_i32 s15, s3, 2
	s_lshl_b32 s3, s12, 2
	s_add_i32 s28, s3, 0
	v_cmp_gt_u32_e32 vcc, 64, v0
	s_waitcnt lgkmcnt(0)
	s_barrier
	s_and_saveexec_b64 s[20:21], vcc
	s_cbranch_execz .LBB137_12
; %bb.4:
	s_load_dword s8, s[4:5], 0x4c
	v_lshrrev_b32_e32 v2, 4, v0
	s_lshr_b32 s2, s2, 29
	v_and_b32_e32 v1, 15, v0
	s_add_i32 s2, s12, s2
	s_waitcnt lgkmcnt(0)
	s_bfe_u32 s29, s8, 0xc0004
	v_mul_lo_u32 v3, s15, v2
	s_ashr_i32 s12, s2, 3
	v_lshlrev_b32_e32 v3, 2, v3
	v_lshlrev_b32_e32 v5, 3, v1
	s_mul_i32 s8, s15, s29
	v_cmp_gt_i32_e32 vcc, s12, v1
	v_cmp_eq_u32_e64 s[2:3], 0, v1
	v_add3_u32 v3, v3, v5, 0
	s_lshl_b32 s30, s8, 2
	s_mov_b64 s[22:23], 0
	s_branch .LBB137_6
.LBB137_5:                              ;   in Loop: Header=BB137_6 Depth=1
	s_or_b64 exec, exec, s[8:9]
	v_add_u32_e32 v2, s29, v2
	v_cmp_lt_u32_e64 s[8:9], 3, v2
	s_or_b64 s[22:23], s[8:9], s[22:23]
	v_add_u32_e32 v3, s30, v3
	s_andn2_b64 exec, exec, s[22:23]
	s_cbranch_execz .LBB137_12
.LBB137_6:                              ; =>This Loop Header: Depth=1
                                        ;     Child Loop BB137_8 Depth 2
	v_mov_b32_e32 v5, 0xff800000
	v_mov_b32_e32 v8, 0xff800000
	s_and_saveexec_b64 s[24:25], vcc
	s_cbranch_execz .LBB137_10
; %bb.7:                                ;   in Loop: Header=BB137_6 Depth=1
	s_mov_b64 s[26:27], 0
	v_mov_b32_e32 v5, 0xff800000
	v_mov_b32_e32 v6, v3
	;; [unrolled: 1-line block ×4, first 2 shown]
.LBB137_8:                              ;   Parent Loop BB137_6 Depth=1
                                        ; =>  This Inner Loop Header: Depth=2
	ds_read_b64 v[10:11], v6
	v_add_u32_e32 v7, 16, v7
	v_max_f32_e32 v8, v8, v8
	v_cmp_le_i32_e64 s[8:9], s12, v7
	s_or_b64 s[26:27], s[8:9], s[26:27]
	s_waitcnt lgkmcnt(0)
	v_max_f32_e32 v12, v10, v10
	v_max_f32_e32 v8, v12, v8
	v_cmp_gt_f32_e64 s[8:9], v10, v5
	v_max_f32_e32 v9, v5, v5
	v_cndmask_b32_e64 v8, v8, v5, s[8:9]
	v_max_f32_e32 v13, v11, v11
	v_max_f32_e32 v9, v12, v9
	;; [unrolled: 1-line block ×4, first 2 shown]
	v_cmp_gt_f32_e64 s[8:9], v11, v9
	v_add_u32_e32 v6, 0x80, v6
	v_max_f32_e32 v5, v13, v9
	v_cndmask_b32_e64 v8, v8, v9, s[8:9]
	s_andn2_b64 exec, exec, s[26:27]
	s_cbranch_execnz .LBB137_8
; %bb.9:                                ;   in Loop: Header=BB137_6 Depth=1
	s_or_b64 exec, exec, s[26:27]
.LBB137_10:                             ;   in Loop: Header=BB137_6 Depth=1
	s_or_b64 exec, exec, s[24:25]
	s_and_saveexec_b64 s[8:9], s[2:3]
	s_cbranch_execz .LBB137_5
; %bb.11:                               ;   in Loop: Header=BB137_6 Depth=1
	v_lshl_add_u32 v6, v2, 2, s28
	v_add_f32_e32 v5, v8, v5
	ds_write_b32 v6, v5
	s_branch .LBB137_5
.LBB137_12:
	s_or_b64 exec, exec, s[20:21]
	s_cmp_lt_i32 s14, 1
	s_waitcnt lgkmcnt(0)
	s_barrier
	s_cbranch_scc1 .LBB137_15
; %bb.13:
	v_mov_b32_e32 v1, s28
	s_mov_b32 s2, 0xff800000
	v_mov_b32_e32 v2, 0xff800000
.LBB137_14:                             ; =>This Inner Loop Header: Depth=1
	ds_read2_b32 v[6:7], v1 offset1:1
	ds_read2_b32 v[8:9], v1 offset0:2 offset1:3
	s_waitcnt lgkmcnt(1)
	v_cmp_nlg_f32_e32 vcc, s2, v6
	v_cndmask_b32_e64 v3, 0, 1, vcc
	v_cmp_lg_f32_e32 vcc, s2, v6
	v_cndmask_b32_e32 v5, v2, v6, vcc
	v_readfirstlane_b32 s3, v3
	v_cmp_gt_f32_e32 vcc, v7, v5
	s_lshl_b32 s3, s3, 2
	v_cndmask_b32_e32 v3, v5, v7, vcc
	s_and_b64 s[8:9], vcc, exec
	s_waitcnt lgkmcnt(0)
	v_cmp_gt_f32_e32 vcc, v8, v3
	v_cndmask_b32_e32 v3, v3, v8, vcc
	s_cselect_b32 s3, 1, s3
	s_and_b64 s[8:9], vcc, exec
	v_cmp_ngt_f32_e32 vcc, v9, v3
	s_cselect_b32 s3, 2, s3
	s_and_b64 s[8:9], vcc, exec
	s_cselect_b32 s3, s3, 3
	s_lshl_b32 s3, s3, 2
	s_add_i32 s3, s28, s3
	s_add_i32 s14, s14, -1
	v_mov_b32_e32 v3, s3
	s_cmp_lg_u32 s14, 0
	ds_write_b32 v3, v2
	s_cbranch_scc1 .LBB137_14
.LBB137_15:
	v_lshlrev_b32_e32 v1, 1, v0
	s_and_saveexec_b64 s[2:3], s[0:1]
	s_cbranch_execz .LBB137_20
; %bb.16:
	s_abs_i32 s12, s15
	v_cvt_f32_u32_e32 v2, s12
	s_load_dword s14, s[4:5], 0x4c
	s_ashr_i32 s20, s15, 31
	s_sub_i32 s15, 0, s12
	v_rcp_iflag_f32_e32 v2, v2
	v_lshlrev_b32_e32 v5, 1, v0
	s_waitcnt lgkmcnt(0)
	s_and_b32 s21, s14, 0xffff
	v_lshl_add_u32 v6, v0, 3, 0
	v_mul_f32_e32 v2, 0x4f7ffffe, v2
	v_cvt_u32_f32_e32 v2, v2
	s_mov_b64 s[8:9], 0
	s_lshl_b32 s22, s21, 1
	s_lshl_b32 s23, s21, 3
	v_mul_lo_u32 v3, s15, v2
	v_mul_hi_u32 v3, v2, v3
	v_add_u32_e32 v7, v2, v3
	s_mov_b32 s24, 0xff800000
	v_mov_b32_e32 v2, 0xff800000
	v_mov_b32_e32 v8, v0
	s_branch .LBB137_18
.LBB137_17:                             ;   in Loop: Header=BB137_18 Depth=1
	s_or_b64 exec, exec, s[14:15]
	v_add_u32_e32 v8, s21, v8
	v_cmp_le_i32_e32 vcc, s7, v8
	v_add_u32_e32 v5, s22, v5
	s_or_b64 s[8:9], vcc, s[8:9]
	v_add_u32_e32 v6, s23, v6
	s_andn2_b64 exec, exec, s[8:9]
	s_cbranch_execz .LBB137_20
.LBB137_18:                             ; =>This Inner Loop Header: Depth=1
	v_mul_hi_u32 v3, v5, v7
	v_mul_lo_u32 v9, v3, s12
	v_sub_u32_e32 v9, v5, v9
	v_add_u32_e32 v10, 1, v3
	v_cmp_le_u32_e32 vcc, s12, v9
	v_cndmask_b32_e32 v3, v3, v10, vcc
	v_subrev_u32_e32 v10, s12, v9
	v_cndmask_b32_e32 v9, v9, v10, vcc
	v_add_u32_e32 v10, 1, v3
	v_cmp_le_u32_e32 vcc, s12, v9
	v_cndmask_b32_e32 v3, v3, v10, vcc
	v_xor_b32_e32 v3, s20, v3
	v_subrev_u32_e32 v3, s20, v3
	v_lshl_add_u32 v3, v3, 2, s28
	ds_read_b32 v3, v3
	s_waitcnt lgkmcnt(0)
	v_cmp_neq_f32_e32 vcc, s24, v3
	s_and_saveexec_b64 s[14:15], vcc
	s_cbranch_execz .LBB137_17
; %bb.19:                               ;   in Loop: Header=BB137_18 Depth=1
	v_mov_b32_e32 v3, v2
	ds_write_b64 v6, v[2:3]
	s_branch .LBB137_17
.LBB137_20:
	s_or_b64 exec, exec, s[2:3]
	s_cmp_lt_i32 s13, 1
	s_waitcnt lgkmcnt(0)
	s_barrier
	s_cbranch_scc1 .LBB137_27
; %bb.21:
	s_add_u32 s2, s4, 64
	s_addc_u32 s3, s5, 0
	s_mov_b32 s12, 0
	v_mov_b32_e32 v5, 0
	v_mov_b32_e32 v6, 0xff800000
                                        ; implicit-def: $vgpr3
                                        ; implicit-def: $vgpr2
	s_branch .LBB137_23
.LBB137_22:                             ;   in Loop: Header=BB137_23 Depth=1
	s_or_b64 exec, exec, s[8:9]
	v_mov_b32_dpp v10, v8 quad_perm:[1,0,3,2] row_mask:0xf bank_mask:0xf
	v_cmp_lt_f32_e32 vcc, v8, v10
	v_cndmask_b32_e32 v8, v8, v10, vcc
	v_mov_b32_dpp v9, v7 quad_perm:[1,0,3,2] row_mask:0xf bank_mask:0xf
	v_cndmask_b32_e32 v7, v7, v9, vcc
	v_mov_b32_dpp v10, v8 quad_perm:[2,3,0,1] row_mask:0xf bank_mask:0xf
	v_cmp_gt_f32_e32 vcc, v10, v8
	v_cndmask_b32_e32 v8, v8, v10, vcc
	v_mov_b32_dpp v9, v7 quad_perm:[2,3,0,1] row_mask:0xf bank_mask:0xf
	v_cndmask_b32_e32 v7, v7, v9, vcc
	v_mov_b32_dpp v10, v8 row_half_mirror row_mask:0xf bank_mask:0xf
	v_cmp_gt_f32_e32 vcc, v10, v8
	v_cndmask_b32_e32 v8, v8, v10, vcc
	v_mov_b32_dpp v9, v7 row_half_mirror row_mask:0xf bank_mask:0xf
	v_cndmask_b32_e32 v7, v7, v9, vcc
	v_mov_b32_dpp v10, v8 row_mirror row_mask:0xf bank_mask:0xf
	v_cmp_gt_f32_e32 vcc, v10, v8
	v_cndmask_b32_e32 v8, v8, v10, vcc
	v_mov_b32_dpp v9, v7 row_mirror row_mask:0xf bank_mask:0xf
	v_cndmask_b32_e32 v7, v7, v9, vcc
	v_mov_b32_dpp v10, v8 row_bcast:15 row_mask:0xf bank_mask:0xf
	v_cmp_gt_f32_e32 vcc, v10, v8
	v_mov_b32_dpp v9, v7 row_bcast:15 row_mask:0xf bank_mask:0xf
	v_cndmask_b32_e32 v8, v8, v10, vcc
	v_cndmask_b32_e32 v7, v7, v9, vcc
	s_nop 0
	v_mov_b32_dpp v10, v8 row_bcast:31 row_mask:0xf bank_mask:0xf
	v_mov_b32_dpp v9, v7 row_bcast:31 row_mask:0xf bank_mask:0xf
	v_cmp_gt_f32_e32 vcc, v10, v8
	v_cndmask_b32_e32 v7, v7, v9, vcc
	v_readlane_b32 s8, v7, 63
	s_ashr_i32 s9, s8, 31
	s_lshl_b64 s[14:15], s[8:9], 1
	s_add_u32 s14, s16, s14
	s_addc_u32 s15, s17, s15
	global_load_ushort v7, v5, s[14:15]
	v_cndmask_b32_e32 v8, v8, v10, vcc
	v_readlane_b32 s9, v8, 63
	v_mov_b32_e32 v8, s8
	s_lshl_b32 s8, s8, 2
	v_cmp_eq_u32_e32 vcc, s12, v0
	s_add_i32 s12, s12, 1
	s_add_i32 s8, s8, 0
	v_cndmask_b32_e32 v2, v2, v8, vcc
	v_mov_b32_e32 v8, s8
	s_cmp_eq_u32 s12, s13
	ds_write_b32 v8, v6
	s_waitcnt vmcnt(0)
	v_cvt_f32_f16_e32 v7, v7
	v_sub_f32_e32 v7, s9, v7
	v_cndmask_b32_e32 v3, v3, v7, vcc
	s_cbranch_scc1 .LBB137_28
.LBB137_23:                             ; =>This Loop Header: Depth=1
                                        ;     Child Loop BB137_25 Depth 2
	v_mov_b32_e32 v7, s12
	v_mov_b32_e32 v8, 0xff800000
	s_and_saveexec_b64 s[8:9], s[0:1]
	s_cbranch_execz .LBB137_22
; %bb.24:                               ;   in Loop: Header=BB137_23 Depth=1
	s_load_dword s20, s[2:3], 0xc
	s_mov_b64 s[14:15], 0
	v_mov_b32_e32 v7, s12
	v_mov_b32_e32 v8, 0xff800000
	;; [unrolled: 1-line block ×3, first 2 shown]
	s_waitcnt lgkmcnt(0)
	s_and_b32 s20, s20, 0xffff
	s_lshl_b32 s21, s20, 1
	s_lshl_b32 s22, s20, 3
	v_mov_b32_e32 v10, v1
	v_mov_b32_e32 v11, v0
.LBB137_25:                             ;   Parent Loop BB137_23 Depth=1
                                        ; =>  This Inner Loop Header: Depth=2
	ds_read_b64 v[12:13], v9
	v_add_u32_e32 v11, s20, v11
	v_cmp_le_i32_e32 vcc, s7, v11
	s_or_b64 s[14:15], vcc, s[14:15]
	v_add_u32_e32 v14, 1, v10
	s_waitcnt lgkmcnt(0)
	v_cmp_gt_f32_e32 vcc, v12, v8
	v_cndmask_b32_e32 v8, v8, v12, vcc
	v_cndmask_b32_e32 v7, v7, v10, vcc
	v_cmp_gt_f32_e32 vcc, v13, v8
	v_add_u32_e32 v9, s22, v9
	v_cndmask_b32_e32 v8, v8, v13, vcc
	v_add_u32_e32 v10, s21, v10
	v_cndmask_b32_e32 v7, v7, v14, vcc
	s_andn2_b64 exec, exec, s[14:15]
	s_cbranch_execnz .LBB137_25
; %bb.26:                               ;   in Loop: Header=BB137_23 Depth=1
	s_or_b64 exec, exec, s[14:15]
	s_branch .LBB137_22
.LBB137_27:
                                        ; implicit-def: $vgpr3
                                        ; implicit-def: $vgpr2
.LBB137_28:
	v_cmp_gt_i32_e32 vcc, s13, v0
	s_and_saveexec_b64 s[0:1], vcc
	s_cbranch_execz .LBB137_31
; %bb.29:
	s_load_dword s2, s[4:5], 0x38
	s_load_dwordx2 s[0:1], s[4:5], 0x20
	s_ashr_i32 s3, s6, 31
	s_load_dword s4, s[4:5], 0x4c
	v_mov_b32_e32 v4, s19
	s_waitcnt lgkmcnt(0)
	v_mul_f32_e32 v1, s2, v3
	s_mul_i32 s1, s6, s1
	s_mul_hi_u32 s2, s6, s0
	s_add_i32 s1, s2, s1
	s_mul_i32 s3, s3, s0
	s_add_i32 s5, s1, s3
	s_mul_i32 s2, s6, s0
	s_and_b32 s3, s4, 0xffff
	s_mov_b64 s[0:1], 0
	v_mov_b32_e32 v3, s5
	v_mov_b32_e32 v5, s11
.LBB137_30:                             ; =>This Inner Loop Header: Depth=1
	v_ashrrev_i32_e32 v7, 31, v0
	v_add_co_u32_e32 v6, vcc, s2, v0
	v_addc_co_u32_e32 v7, vcc, v3, v7, vcc
	v_add_u32_e32 v0, s3, v0
	v_cmp_le_i32_e32 vcc, s13, v0
	v_lshlrev_b64 v[6:7], 2, v[6:7]
	s_or_b64 s[0:1], vcc, s[0:1]
	v_add_co_u32_e32 v8, vcc, s18, v6
	v_addc_co_u32_e32 v9, vcc, v4, v7, vcc
	v_add_co_u32_e32 v6, vcc, s10, v6
	v_addc_co_u32_e32 v7, vcc, v5, v7, vcc
	global_store_dword v[8:9], v1, off
	global_store_dword v[6:7], v2, off
	s_andn2_b64 exec, exec, s[0:1]
	s_cbranch_execnz .LBB137_30
.LBB137_31:
	s_endpgm
	.section	.rodata,"a",@progbits
	.p2align	6, 0x0
	.amdhsa_kernel _ZN5aiter19grouped_topk_kernelIN3c104HalfEDv2_fLi4ELb0ELb1ELb0EEEvPT_PKS4_PfPimiiiif
		.amdhsa_group_segment_fixed_size 0
		.amdhsa_private_segment_fixed_size 0
		.amdhsa_kernarg_size 320
		.amdhsa_user_sgpr_count 6
		.amdhsa_user_sgpr_private_segment_buffer 1
		.amdhsa_user_sgpr_dispatch_ptr 0
		.amdhsa_user_sgpr_queue_ptr 0
		.amdhsa_user_sgpr_kernarg_segment_ptr 1
		.amdhsa_user_sgpr_dispatch_id 0
		.amdhsa_user_sgpr_flat_scratch_init 0
		.amdhsa_user_sgpr_kernarg_preload_length 0
		.amdhsa_user_sgpr_kernarg_preload_offset 0
		.amdhsa_user_sgpr_private_segment_size 0
		.amdhsa_uses_dynamic_stack 0
		.amdhsa_system_sgpr_private_segment_wavefront_offset 0
		.amdhsa_system_sgpr_workgroup_id_x 1
		.amdhsa_system_sgpr_workgroup_id_y 0
		.amdhsa_system_sgpr_workgroup_id_z 0
		.amdhsa_system_sgpr_workgroup_info 0
		.amdhsa_system_vgpr_workitem_id 0
		.amdhsa_next_free_vgpr 24
		.amdhsa_next_free_sgpr 31
		.amdhsa_accum_offset 24
		.amdhsa_reserve_vcc 1
		.amdhsa_reserve_flat_scratch 0
		.amdhsa_float_round_mode_32 0
		.amdhsa_float_round_mode_16_64 0
		.amdhsa_float_denorm_mode_32 3
		.amdhsa_float_denorm_mode_16_64 3
		.amdhsa_dx10_clamp 1
		.amdhsa_ieee_mode 1
		.amdhsa_fp16_overflow 0
		.amdhsa_tg_split 0
		.amdhsa_exception_fp_ieee_invalid_op 0
		.amdhsa_exception_fp_denorm_src 0
		.amdhsa_exception_fp_ieee_div_zero 0
		.amdhsa_exception_fp_ieee_overflow 0
		.amdhsa_exception_fp_ieee_underflow 0
		.amdhsa_exception_fp_ieee_inexact 0
		.amdhsa_exception_int_div_zero 0
	.end_amdhsa_kernel
	.section	.text._ZN5aiter19grouped_topk_kernelIN3c104HalfEDv2_fLi4ELb0ELb1ELb0EEEvPT_PKS4_PfPimiiiif,"axG",@progbits,_ZN5aiter19grouped_topk_kernelIN3c104HalfEDv2_fLi4ELb0ELb1ELb0EEEvPT_PKS4_PfPimiiiif,comdat
.Lfunc_end137:
	.size	_ZN5aiter19grouped_topk_kernelIN3c104HalfEDv2_fLi4ELb0ELb1ELb0EEEvPT_PKS4_PfPimiiiif, .Lfunc_end137-_ZN5aiter19grouped_topk_kernelIN3c104HalfEDv2_fLi4ELb0ELb1ELb0EEEvPT_PKS4_PfPimiiiif
                                        ; -- End function
	.section	.AMDGPU.csdata,"",@progbits
; Kernel info:
; codeLenInByte = 2088
; NumSgprs: 35
; NumVgprs: 24
; NumAgprs: 0
; TotalNumVgprs: 24
; ScratchSize: 0
; MemoryBound: 0
; FloatMode: 240
; IeeeMode: 1
; LDSByteSize: 0 bytes/workgroup (compile time only)
; SGPRBlocks: 4
; VGPRBlocks: 2
; NumSGPRsForWavesPerEU: 35
; NumVGPRsForWavesPerEU: 24
; AccumOffset: 24
; Occupancy: 8
; WaveLimiterHint : 0
; COMPUTE_PGM_RSRC2:SCRATCH_EN: 0
; COMPUTE_PGM_RSRC2:USER_SGPR: 6
; COMPUTE_PGM_RSRC2:TRAP_HANDLER: 0
; COMPUTE_PGM_RSRC2:TGID_X_EN: 1
; COMPUTE_PGM_RSRC2:TGID_Y_EN: 0
; COMPUTE_PGM_RSRC2:TGID_Z_EN: 0
; COMPUTE_PGM_RSRC2:TIDIG_COMP_CNT: 0
; COMPUTE_PGM_RSRC3_GFX90A:ACCUM_OFFSET: 5
; COMPUTE_PGM_RSRC3_GFX90A:TG_SPLIT: 0
	.section	.text._ZN5aiter19grouped_topk_kernelIN3c108BFloat16EDv2_fLi4ELb0ELb1ELb0EEEvPT_PKS4_PfPimiiiif,"axG",@progbits,_ZN5aiter19grouped_topk_kernelIN3c108BFloat16EDv2_fLi4ELb0ELb1ELb0EEEvPT_PKS4_PfPimiiiif,comdat
	.protected	_ZN5aiter19grouped_topk_kernelIN3c108BFloat16EDv2_fLi4ELb0ELb1ELb0EEEvPT_PKS4_PfPimiiiif ; -- Begin function _ZN5aiter19grouped_topk_kernelIN3c108BFloat16EDv2_fLi4ELb0ELb1ELb0EEEvPT_PKS4_PfPimiiiif
	.globl	_ZN5aiter19grouped_topk_kernelIN3c108BFloat16EDv2_fLi4ELb0ELb1ELb0EEEvPT_PKS4_PfPimiiiif
	.p2align	8
	.type	_ZN5aiter19grouped_topk_kernelIN3c108BFloat16EDv2_fLi4ELb0ELb1ELb0EEEvPT_PKS4_PfPimiiiif,@function
_ZN5aiter19grouped_topk_kernelIN3c108BFloat16EDv2_fLi4ELb0ELb1ELb0EEEvPT_PKS4_PfPimiiiif: ; @_ZN5aiter19grouped_topk_kernelIN3c108BFloat16EDv2_fLi4ELb0ELb1ELb0EEEvPT_PKS4_PfPimiiiif
; %bb.0:
	s_load_dwordx4 s[12:15], s[4:5], 0x28
	s_load_dwordx4 s[16:19], s[4:5], 0x8
	s_load_dwordx2 s[10:11], s[4:5], 0x18
	v_lshl_add_u32 v4, v0, 3, 0
	s_waitcnt lgkmcnt(0)
	s_lshr_b32 s0, s12, 31
	s_add_i32 s0, s12, s0
	s_ashr_i32 s7, s0, 1
	v_cmp_gt_i32_e64 s[0:1], s7, v0
	s_and_saveexec_b64 s[8:9], s[0:1]
	s_cbranch_execz .LBB138_3
; %bb.1:
	s_load_dwordx2 s[2:3], s[4:5], 0x0
	s_load_dword s22, s[4:5], 0x4c
	s_mul_i32 s20, s6, s12
	s_ashr_i32 s21, s20, 31
	s_lshl_b64 s[20:21], s[20:21], 1
	s_waitcnt lgkmcnt(0)
	s_add_u32 s15, s2, s20
	s_addc_u32 s2, s3, s21
	s_and_b32 s22, s22, 0xffff
	s_mov_b32 s3, 0
	v_lshlrev_b32_e32 v2, 2, v0
	v_mov_b32_e32 v1, 0
	s_lshl_b32 s23, s22, 2
	v_lshl_add_u32 v3, v0, 3, 0
	s_lshl_b32 s24, s22, 3
	s_mov_b64 s[20:21], 0
	v_mov_b32_e32 v5, s2
	v_mov_b32_e32 v6, s17
	s_mov_b32 s25, 0xbfb8aa3b
	s_mov_b32 s26, 0x42ce8ed0
	;; [unrolled: 1-line block ×3, first 2 shown]
	v_mov_b32_e32 v7, 0x7f800000
	v_mov_b32_e32 v8, s3
	;; [unrolled: 1-line block ×3, first 2 shown]
.LBB138_2:                              ; =>This Inner Loop Header: Depth=1
	v_add_co_u32_e32 v10, vcc, s15, v2
	v_addc_co_u32_e32 v11, vcc, v5, v1, vcc
	v_add_co_u32_e32 v12, vcc, s16, v2
	v_addc_co_u32_e32 v13, vcc, v6, v1, vcc
	global_load_dword v14, v[10:11], off
	global_load_dword v15, v[12:13], off
	v_add_co_u32_e32 v2, vcc, s23, v2
	v_add_u32_e32 v9, s22, v9
	v_addc_co_u32_e32 v1, vcc, v1, v8, vcc
	v_cmp_le_i32_e32 vcc, s7, v9
	s_or_b64 s[20:21], vcc, s[20:21]
	s_waitcnt vmcnt(1)
	v_cvt_f32_u32_sdwa v12, v14 dst_sel:DWORD dst_unused:UNUSED_PAD src0_sel:WORD_1
	v_cvt_f32_u32_sdwa v13, v14 dst_sel:DWORD dst_unused:UNUSED_PAD src0_sel:WORD_0
	s_waitcnt vmcnt(0)
	v_cvt_f32_u32_sdwa v11, v15 dst_sel:DWORD dst_unused:UNUSED_PAD src0_sel:WORD_1
	v_cvt_f32_u32_sdwa v10, v15 dst_sel:DWORD dst_unused:UNUSED_PAD src0_sel:WORD_0
	v_mul_f32_e32 v14, 0xbfb8aa3b, v12
	v_mul_f32_e32 v15, 0xbfb8aa3b, v13
	v_fma_f32 v16, v12, s25, -v14
	v_rndne_f32_e32 v17, v14
	v_fma_f32 v18, v13, s25, -v15
	v_rndne_f32_e32 v19, v15
	v_fmac_f32_e32 v16, 0xb2a5705f, v12
	v_sub_f32_e32 v14, v14, v17
	v_fmac_f32_e32 v18, 0xb2a5705f, v13
	v_sub_f32_e32 v15, v15, v19
	v_add_f32_e32 v14, v14, v16
	v_add_f32_e32 v15, v15, v18
	v_cvt_i32_f32_e32 v17, v17
	v_cvt_i32_f32_e32 v19, v19
	v_exp_f32_e32 v14, v14
	v_exp_f32_e32 v15, v15
	v_cmp_nlt_f32_e32 vcc, s26, v13
	v_cmp_nlt_f32_e64 s[2:3], s26, v12
	v_ldexp_f32 v14, v14, v17
	v_ldexp_f32 v15, v15, v19
	v_cndmask_b32_e64 v14, 0, v14, s[2:3]
	v_cndmask_b32_e32 v15, 0, v15, vcc
	v_cmp_ngt_f32_e32 vcc, s27, v13
	v_cmp_ngt_f32_e64 s[2:3], s27, v12
	v_cndmask_b32_e64 v13, v7, v14, s[2:3]
	v_cndmask_b32_e32 v12, v7, v15, vcc
	v_pk_add_f32 v[12:13], v[12:13], 1.0 op_sel_hi:[1,0]
	v_div_scale_f32 v14, s[2:3], v13, v13, 1.0
	v_div_scale_f32 v16, s[2:3], v12, v12, 1.0
	v_rcp_f32_e32 v18, v14
	v_rcp_f32_e32 v19, v16
	v_div_scale_f32 v15, vcc, 1.0, v13, 1.0
	v_fma_f32 v20, -v14, v18, 1.0
	v_fma_f32 v21, -v16, v19, 1.0
	v_fmac_f32_e32 v18, v20, v18
	v_div_scale_f32 v17, s[2:3], 1.0, v12, 1.0
	v_fmac_f32_e32 v19, v21, v19
	v_mul_f32_e32 v20, v15, v18
	v_mul_f32_e32 v21, v17, v19
	v_fma_f32 v22, -v14, v20, v15
	v_fma_f32 v23, -v16, v21, v17
	v_fmac_f32_e32 v20, v22, v18
	v_fmac_f32_e32 v21, v23, v19
	v_fma_f32 v14, -v14, v20, v15
	v_fma_f32 v15, -v16, v21, v17
	v_div_fmas_f32 v14, v14, v18, v20
	s_mov_b64 vcc, s[2:3]
	v_div_fixup_f32 v13, v14, v13, 1.0
	v_div_fmas_f32 v14, v15, v19, v21
	v_div_fixup_f32 v12, v14, v12, 1.0
	v_pk_add_f32 v[10:11], v[12:13], v[10:11]
	ds_write_b64 v3, v[10:11]
	v_add_u32_e32 v3, s24, v3
	s_andn2_b64 exec, exec, s[20:21]
	s_cbranch_execnz .LBB138_2
.LBB138_3:
	s_or_b64 exec, exec, s[8:9]
	s_ashr_i32 s2, s12, 31
	s_lshr_b32 s3, s2, 30
	s_add_i32 s3, s12, s3
	s_ashr_i32 s15, s3, 2
	s_lshl_b32 s3, s12, 2
	s_add_i32 s28, s3, 0
	v_cmp_gt_u32_e32 vcc, 64, v0
	s_waitcnt lgkmcnt(0)
	s_barrier
	s_and_saveexec_b64 s[20:21], vcc
	s_cbranch_execz .LBB138_12
; %bb.4:
	s_load_dword s8, s[4:5], 0x4c
	v_lshrrev_b32_e32 v2, 4, v0
	s_lshr_b32 s2, s2, 29
	v_and_b32_e32 v1, 15, v0
	s_add_i32 s2, s12, s2
	s_waitcnt lgkmcnt(0)
	s_bfe_u32 s29, s8, 0xc0004
	v_mul_lo_u32 v3, s15, v2
	s_ashr_i32 s12, s2, 3
	v_lshlrev_b32_e32 v3, 2, v3
	v_lshlrev_b32_e32 v5, 3, v1
	s_mul_i32 s8, s15, s29
	v_cmp_gt_i32_e32 vcc, s12, v1
	v_cmp_eq_u32_e64 s[2:3], 0, v1
	v_add3_u32 v3, v3, v5, 0
	s_lshl_b32 s30, s8, 2
	s_mov_b64 s[22:23], 0
	s_branch .LBB138_6
.LBB138_5:                              ;   in Loop: Header=BB138_6 Depth=1
	s_or_b64 exec, exec, s[8:9]
	v_add_u32_e32 v2, s29, v2
	v_cmp_lt_u32_e64 s[8:9], 3, v2
	s_or_b64 s[22:23], s[8:9], s[22:23]
	v_add_u32_e32 v3, s30, v3
	s_andn2_b64 exec, exec, s[22:23]
	s_cbranch_execz .LBB138_12
.LBB138_6:                              ; =>This Loop Header: Depth=1
                                        ;     Child Loop BB138_8 Depth 2
	v_mov_b32_e32 v5, 0xff800000
	v_mov_b32_e32 v8, 0xff800000
	s_and_saveexec_b64 s[24:25], vcc
	s_cbranch_execz .LBB138_10
; %bb.7:                                ;   in Loop: Header=BB138_6 Depth=1
	s_mov_b64 s[26:27], 0
	v_mov_b32_e32 v5, 0xff800000
	v_mov_b32_e32 v6, v3
	;; [unrolled: 1-line block ×4, first 2 shown]
.LBB138_8:                              ;   Parent Loop BB138_6 Depth=1
                                        ; =>  This Inner Loop Header: Depth=2
	ds_read_b64 v[10:11], v6
	v_add_u32_e32 v7, 16, v7
	v_max_f32_e32 v8, v8, v8
	v_cmp_le_i32_e64 s[8:9], s12, v7
	s_or_b64 s[26:27], s[8:9], s[26:27]
	s_waitcnt lgkmcnt(0)
	v_max_f32_e32 v12, v10, v10
	v_max_f32_e32 v8, v12, v8
	v_cmp_gt_f32_e64 s[8:9], v10, v5
	v_max_f32_e32 v9, v5, v5
	v_cndmask_b32_e64 v8, v8, v5, s[8:9]
	v_max_f32_e32 v13, v11, v11
	v_max_f32_e32 v9, v12, v9
	;; [unrolled: 1-line block ×4, first 2 shown]
	v_cmp_gt_f32_e64 s[8:9], v11, v9
	v_add_u32_e32 v6, 0x80, v6
	v_max_f32_e32 v5, v13, v9
	v_cndmask_b32_e64 v8, v8, v9, s[8:9]
	s_andn2_b64 exec, exec, s[26:27]
	s_cbranch_execnz .LBB138_8
; %bb.9:                                ;   in Loop: Header=BB138_6 Depth=1
	s_or_b64 exec, exec, s[26:27]
.LBB138_10:                             ;   in Loop: Header=BB138_6 Depth=1
	s_or_b64 exec, exec, s[24:25]
	s_and_saveexec_b64 s[8:9], s[2:3]
	s_cbranch_execz .LBB138_5
; %bb.11:                               ;   in Loop: Header=BB138_6 Depth=1
	v_lshl_add_u32 v6, v2, 2, s28
	v_add_f32_e32 v5, v8, v5
	ds_write_b32 v6, v5
	s_branch .LBB138_5
.LBB138_12:
	s_or_b64 exec, exec, s[20:21]
	s_cmp_lt_i32 s14, 1
	s_waitcnt lgkmcnt(0)
	s_barrier
	s_cbranch_scc1 .LBB138_15
; %bb.13:
	v_mov_b32_e32 v1, s28
	s_mov_b32 s2, 0xff800000
	v_mov_b32_e32 v2, 0xff800000
.LBB138_14:                             ; =>This Inner Loop Header: Depth=1
	ds_read2_b32 v[6:7], v1 offset1:1
	ds_read2_b32 v[8:9], v1 offset0:2 offset1:3
	s_waitcnt lgkmcnt(1)
	v_cmp_nlg_f32_e32 vcc, s2, v6
	v_cndmask_b32_e64 v3, 0, 1, vcc
	v_cmp_lg_f32_e32 vcc, s2, v6
	v_cndmask_b32_e32 v5, v2, v6, vcc
	v_readfirstlane_b32 s3, v3
	v_cmp_gt_f32_e32 vcc, v7, v5
	s_lshl_b32 s3, s3, 2
	v_cndmask_b32_e32 v3, v5, v7, vcc
	s_and_b64 s[8:9], vcc, exec
	s_waitcnt lgkmcnt(0)
	v_cmp_gt_f32_e32 vcc, v8, v3
	v_cndmask_b32_e32 v3, v3, v8, vcc
	s_cselect_b32 s3, 1, s3
	s_and_b64 s[8:9], vcc, exec
	v_cmp_ngt_f32_e32 vcc, v9, v3
	s_cselect_b32 s3, 2, s3
	s_and_b64 s[8:9], vcc, exec
	s_cselect_b32 s3, s3, 3
	s_lshl_b32 s3, s3, 2
	s_add_i32 s3, s28, s3
	s_add_i32 s14, s14, -1
	v_mov_b32_e32 v3, s3
	s_cmp_lg_u32 s14, 0
	ds_write_b32 v3, v2
	s_cbranch_scc1 .LBB138_14
.LBB138_15:
	v_lshlrev_b32_e32 v1, 1, v0
	s_and_saveexec_b64 s[2:3], s[0:1]
	s_cbranch_execz .LBB138_20
; %bb.16:
	s_abs_i32 s12, s15
	v_cvt_f32_u32_e32 v2, s12
	s_load_dword s14, s[4:5], 0x4c
	s_ashr_i32 s20, s15, 31
	s_sub_i32 s15, 0, s12
	v_rcp_iflag_f32_e32 v2, v2
	v_lshlrev_b32_e32 v5, 1, v0
	s_waitcnt lgkmcnt(0)
	s_and_b32 s21, s14, 0xffff
	v_lshl_add_u32 v6, v0, 3, 0
	v_mul_f32_e32 v2, 0x4f7ffffe, v2
	v_cvt_u32_f32_e32 v2, v2
	s_mov_b64 s[8:9], 0
	s_lshl_b32 s22, s21, 1
	s_lshl_b32 s23, s21, 3
	v_mul_lo_u32 v3, s15, v2
	v_mul_hi_u32 v3, v2, v3
	v_add_u32_e32 v7, v2, v3
	s_mov_b32 s24, 0xff800000
	v_mov_b32_e32 v2, 0xff800000
	v_mov_b32_e32 v8, v0
	s_branch .LBB138_18
.LBB138_17:                             ;   in Loop: Header=BB138_18 Depth=1
	s_or_b64 exec, exec, s[14:15]
	v_add_u32_e32 v8, s21, v8
	v_cmp_le_i32_e32 vcc, s7, v8
	v_add_u32_e32 v5, s22, v5
	s_or_b64 s[8:9], vcc, s[8:9]
	v_add_u32_e32 v6, s23, v6
	s_andn2_b64 exec, exec, s[8:9]
	s_cbranch_execz .LBB138_20
.LBB138_18:                             ; =>This Inner Loop Header: Depth=1
	v_mul_hi_u32 v3, v5, v7
	v_mul_lo_u32 v9, v3, s12
	v_sub_u32_e32 v9, v5, v9
	v_add_u32_e32 v10, 1, v3
	v_cmp_le_u32_e32 vcc, s12, v9
	v_cndmask_b32_e32 v3, v3, v10, vcc
	v_subrev_u32_e32 v10, s12, v9
	v_cndmask_b32_e32 v9, v9, v10, vcc
	v_add_u32_e32 v10, 1, v3
	v_cmp_le_u32_e32 vcc, s12, v9
	v_cndmask_b32_e32 v3, v3, v10, vcc
	v_xor_b32_e32 v3, s20, v3
	v_subrev_u32_e32 v3, s20, v3
	v_lshl_add_u32 v3, v3, 2, s28
	ds_read_b32 v3, v3
	s_waitcnt lgkmcnt(0)
	v_cmp_neq_f32_e32 vcc, s24, v3
	s_and_saveexec_b64 s[14:15], vcc
	s_cbranch_execz .LBB138_17
; %bb.19:                               ;   in Loop: Header=BB138_18 Depth=1
	v_mov_b32_e32 v3, v2
	ds_write_b64 v6, v[2:3]
	s_branch .LBB138_17
.LBB138_20:
	s_or_b64 exec, exec, s[2:3]
	s_cmp_lt_i32 s13, 1
	s_waitcnt lgkmcnt(0)
	s_barrier
	s_cbranch_scc1 .LBB138_27
; %bb.21:
	s_add_u32 s2, s4, 64
	s_addc_u32 s3, s5, 0
	s_mov_b32 s12, 0
	v_mov_b32_e32 v5, 0
	v_mov_b32_e32 v6, 0xff800000
                                        ; implicit-def: $vgpr3
                                        ; implicit-def: $vgpr2
	s_branch .LBB138_23
.LBB138_22:                             ;   in Loop: Header=BB138_23 Depth=1
	s_or_b64 exec, exec, s[8:9]
	v_mov_b32_dpp v10, v8 quad_perm:[1,0,3,2] row_mask:0xf bank_mask:0xf
	v_cmp_lt_f32_e32 vcc, v8, v10
	v_cndmask_b32_e32 v8, v8, v10, vcc
	v_mov_b32_dpp v9, v7 quad_perm:[1,0,3,2] row_mask:0xf bank_mask:0xf
	v_cndmask_b32_e32 v7, v7, v9, vcc
	v_mov_b32_dpp v10, v8 quad_perm:[2,3,0,1] row_mask:0xf bank_mask:0xf
	v_cmp_gt_f32_e32 vcc, v10, v8
	v_cndmask_b32_e32 v8, v8, v10, vcc
	v_mov_b32_dpp v9, v7 quad_perm:[2,3,0,1] row_mask:0xf bank_mask:0xf
	v_cndmask_b32_e32 v7, v7, v9, vcc
	v_mov_b32_dpp v10, v8 row_half_mirror row_mask:0xf bank_mask:0xf
	v_cmp_gt_f32_e32 vcc, v10, v8
	v_cndmask_b32_e32 v8, v8, v10, vcc
	v_mov_b32_dpp v9, v7 row_half_mirror row_mask:0xf bank_mask:0xf
	v_cndmask_b32_e32 v7, v7, v9, vcc
	v_mov_b32_dpp v10, v8 row_mirror row_mask:0xf bank_mask:0xf
	v_cmp_gt_f32_e32 vcc, v10, v8
	v_cndmask_b32_e32 v8, v8, v10, vcc
	v_mov_b32_dpp v9, v7 row_mirror row_mask:0xf bank_mask:0xf
	v_cndmask_b32_e32 v7, v7, v9, vcc
	v_mov_b32_dpp v10, v8 row_bcast:15 row_mask:0xf bank_mask:0xf
	v_cmp_gt_f32_e32 vcc, v10, v8
	v_mov_b32_dpp v9, v7 row_bcast:15 row_mask:0xf bank_mask:0xf
	v_cndmask_b32_e32 v8, v8, v10, vcc
	v_cndmask_b32_e32 v7, v7, v9, vcc
	s_nop 0
	v_mov_b32_dpp v10, v8 row_bcast:31 row_mask:0xf bank_mask:0xf
	v_mov_b32_dpp v9, v7 row_bcast:31 row_mask:0xf bank_mask:0xf
	v_cmp_gt_f32_e32 vcc, v10, v8
	v_cndmask_b32_e32 v7, v7, v9, vcc
	v_readlane_b32 s8, v7, 63
	s_ashr_i32 s9, s8, 31
	s_lshl_b64 s[14:15], s[8:9], 1
	s_add_u32 s14, s16, s14
	s_addc_u32 s15, s17, s15
	global_load_ushort v7, v5, s[14:15]
	v_cndmask_b32_e32 v8, v8, v10, vcc
	v_readlane_b32 s9, v8, 63
	v_mov_b32_e32 v8, s8
	s_lshl_b32 s8, s8, 2
	v_cmp_eq_u32_e32 vcc, s12, v0
	s_add_i32 s8, s8, 0
	v_cndmask_b32_e32 v2, v2, v8, vcc
	v_mov_b32_e32 v8, s8
	ds_write_b32 v8, v6
	s_add_i32 s12, s12, 1
	s_cmp_eq_u32 s12, s13
	s_waitcnt vmcnt(0)
	v_and_b32_e32 v8, 0xff, v7
	v_lshlrev_b32_e32 v7, 16, v7
	v_lshlrev_b32_e32 v8, 16, v8
	v_and_b32_e32 v7, 0xff000000, v7
	v_or_b32_e32 v7, v8, v7
	v_sub_f32_e32 v7, s9, v7
	v_cndmask_b32_e32 v3, v3, v7, vcc
	s_cbranch_scc1 .LBB138_28
.LBB138_23:                             ; =>This Loop Header: Depth=1
                                        ;     Child Loop BB138_25 Depth 2
	v_mov_b32_e32 v7, s12
	v_mov_b32_e32 v8, 0xff800000
	s_and_saveexec_b64 s[8:9], s[0:1]
	s_cbranch_execz .LBB138_22
; %bb.24:                               ;   in Loop: Header=BB138_23 Depth=1
	s_load_dword s20, s[2:3], 0xc
	s_mov_b64 s[14:15], 0
	v_mov_b32_e32 v7, s12
	v_mov_b32_e32 v8, 0xff800000
	;; [unrolled: 1-line block ×3, first 2 shown]
	s_waitcnt lgkmcnt(0)
	s_and_b32 s20, s20, 0xffff
	s_lshl_b32 s21, s20, 1
	s_lshl_b32 s22, s20, 3
	v_mov_b32_e32 v10, v1
	v_mov_b32_e32 v11, v0
.LBB138_25:                             ;   Parent Loop BB138_23 Depth=1
                                        ; =>  This Inner Loop Header: Depth=2
	ds_read_b64 v[12:13], v9
	v_add_u32_e32 v11, s20, v11
	v_cmp_le_i32_e32 vcc, s7, v11
	s_or_b64 s[14:15], vcc, s[14:15]
	v_add_u32_e32 v14, 1, v10
	s_waitcnt lgkmcnt(0)
	v_cmp_gt_f32_e32 vcc, v12, v8
	v_cndmask_b32_e32 v8, v8, v12, vcc
	v_cndmask_b32_e32 v7, v7, v10, vcc
	v_cmp_gt_f32_e32 vcc, v13, v8
	v_add_u32_e32 v9, s22, v9
	v_cndmask_b32_e32 v8, v8, v13, vcc
	v_add_u32_e32 v10, s21, v10
	v_cndmask_b32_e32 v7, v7, v14, vcc
	s_andn2_b64 exec, exec, s[14:15]
	s_cbranch_execnz .LBB138_25
; %bb.26:                               ;   in Loop: Header=BB138_23 Depth=1
	s_or_b64 exec, exec, s[14:15]
	s_branch .LBB138_22
.LBB138_27:
                                        ; implicit-def: $vgpr3
                                        ; implicit-def: $vgpr2
.LBB138_28:
	v_cmp_gt_i32_e32 vcc, s13, v0
	s_and_saveexec_b64 s[0:1], vcc
	s_cbranch_execz .LBB138_31
; %bb.29:
	s_load_dword s2, s[4:5], 0x38
	s_load_dwordx2 s[0:1], s[4:5], 0x20
	s_ashr_i32 s3, s6, 31
	s_load_dword s4, s[4:5], 0x4c
	v_mov_b32_e32 v4, s19
	s_waitcnt lgkmcnt(0)
	v_mul_f32_e32 v1, s2, v3
	s_mul_i32 s1, s6, s1
	s_mul_hi_u32 s2, s6, s0
	s_add_i32 s1, s2, s1
	s_mul_i32 s3, s3, s0
	s_add_i32 s5, s1, s3
	s_mul_i32 s2, s6, s0
	s_and_b32 s3, s4, 0xffff
	s_mov_b64 s[0:1], 0
	v_mov_b32_e32 v3, s5
	v_mov_b32_e32 v5, s11
.LBB138_30:                             ; =>This Inner Loop Header: Depth=1
	v_ashrrev_i32_e32 v7, 31, v0
	v_add_co_u32_e32 v6, vcc, s2, v0
	v_addc_co_u32_e32 v7, vcc, v3, v7, vcc
	v_add_u32_e32 v0, s3, v0
	v_cmp_le_i32_e32 vcc, s13, v0
	v_lshlrev_b64 v[6:7], 2, v[6:7]
	s_or_b64 s[0:1], vcc, s[0:1]
	v_add_co_u32_e32 v8, vcc, s18, v6
	v_addc_co_u32_e32 v9, vcc, v4, v7, vcc
	v_add_co_u32_e32 v6, vcc, s10, v6
	v_addc_co_u32_e32 v7, vcc, v5, v7, vcc
	global_store_dword v[8:9], v1, off
	global_store_dword v[6:7], v2, off
	s_andn2_b64 exec, exec, s[0:1]
	s_cbranch_execnz .LBB138_30
.LBB138_31:
	s_endpgm
	.section	.rodata,"a",@progbits
	.p2align	6, 0x0
	.amdhsa_kernel _ZN5aiter19grouped_topk_kernelIN3c108BFloat16EDv2_fLi4ELb0ELb1ELb0EEEvPT_PKS4_PfPimiiiif
		.amdhsa_group_segment_fixed_size 0
		.amdhsa_private_segment_fixed_size 0
		.amdhsa_kernarg_size 320
		.amdhsa_user_sgpr_count 6
		.amdhsa_user_sgpr_private_segment_buffer 1
		.amdhsa_user_sgpr_dispatch_ptr 0
		.amdhsa_user_sgpr_queue_ptr 0
		.amdhsa_user_sgpr_kernarg_segment_ptr 1
		.amdhsa_user_sgpr_dispatch_id 0
		.amdhsa_user_sgpr_flat_scratch_init 0
		.amdhsa_user_sgpr_kernarg_preload_length 0
		.amdhsa_user_sgpr_kernarg_preload_offset 0
		.amdhsa_user_sgpr_private_segment_size 0
		.amdhsa_uses_dynamic_stack 0
		.amdhsa_system_sgpr_private_segment_wavefront_offset 0
		.amdhsa_system_sgpr_workgroup_id_x 1
		.amdhsa_system_sgpr_workgroup_id_y 0
		.amdhsa_system_sgpr_workgroup_id_z 0
		.amdhsa_system_sgpr_workgroup_info 0
		.amdhsa_system_vgpr_workitem_id 0
		.amdhsa_next_free_vgpr 24
		.amdhsa_next_free_sgpr 31
		.amdhsa_accum_offset 24
		.amdhsa_reserve_vcc 1
		.amdhsa_reserve_flat_scratch 0
		.amdhsa_float_round_mode_32 0
		.amdhsa_float_round_mode_16_64 0
		.amdhsa_float_denorm_mode_32 3
		.amdhsa_float_denorm_mode_16_64 3
		.amdhsa_dx10_clamp 1
		.amdhsa_ieee_mode 1
		.amdhsa_fp16_overflow 0
		.amdhsa_tg_split 0
		.amdhsa_exception_fp_ieee_invalid_op 0
		.amdhsa_exception_fp_denorm_src 0
		.amdhsa_exception_fp_ieee_div_zero 0
		.amdhsa_exception_fp_ieee_overflow 0
		.amdhsa_exception_fp_ieee_underflow 0
		.amdhsa_exception_fp_ieee_inexact 0
		.amdhsa_exception_int_div_zero 0
	.end_amdhsa_kernel
	.section	.text._ZN5aiter19grouped_topk_kernelIN3c108BFloat16EDv2_fLi4ELb0ELb1ELb0EEEvPT_PKS4_PfPimiiiif,"axG",@progbits,_ZN5aiter19grouped_topk_kernelIN3c108BFloat16EDv2_fLi4ELb0ELb1ELb0EEEvPT_PKS4_PfPimiiiif,comdat
.Lfunc_end138:
	.size	_ZN5aiter19grouped_topk_kernelIN3c108BFloat16EDv2_fLi4ELb0ELb1ELb0EEEvPT_PKS4_PfPimiiiif, .Lfunc_end138-_ZN5aiter19grouped_topk_kernelIN3c108BFloat16EDv2_fLi4ELb0ELb1ELb0EEEvPT_PKS4_PfPimiiiif
                                        ; -- End function
	.section	.AMDGPU.csdata,"",@progbits
; Kernel info:
; codeLenInByte = 2108
; NumSgprs: 35
; NumVgprs: 24
; NumAgprs: 0
; TotalNumVgprs: 24
; ScratchSize: 0
; MemoryBound: 0
; FloatMode: 240
; IeeeMode: 1
; LDSByteSize: 0 bytes/workgroup (compile time only)
; SGPRBlocks: 4
; VGPRBlocks: 2
; NumSGPRsForWavesPerEU: 35
; NumVGPRsForWavesPerEU: 24
; AccumOffset: 24
; Occupancy: 8
; WaveLimiterHint : 0
; COMPUTE_PGM_RSRC2:SCRATCH_EN: 0
; COMPUTE_PGM_RSRC2:USER_SGPR: 6
; COMPUTE_PGM_RSRC2:TRAP_HANDLER: 0
; COMPUTE_PGM_RSRC2:TGID_X_EN: 1
; COMPUTE_PGM_RSRC2:TGID_Y_EN: 0
; COMPUTE_PGM_RSRC2:TGID_Z_EN: 0
; COMPUTE_PGM_RSRC2:TIDIG_COMP_CNT: 0
; COMPUTE_PGM_RSRC3_GFX90A:ACCUM_OFFSET: 5
; COMPUTE_PGM_RSRC3_GFX90A:TG_SPLIT: 0
	.section	.text._ZN5aiter19grouped_topk_kernelIfDv2_fLi4ELb0ELb0ELb1EEEvPT_PKS2_PfPimiiiif,"axG",@progbits,_ZN5aiter19grouped_topk_kernelIfDv2_fLi4ELb0ELb0ELb1EEEvPT_PKS2_PfPimiiiif,comdat
	.protected	_ZN5aiter19grouped_topk_kernelIfDv2_fLi4ELb0ELb0ELb1EEEvPT_PKS2_PfPimiiiif ; -- Begin function _ZN5aiter19grouped_topk_kernelIfDv2_fLi4ELb0ELb0ELb1EEEvPT_PKS2_PfPimiiiif
	.globl	_ZN5aiter19grouped_topk_kernelIfDv2_fLi4ELb0ELb0ELb1EEEvPT_PKS2_PfPimiiiif
	.p2align	8
	.type	_ZN5aiter19grouped_topk_kernelIfDv2_fLi4ELb0ELb0ELb1EEEvPT_PKS2_PfPimiiiif,@function
_ZN5aiter19grouped_topk_kernelIfDv2_fLi4ELb0ELb0ELb1EEEvPT_PKS2_PfPimiiiif: ; @_ZN5aiter19grouped_topk_kernelIfDv2_fLi4ELb0ELb0ELb1EEEvPT_PKS2_PfPimiiiif
; %bb.0:
	s_load_dwordx4 s[8:11], s[4:5], 0x28
	s_load_dwordx4 s[12:15], s[4:5], 0x10
	v_mov_b32_e32 v1, 0xff800000
	s_waitcnt lgkmcnt(0)
	v_cmp_gt_i32_e32 vcc, s8, v0
	s_and_saveexec_b64 s[2:3], vcc
	s_cbranch_execz .LBB139_4
; %bb.1:
	s_load_dword s0, s[4:5], 0x4c
	s_load_dwordx2 s[16:17], s[4:5], 0x0
	s_mul_i32 s7, s6, s8
	v_lshl_add_u32 v2, v0, 2, 0
	s_mov_b64 s[18:19], 0
	s_waitcnt lgkmcnt(0)
	s_and_b32 s11, s0, 0xffff
	s_lshl_b32 s20, s11, 2
	v_mov_b32_e32 v1, 0xff800000
	v_mov_b32_e32 v3, s17
	;; [unrolled: 1-line block ×3, first 2 shown]
.LBB139_2:                              ; =>This Inner Loop Header: Depth=1
	v_add_u32_e32 v6, s7, v4
	v_ashrrev_i32_e32 v7, 31, v6
	v_lshlrev_b64 v[6:7], 2, v[6:7]
	v_add_co_u32_e64 v6, s[0:1], s16, v6
	v_addc_co_u32_e64 v7, s[0:1], v3, v7, s[0:1]
	global_load_dword v5, v[6:7], off
	v_add_u32_e32 v4, s11, v4
	v_cmp_le_i32_e64 s[0:1], s8, v4
	s_or_b64 s[18:19], s[0:1], s[18:19]
	s_waitcnt vmcnt(0)
	v_cmp_gt_f32_e64 s[0:1], v5, v1
	ds_write_b32 v2, v5
	v_cndmask_b32_e64 v1, v1, v5, s[0:1]
	v_add_u32_e32 v2, s20, v2
	s_andn2_b64 exec, exec, s[18:19]
	s_cbranch_execnz .LBB139_2
; %bb.3:
	s_or_b64 exec, exec, s[18:19]
.LBB139_4:
	s_or_b64 exec, exec, s[2:3]
	v_mov_b32_dpp v2, v1 quad_perm:[1,0,3,2] row_mask:0xf bank_mask:0xf
	v_cmp_lt_f32_e64 s[0:1], v1, v2
	v_cndmask_b32_e64 v1, v1, v2, s[0:1]
	v_bfrev_b32_e32 v3, 0.5
	s_waitcnt lgkmcnt(0)
	v_mov_b32_dpp v2, v1 quad_perm:[2,3,0,1] row_mask:0xf bank_mask:0xf
	v_cmp_lt_f32_e64 s[0:1], v1, v2
	v_cndmask_b32_e64 v1, v1, v2, s[0:1]
	s_barrier
	s_nop 0
	v_mov_b32_dpp v2, v1 row_half_mirror row_mask:0xf bank_mask:0xf
	v_cmp_lt_f32_e64 s[0:1], v1, v2
	v_cndmask_b32_e64 v1, v1, v2, s[0:1]
	s_nop 1
	v_mov_b32_dpp v2, v1 row_mirror row_mask:0xf bank_mask:0xf
	v_cmp_lt_f32_e64 s[0:1], v1, v2
	v_cndmask_b32_e64 v1, v1, v2, s[0:1]
	s_nop 1
	v_mov_b32_dpp v2, v1 row_bcast:15 row_mask:0xf bank_mask:0xf
	v_cmp_lt_f32_e64 s[0:1], v1, v2
	v_cndmask_b32_e64 v1, v1, v2, s[0:1]
	s_nop 1
	v_mov_b32_dpp v2, v1 row_bcast:31 row_mask:0xf bank_mask:0xf
	v_cmp_lt_f32_e64 s[0:1], v1, v2
	v_cndmask_b32_e64 v2, v1, v2, s[0:1]
	v_mbcnt_lo_u32_b32 v1, -1, 0
	v_mbcnt_hi_u32_b32 v1, -1, v1
	v_lshl_or_b32 v1, v1, 2, v3
	ds_bpermute_b32 v3, v1, v2
	v_mov_b32_e32 v2, 0
	s_and_saveexec_b64 s[2:3], vcc
	s_cbranch_execz .LBB139_8
; %bb.5:
	s_load_dword s0, s[4:5], 0x4c
	v_lshl_add_u32 v4, v0, 2, 0
	s_mov_b64 s[16:17], 0
	v_mov_b32_e32 v2, 0
	s_mov_b32 s7, 0x3fb8aa3b
	s_waitcnt lgkmcnt(0)
	s_and_b32 s11, s0, 0xffff
	s_lshl_b32 s18, s11, 2
	s_mov_b32 s19, 0xc2ce8ed0
	s_mov_b32 s20, 0x42b17218
	v_mov_b32_e32 v5, 0x7f800000
	v_mov_b32_e32 v6, v0
.LBB139_6:                              ; =>This Inner Loop Header: Depth=1
	ds_read_b32 v7, v4
	v_add_u32_e32 v6, s11, v6
	s_waitcnt lgkmcnt(0)
	v_sub_f32_e32 v7, v7, v3
	v_mul_f32_e32 v8, 0x3fb8aa3b, v7
	v_fma_f32 v9, v7, s7, -v8
	v_rndne_f32_e32 v10, v8
	v_fmac_f32_e32 v9, 0x32a5705f, v7
	v_sub_f32_e32 v8, v8, v10
	v_add_f32_e32 v8, v8, v9
	v_cvt_i32_f32_e32 v10, v10
	v_exp_f32_e32 v8, v8
	v_cmp_ngt_f32_e64 s[0:1], s19, v7
	v_ldexp_f32 v8, v8, v10
	v_cndmask_b32_e64 v8, 0, v8, s[0:1]
	v_cmp_nlt_f32_e64 s[0:1], s20, v7
	v_cndmask_b32_e64 v7, v5, v8, s[0:1]
	v_cmp_le_i32_e64 s[0:1], s8, v6
	ds_write_b32 v4, v7
	v_add_f32_e32 v2, v2, v7
	s_or_b64 s[16:17], s[0:1], s[16:17]
	v_add_u32_e32 v4, s18, v4
	s_andn2_b64 exec, exec, s[16:17]
	s_cbranch_execnz .LBB139_6
; %bb.7:
	s_or_b64 exec, exec, s[16:17]
.LBB139_8:
	s_or_b64 exec, exec, s[2:3]
	s_waitcnt lgkmcnt(0)
	v_mov_b32_dpp v3, v2 quad_perm:[1,0,3,2] row_mask:0xf bank_mask:0xf
	v_add_f32_e32 v2, v2, v3
	s_barrier
	s_nop 0
	v_mov_b32_dpp v3, v2 quad_perm:[2,3,0,1] row_mask:0xf bank_mask:0xf
	v_add_f32_e32 v2, v2, v3
	s_nop 1
	v_mov_b32_dpp v3, v2 row_half_mirror row_mask:0xf bank_mask:0xf
	v_add_f32_e32 v2, v2, v3
	s_nop 1
	v_mov_b32_dpp v3, v2 row_mirror row_mask:0xf bank_mask:0xf
	v_add_f32_e32 v2, v2, v3
	s_nop 1
	v_mov_b32_dpp v3, v2 row_bcast:15 row_mask:0xf bank_mask:0xf
	v_add_f32_e32 v2, v2, v3
	s_nop 1
	v_mov_b32_dpp v3, v2 row_bcast:31 row_mask:0xf bank_mask:0xf
	v_add_f32_e32 v2, v2, v3
	ds_bpermute_b32 v1, v1, v2
	s_and_saveexec_b64 s[0:1], vcc
	s_cbranch_execz .LBB139_11
; %bb.9:
	s_load_dword s7, s[4:5], 0x4c
	v_lshl_add_u32 v2, v0, 2, 0
	s_mov_b64 s[2:3], 0
	v_mov_b32_e32 v3, v0
	s_waitcnt lgkmcnt(0)
	s_and_b32 s7, s7, 0xffff
	s_lshl_b32 s11, s7, 2
.LBB139_10:                             ; =>This Inner Loop Header: Depth=1
	ds_read_b32 v4, v2
	v_add_u32_e32 v3, s7, v3
	v_cmp_le_i32_e32 vcc, s8, v3
	s_or_b64 s[2:3], vcc, s[2:3]
	s_waitcnt lgkmcnt(0)
	v_div_scale_f32 v5, s[16:17], v1, v1, v4
	v_rcp_f32_e32 v6, v5
	v_div_scale_f32 v7, vcc, v4, v1, v4
	v_fma_f32 v8, -v5, v6, 1.0
	v_fmac_f32_e32 v6, v8, v6
	v_mul_f32_e32 v8, v7, v6
	v_fma_f32 v9, -v5, v8, v7
	v_fmac_f32_e32 v8, v9, v6
	v_fma_f32 v5, -v5, v8, v7
	v_div_fmas_f32 v5, v5, v6, v8
	v_div_fixup_f32 v4, v5, v1, v4
	ds_write_b32 v2, v4
	v_add_u32_e32 v2, s11, v2
	s_andn2_b64 exec, exec, s[2:3]
	s_cbranch_execnz .LBB139_10
.LBB139_11:
	s_or_b64 exec, exec, s[0:1]
	s_ashr_i32 s0, s8, 31
	s_lshr_b32 s0, s0, 30
	s_add_i32 s0, s8, s0
	s_ashr_i32 s11, s0, 2
	s_lshl_b32 s0, s8, 2
	s_add_i32 s7, s0, 0
	v_cmp_gt_u32_e32 vcc, 4, v0
	s_waitcnt lgkmcnt(0)
	s_barrier
	s_and_saveexec_b64 s[2:3], vcc
	s_cbranch_execz .LBB139_18
; %bb.12:
	s_load_dword s0, s[4:5], 0x4c
	v_mul_lo_u32 v1, v0, s11
	v_lshl_add_u32 v1, v1, 2, 0
	s_waitcnt lgkmcnt(0)
	s_and_b32 s20, s0, 0xffff
	s_cmp_gt_i32 s8, 3
	s_cselect_b64 s[0:1], -1, 0
	s_mul_i32 s16, s11, s20
	v_cndmask_b32_e64 v2, 0, 1, s[0:1]
	s_lshl_b32 s21, s16, 2
	s_mov_b64 s[16:17], 0
	v_cmp_ne_u32_e64 s[0:1], 1, v2
	v_mov_b32_e32 v2, v0
	s_branch .LBB139_14
.LBB139_13:                             ;   in Loop: Header=BB139_14 Depth=1
	v_lshl_add_u32 v4, v2, 2, s7
	v_add_u32_e32 v2, s20, v2
	v_cmp_lt_u32_e32 vcc, 3, v2
	s_or_b64 s[16:17], vcc, s[16:17]
	v_add_u32_e32 v1, s21, v1
	ds_write_b32 v4, v3
	s_andn2_b64 exec, exec, s[16:17]
	s_cbranch_execz .LBB139_18
.LBB139_14:                             ; =>This Loop Header: Depth=1
                                        ;     Child Loop BB139_16 Depth 2
	s_and_b64 vcc, exec, s[0:1]
	v_mov_b32_e32 v3, 0xff800000
	s_cbranch_vccnz .LBB139_13
; %bb.15:                               ;   in Loop: Header=BB139_14 Depth=1
	v_mul_lo_u32 v4, v2, s11
	v_add_u32_e32 v5, s11, v4
	s_mov_b64 s[18:19], 0
	v_mov_b32_e32 v3, 0xff800000
	v_mov_b32_e32 v6, v1
.LBB139_16:                             ;   Parent Loop BB139_14 Depth=1
                                        ; =>  This Inner Loop Header: Depth=2
	ds_read_b32 v7, v6
	v_add_u32_e32 v4, 1, v4
	v_cmp_ge_i32_e32 vcc, v4, v5
	s_or_b64 s[18:19], vcc, s[18:19]
	v_add_u32_e32 v6, 4, v6
	s_waitcnt lgkmcnt(0)
	v_cmp_gt_f32_e32 vcc, v7, v3
	v_cndmask_b32_e32 v3, v3, v7, vcc
	s_andn2_b64 exec, exec, s[18:19]
	s_cbranch_execnz .LBB139_16
; %bb.17:                               ;   in Loop: Header=BB139_14 Depth=1
	s_or_b64 exec, exec, s[18:19]
	s_branch .LBB139_13
.LBB139_18:
	s_or_b64 exec, exec, s[2:3]
	s_cmp_lt_i32 s10, 1
	s_waitcnt lgkmcnt(0)
	s_barrier
	s_cbranch_scc1 .LBB139_21
; %bb.19:
	v_mov_b32_e32 v1, s7
	s_mov_b32 s0, 0xff800000
	v_mov_b32_e32 v2, 0xff800000
.LBB139_20:                             ; =>This Inner Loop Header: Depth=1
	ds_read2_b32 v[4:5], v1 offset1:1
	ds_read2_b32 v[6:7], v1 offset0:2 offset1:3
	s_waitcnt lgkmcnt(1)
	v_cmp_nlg_f32_e32 vcc, s0, v4
	v_cndmask_b32_e64 v3, 0, 1, vcc
	v_cmp_lg_f32_e32 vcc, s0, v4
	v_cndmask_b32_e32 v4, v2, v4, vcc
	v_readfirstlane_b32 s1, v3
	v_cmp_gt_f32_e32 vcc, v5, v4
	s_lshl_b32 s1, s1, 2
	v_cndmask_b32_e32 v3, v4, v5, vcc
	s_and_b64 s[2:3], vcc, exec
	s_waitcnt lgkmcnt(0)
	v_cmp_gt_f32_e32 vcc, v6, v3
	v_cndmask_b32_e32 v3, v3, v6, vcc
	s_cselect_b32 s1, 1, s1
	s_and_b64 s[2:3], vcc, exec
	v_cmp_ngt_f32_e32 vcc, v7, v3
	s_cselect_b32 s1, 2, s1
	s_and_b64 s[2:3], vcc, exec
	s_cselect_b32 s1, s1, 3
	s_lshl_b32 s1, s1, 2
	s_add_i32 s1, s7, s1
	s_add_i32 s10, s10, -1
	v_mov_b32_e32 v3, s1
	s_cmp_lg_u32 s10, 0
	ds_write_b32 v3, v2
	s_cbranch_scc1 .LBB139_20
.LBB139_21:
	s_lshr_b32 s0, s8, 31
	s_add_i32 s0, s8, s0
	s_ashr_i32 s8, s0, 1
	v_cmp_gt_i32_e32 vcc, s8, v0
	v_lshlrev_b32_e32 v1, 1, v0
	v_lshl_add_u32 v4, v0, 3, 0
	s_and_saveexec_b64 s[2:3], vcc
	s_cbranch_execz .LBB139_26
; %bb.22:
	s_abs_i32 s18, s11
	v_cvt_f32_u32_e32 v2, s18
	s_load_dword s0, s[4:5], 0x4c
	s_sub_i32 s1, 0, s18
	s_ashr_i32 s19, s11, 31
	v_rcp_iflag_f32_e32 v2, v2
	v_lshlrev_b32_e32 v5, 1, v0
	s_waitcnt lgkmcnt(0)
	s_and_b32 s20, s0, 0xffff
	v_lshl_add_u32 v6, v0, 3, 0
	v_mul_f32_e32 v2, 0x4f7ffffe, v2
	v_cvt_u32_f32_e32 v2, v2
	s_mov_b64 s[10:11], 0
	s_lshl_b32 s21, s20, 1
	s_lshl_b32 s22, s20, 3
	v_mul_lo_u32 v3, s1, v2
	v_mul_hi_u32 v3, v2, v3
	v_add_u32_e32 v7, v2, v3
	s_mov_b32 s23, 0xff800000
	v_mov_b32_e32 v2, 0xff800000
	v_mov_b32_e32 v8, v0
	s_branch .LBB139_24
.LBB139_23:                             ;   in Loop: Header=BB139_24 Depth=1
	s_or_b64 exec, exec, s[16:17]
	v_add_u32_e32 v8, s20, v8
	v_cmp_le_i32_e64 s[0:1], s8, v8
	v_add_u32_e32 v5, s21, v5
	s_or_b64 s[10:11], s[0:1], s[10:11]
	v_add_u32_e32 v6, s22, v6
	s_andn2_b64 exec, exec, s[10:11]
	s_cbranch_execz .LBB139_26
.LBB139_24:                             ; =>This Inner Loop Header: Depth=1
	v_mul_hi_u32 v3, v5, v7
	v_mul_lo_u32 v9, v3, s18
	v_sub_u32_e32 v9, v5, v9
	v_add_u32_e32 v10, 1, v3
	v_cmp_le_u32_e64 s[0:1], s18, v9
	v_cndmask_b32_e64 v3, v3, v10, s[0:1]
	v_subrev_u32_e32 v10, s18, v9
	v_cndmask_b32_e64 v9, v9, v10, s[0:1]
	v_add_u32_e32 v10, 1, v3
	v_cmp_le_u32_e64 s[0:1], s18, v9
	v_cndmask_b32_e64 v3, v3, v10, s[0:1]
	v_xor_b32_e32 v3, s19, v3
	v_subrev_u32_e32 v3, s19, v3
	v_lshl_add_u32 v3, v3, 2, s7
	ds_read_b32 v3, v3
	s_waitcnt lgkmcnt(0)
	v_cmp_neq_f32_e64 s[0:1], s23, v3
	s_and_saveexec_b64 s[16:17], s[0:1]
	s_cbranch_execz .LBB139_23
; %bb.25:                               ;   in Loop: Header=BB139_24 Depth=1
	v_mov_b32_e32 v3, v2
	ds_write_b64 v6, v[2:3]
	s_branch .LBB139_23
.LBB139_26:
	s_or_b64 exec, exec, s[2:3]
	s_cmp_lt_i32 s9, 1
	s_waitcnt lgkmcnt(0)
	s_barrier
	s_cbranch_scc1 .LBB139_33
; %bb.27:
	s_add_u32 s2, s4, 64
	s_addc_u32 s3, s5, 0
	s_mov_b32 s7, 0
	v_mov_b32_e32 v5, 0xff800000
                                        ; implicit-def: $vgpr3
                                        ; implicit-def: $vgpr2
	s_branch .LBB139_29
.LBB139_28:                             ;   in Loop: Header=BB139_29 Depth=1
	s_or_b64 exec, exec, s[10:11]
	v_mov_b32_dpp v9, v7 quad_perm:[1,0,3,2] row_mask:0xf bank_mask:0xf
	v_cmp_lt_f32_e64 s[0:1], v7, v9
	v_cndmask_b32_e64 v7, v7, v9, s[0:1]
	v_mov_b32_dpp v8, v6 quad_perm:[1,0,3,2] row_mask:0xf bank_mask:0xf
	v_cndmask_b32_e64 v6, v6, v8, s[0:1]
	v_mov_b32_dpp v9, v7 quad_perm:[2,3,0,1] row_mask:0xf bank_mask:0xf
	v_cmp_gt_f32_e64 s[0:1], v9, v7
	v_cndmask_b32_e64 v7, v7, v9, s[0:1]
	v_mov_b32_dpp v8, v6 quad_perm:[2,3,0,1] row_mask:0xf bank_mask:0xf
	v_cndmask_b32_e64 v6, v6, v8, s[0:1]
	v_mov_b32_dpp v9, v7 row_half_mirror row_mask:0xf bank_mask:0xf
	v_cmp_gt_f32_e64 s[0:1], v9, v7
	v_cndmask_b32_e64 v7, v7, v9, s[0:1]
	v_mov_b32_dpp v8, v6 row_half_mirror row_mask:0xf bank_mask:0xf
	v_cndmask_b32_e64 v6, v6, v8, s[0:1]
	v_mov_b32_dpp v9, v7 row_mirror row_mask:0xf bank_mask:0xf
	v_cmp_gt_f32_e64 s[0:1], v9, v7
	v_cndmask_b32_e64 v7, v7, v9, s[0:1]
	v_mov_b32_dpp v8, v6 row_mirror row_mask:0xf bank_mask:0xf
	v_cndmask_b32_e64 v6, v6, v8, s[0:1]
	v_mov_b32_dpp v9, v7 row_bcast:15 row_mask:0xf bank_mask:0xf
	v_cmp_gt_f32_e64 s[0:1], v9, v7
	v_mov_b32_dpp v8, v6 row_bcast:15 row_mask:0xf bank_mask:0xf
	v_cndmask_b32_e64 v7, v7, v9, s[0:1]
	v_cndmask_b32_e64 v6, v6, v8, s[0:1]
	s_nop 0
	v_mov_b32_dpp v9, v7 row_bcast:31 row_mask:0xf bank_mask:0xf
	v_mov_b32_dpp v8, v6 row_bcast:31 row_mask:0xf bank_mask:0xf
	v_cmp_gt_f32_e64 s[0:1], v9, v7
	v_cndmask_b32_e64 v6, v6, v8, s[0:1]
	v_cndmask_b32_e64 v7, v7, v9, s[0:1]
	v_readlane_b32 s0, v6, 63
	s_lshl_b32 s1, s0, 2
	s_add_i32 s1, s1, 0
	v_mov_b32_e32 v6, s1
	v_readlane_b32 s10, v7, 63
	ds_write_b32 v6, v5
	v_mov_b32_e32 v6, s0
	v_cmp_eq_u32_e64 s[0:1], s7, v0
	v_cndmask_b32_e64 v2, v2, v6, s[0:1]
	v_mov_b32_e32 v6, s10
	s_add_i32 s7, s7, 1
	s_cmp_eq_u32 s7, s9
	v_cndmask_b32_e64 v3, v3, v6, s[0:1]
	s_cbranch_scc1 .LBB139_34
.LBB139_29:                             ; =>This Loop Header: Depth=1
                                        ;     Child Loop BB139_31 Depth 2
	v_mov_b32_e32 v6, s7
	v_mov_b32_e32 v7, 0xff800000
	s_and_saveexec_b64 s[10:11], vcc
	s_cbranch_execz .LBB139_28
; %bb.30:                               ;   in Loop: Header=BB139_29 Depth=1
	s_load_dword s0, s[2:3], 0xc
	s_mov_b64 s[16:17], 0
	v_mov_b32_e32 v6, s7
	v_mov_b32_e32 v7, 0xff800000
	;; [unrolled: 1-line block ×3, first 2 shown]
	s_waitcnt lgkmcnt(0)
	s_and_b32 s18, s0, 0xffff
	s_lshl_b32 s19, s18, 1
	s_lshl_b32 s20, s18, 3
	v_mov_b32_e32 v9, v1
	v_mov_b32_e32 v10, v0
.LBB139_31:                             ;   Parent Loop BB139_29 Depth=1
                                        ; =>  This Inner Loop Header: Depth=2
	ds_read_b64 v[12:13], v8
	v_add_u32_e32 v10, s18, v10
	v_cmp_le_i32_e64 s[0:1], s8, v10
	s_or_b64 s[16:17], s[0:1], s[16:17]
	v_add_u32_e32 v11, 1, v9
	s_waitcnt lgkmcnt(0)
	v_cmp_gt_f32_e64 s[0:1], v12, v7
	v_cndmask_b32_e64 v7, v7, v12, s[0:1]
	v_cndmask_b32_e64 v6, v6, v9, s[0:1]
	v_cmp_gt_f32_e64 s[0:1], v13, v7
	v_add_u32_e32 v8, s20, v8
	v_cndmask_b32_e64 v7, v7, v13, s[0:1]
	v_add_u32_e32 v9, s19, v9
	v_cndmask_b32_e64 v6, v6, v11, s[0:1]
	s_andn2_b64 exec, exec, s[16:17]
	s_cbranch_execnz .LBB139_31
; %bb.32:                               ;   in Loop: Header=BB139_29 Depth=1
	s_or_b64 exec, exec, s[16:17]
	s_branch .LBB139_28
.LBB139_33:
                                        ; implicit-def: $vgpr3
                                        ; implicit-def: $vgpr2
.LBB139_34:
	v_cmp_gt_i32_e32 vcc, s9, v0
	s_and_saveexec_b64 s[0:1], vcc
	s_cbranch_execz .LBB139_37
; %bb.35:
	s_load_dword s2, s[4:5], 0x38
	s_load_dwordx2 s[0:1], s[4:5], 0x20
	s_ashr_i32 s3, s6, 31
	s_load_dword s4, s[4:5], 0x4c
	v_mov_b32_e32 v4, s13
	s_waitcnt lgkmcnt(0)
	v_mul_f32_e32 v1, s2, v3
	s_mul_i32 s1, s6, s1
	s_mul_hi_u32 s2, s6, s0
	s_add_i32 s1, s2, s1
	s_mul_i32 s3, s3, s0
	s_add_i32 s5, s1, s3
	s_mul_i32 s2, s6, s0
	s_and_b32 s3, s4, 0xffff
	s_mov_b64 s[0:1], 0
	v_mov_b32_e32 v3, s5
	v_mov_b32_e32 v5, s15
.LBB139_36:                             ; =>This Inner Loop Header: Depth=1
	v_ashrrev_i32_e32 v7, 31, v0
	v_add_co_u32_e32 v6, vcc, s2, v0
	v_addc_co_u32_e32 v7, vcc, v3, v7, vcc
	v_add_u32_e32 v0, s3, v0
	v_cmp_le_i32_e32 vcc, s9, v0
	v_lshlrev_b64 v[6:7], 2, v[6:7]
	s_or_b64 s[0:1], vcc, s[0:1]
	v_add_co_u32_e32 v8, vcc, s12, v6
	v_addc_co_u32_e32 v9, vcc, v4, v7, vcc
	v_add_co_u32_e32 v6, vcc, s14, v6
	v_addc_co_u32_e32 v7, vcc, v5, v7, vcc
	global_store_dword v[8:9], v1, off
	global_store_dword v[6:7], v2, off
	s_andn2_b64 exec, exec, s[0:1]
	s_cbranch_execnz .LBB139_36
.LBB139_37:
	s_endpgm
	.section	.rodata,"a",@progbits
	.p2align	6, 0x0
	.amdhsa_kernel _ZN5aiter19grouped_topk_kernelIfDv2_fLi4ELb0ELb0ELb1EEEvPT_PKS2_PfPimiiiif
		.amdhsa_group_segment_fixed_size 0
		.amdhsa_private_segment_fixed_size 0
		.amdhsa_kernarg_size 320
		.amdhsa_user_sgpr_count 6
		.amdhsa_user_sgpr_private_segment_buffer 1
		.amdhsa_user_sgpr_dispatch_ptr 0
		.amdhsa_user_sgpr_queue_ptr 0
		.amdhsa_user_sgpr_kernarg_segment_ptr 1
		.amdhsa_user_sgpr_dispatch_id 0
		.amdhsa_user_sgpr_flat_scratch_init 0
		.amdhsa_user_sgpr_kernarg_preload_length 0
		.amdhsa_user_sgpr_kernarg_preload_offset 0
		.amdhsa_user_sgpr_private_segment_size 0
		.amdhsa_uses_dynamic_stack 0
		.amdhsa_system_sgpr_private_segment_wavefront_offset 0
		.amdhsa_system_sgpr_workgroup_id_x 1
		.amdhsa_system_sgpr_workgroup_id_y 0
		.amdhsa_system_sgpr_workgroup_id_z 0
		.amdhsa_system_sgpr_workgroup_info 0
		.amdhsa_system_vgpr_workitem_id 0
		.amdhsa_next_free_vgpr 14
		.amdhsa_next_free_sgpr 24
		.amdhsa_accum_offset 16
		.amdhsa_reserve_vcc 1
		.amdhsa_reserve_flat_scratch 0
		.amdhsa_float_round_mode_32 0
		.amdhsa_float_round_mode_16_64 0
		.amdhsa_float_denorm_mode_32 3
		.amdhsa_float_denorm_mode_16_64 3
		.amdhsa_dx10_clamp 1
		.amdhsa_ieee_mode 1
		.amdhsa_fp16_overflow 0
		.amdhsa_tg_split 0
		.amdhsa_exception_fp_ieee_invalid_op 0
		.amdhsa_exception_fp_denorm_src 0
		.amdhsa_exception_fp_ieee_div_zero 0
		.amdhsa_exception_fp_ieee_overflow 0
		.amdhsa_exception_fp_ieee_underflow 0
		.amdhsa_exception_fp_ieee_inexact 0
		.amdhsa_exception_int_div_zero 0
	.end_amdhsa_kernel
	.section	.text._ZN5aiter19grouped_topk_kernelIfDv2_fLi4ELb0ELb0ELb1EEEvPT_PKS2_PfPimiiiif,"axG",@progbits,_ZN5aiter19grouped_topk_kernelIfDv2_fLi4ELb0ELb0ELb1EEEvPT_PKS2_PfPimiiiif,comdat
.Lfunc_end139:
	.size	_ZN5aiter19grouped_topk_kernelIfDv2_fLi4ELb0ELb0ELb1EEEvPT_PKS2_PfPimiiiif, .Lfunc_end139-_ZN5aiter19grouped_topk_kernelIfDv2_fLi4ELb0ELb0ELb1EEEvPT_PKS2_PfPimiiiif
                                        ; -- End function
	.section	.AMDGPU.csdata,"",@progbits
; Kernel info:
; codeLenInByte = 2400
; NumSgprs: 28
; NumVgprs: 14
; NumAgprs: 0
; TotalNumVgprs: 14
; ScratchSize: 0
; MemoryBound: 0
; FloatMode: 240
; IeeeMode: 1
; LDSByteSize: 0 bytes/workgroup (compile time only)
; SGPRBlocks: 3
; VGPRBlocks: 1
; NumSGPRsForWavesPerEU: 28
; NumVGPRsForWavesPerEU: 14
; AccumOffset: 16
; Occupancy: 8
; WaveLimiterHint : 0
; COMPUTE_PGM_RSRC2:SCRATCH_EN: 0
; COMPUTE_PGM_RSRC2:USER_SGPR: 6
; COMPUTE_PGM_RSRC2:TRAP_HANDLER: 0
; COMPUTE_PGM_RSRC2:TGID_X_EN: 1
; COMPUTE_PGM_RSRC2:TGID_Y_EN: 0
; COMPUTE_PGM_RSRC2:TGID_Z_EN: 0
; COMPUTE_PGM_RSRC2:TIDIG_COMP_CNT: 0
; COMPUTE_PGM_RSRC3_GFX90A:ACCUM_OFFSET: 3
; COMPUTE_PGM_RSRC3_GFX90A:TG_SPLIT: 0
	.section	.text._ZN5aiter19grouped_topk_kernelIN3c104HalfEDv2_fLi4ELb0ELb0ELb1EEEvPT_PKS4_PfPimiiiif,"axG",@progbits,_ZN5aiter19grouped_topk_kernelIN3c104HalfEDv2_fLi4ELb0ELb0ELb1EEEvPT_PKS4_PfPimiiiif,comdat
	.protected	_ZN5aiter19grouped_topk_kernelIN3c104HalfEDv2_fLi4ELb0ELb0ELb1EEEvPT_PKS4_PfPimiiiif ; -- Begin function _ZN5aiter19grouped_topk_kernelIN3c104HalfEDv2_fLi4ELb0ELb0ELb1EEEvPT_PKS4_PfPimiiiif
	.globl	_ZN5aiter19grouped_topk_kernelIN3c104HalfEDv2_fLi4ELb0ELb0ELb1EEEvPT_PKS4_PfPimiiiif
	.p2align	8
	.type	_ZN5aiter19grouped_topk_kernelIN3c104HalfEDv2_fLi4ELb0ELb0ELb1EEEvPT_PKS4_PfPimiiiif,@function
_ZN5aiter19grouped_topk_kernelIN3c104HalfEDv2_fLi4ELb0ELb0ELb1EEEvPT_PKS4_PfPimiiiif: ; @_ZN5aiter19grouped_topk_kernelIN3c104HalfEDv2_fLi4ELb0ELb0ELb1EEEvPT_PKS4_PfPimiiiif
; %bb.0:
	s_load_dwordx4 s[8:11], s[4:5], 0x28
	s_load_dwordx4 s[12:15], s[4:5], 0x10
	v_mov_b32_e32 v1, 0xff800000
	s_waitcnt lgkmcnt(0)
	v_cmp_gt_i32_e32 vcc, s8, v0
	s_and_saveexec_b64 s[2:3], vcc
	s_cbranch_execz .LBB140_4
; %bb.1:
	s_load_dword s0, s[4:5], 0x4c
	s_load_dwordx2 s[16:17], s[4:5], 0x0
	s_mul_i32 s7, s6, s8
	v_lshl_add_u32 v2, v0, 2, 0
	s_mov_b64 s[18:19], 0
	s_waitcnt lgkmcnt(0)
	s_and_b32 s11, s0, 0xffff
	s_lshl_b32 s20, s11, 2
	v_mov_b32_e32 v1, 0xff800000
	v_mov_b32_e32 v3, s17
	;; [unrolled: 1-line block ×3, first 2 shown]
.LBB140_2:                              ; =>This Inner Loop Header: Depth=1
	v_add_u32_e32 v6, s7, v4
	v_ashrrev_i32_e32 v7, 31, v6
	v_lshlrev_b64 v[6:7], 1, v[6:7]
	v_add_co_u32_e64 v6, s[0:1], s16, v6
	v_addc_co_u32_e64 v7, s[0:1], v3, v7, s[0:1]
	global_load_ushort v5, v[6:7], off
	v_add_u32_e32 v4, s11, v4
	v_cmp_le_i32_e64 s[0:1], s8, v4
	s_or_b64 s[18:19], s[0:1], s[18:19]
	s_waitcnt vmcnt(0)
	v_cvt_f32_f16_e32 v5, v5
	v_cmp_lt_f32_e64 s[0:1], v1, v5
	ds_write_b32 v2, v5
	v_cndmask_b32_e64 v1, v1, v5, s[0:1]
	v_add_u32_e32 v2, s20, v2
	s_andn2_b64 exec, exec, s[18:19]
	s_cbranch_execnz .LBB140_2
; %bb.3:
	s_or_b64 exec, exec, s[18:19]
.LBB140_4:
	s_or_b64 exec, exec, s[2:3]
	v_mov_b32_dpp v2, v1 quad_perm:[1,0,3,2] row_mask:0xf bank_mask:0xf
	v_cmp_lt_f32_e64 s[0:1], v1, v2
	v_cndmask_b32_e64 v1, v1, v2, s[0:1]
	v_bfrev_b32_e32 v3, 0.5
	s_waitcnt lgkmcnt(0)
	v_mov_b32_dpp v2, v1 quad_perm:[2,3,0,1] row_mask:0xf bank_mask:0xf
	v_cmp_lt_f32_e64 s[0:1], v1, v2
	v_cndmask_b32_e64 v1, v1, v2, s[0:1]
	s_barrier
	s_nop 0
	v_mov_b32_dpp v2, v1 row_half_mirror row_mask:0xf bank_mask:0xf
	v_cmp_lt_f32_e64 s[0:1], v1, v2
	v_cndmask_b32_e64 v1, v1, v2, s[0:1]
	s_nop 1
	v_mov_b32_dpp v2, v1 row_mirror row_mask:0xf bank_mask:0xf
	v_cmp_lt_f32_e64 s[0:1], v1, v2
	v_cndmask_b32_e64 v1, v1, v2, s[0:1]
	s_nop 1
	v_mov_b32_dpp v2, v1 row_bcast:15 row_mask:0xf bank_mask:0xf
	v_cmp_lt_f32_e64 s[0:1], v1, v2
	v_cndmask_b32_e64 v1, v1, v2, s[0:1]
	s_nop 1
	v_mov_b32_dpp v2, v1 row_bcast:31 row_mask:0xf bank_mask:0xf
	v_cmp_lt_f32_e64 s[0:1], v1, v2
	v_cndmask_b32_e64 v2, v1, v2, s[0:1]
	v_mbcnt_lo_u32_b32 v1, -1, 0
	v_mbcnt_hi_u32_b32 v1, -1, v1
	v_lshl_or_b32 v1, v1, 2, v3
	ds_bpermute_b32 v3, v1, v2
	v_mov_b32_e32 v2, 0
	s_and_saveexec_b64 s[2:3], vcc
	s_cbranch_execz .LBB140_8
; %bb.5:
	s_load_dword s0, s[4:5], 0x4c
	v_lshl_add_u32 v4, v0, 2, 0
	s_mov_b64 s[16:17], 0
	v_mov_b32_e32 v2, 0
	s_mov_b32 s7, 0x3fb8aa3b
	s_waitcnt lgkmcnt(0)
	s_and_b32 s11, s0, 0xffff
	s_lshl_b32 s18, s11, 2
	s_mov_b32 s19, 0xc2ce8ed0
	s_mov_b32 s20, 0x42b17218
	v_mov_b32_e32 v5, 0x7f800000
	v_mov_b32_e32 v6, v0
.LBB140_6:                              ; =>This Inner Loop Header: Depth=1
	ds_read_b32 v7, v4
	v_add_u32_e32 v6, s11, v6
	s_waitcnt lgkmcnt(0)
	v_sub_f32_e32 v7, v7, v3
	v_mul_f32_e32 v8, 0x3fb8aa3b, v7
	v_fma_f32 v9, v7, s7, -v8
	v_rndne_f32_e32 v10, v8
	v_fmac_f32_e32 v9, 0x32a5705f, v7
	v_sub_f32_e32 v8, v8, v10
	v_add_f32_e32 v8, v8, v9
	v_cvt_i32_f32_e32 v10, v10
	v_exp_f32_e32 v8, v8
	v_cmp_ngt_f32_e64 s[0:1], s19, v7
	v_ldexp_f32 v8, v8, v10
	v_cndmask_b32_e64 v8, 0, v8, s[0:1]
	v_cmp_nlt_f32_e64 s[0:1], s20, v7
	v_cndmask_b32_e64 v7, v5, v8, s[0:1]
	v_cmp_le_i32_e64 s[0:1], s8, v6
	ds_write_b32 v4, v7
	v_add_f32_e32 v2, v2, v7
	s_or_b64 s[16:17], s[0:1], s[16:17]
	v_add_u32_e32 v4, s18, v4
	s_andn2_b64 exec, exec, s[16:17]
	s_cbranch_execnz .LBB140_6
; %bb.7:
	s_or_b64 exec, exec, s[16:17]
.LBB140_8:
	s_or_b64 exec, exec, s[2:3]
	s_waitcnt lgkmcnt(0)
	v_mov_b32_dpp v3, v2 quad_perm:[1,0,3,2] row_mask:0xf bank_mask:0xf
	v_add_f32_e32 v2, v2, v3
	s_barrier
	s_nop 0
	v_mov_b32_dpp v3, v2 quad_perm:[2,3,0,1] row_mask:0xf bank_mask:0xf
	v_add_f32_e32 v2, v2, v3
	s_nop 1
	v_mov_b32_dpp v3, v2 row_half_mirror row_mask:0xf bank_mask:0xf
	v_add_f32_e32 v2, v2, v3
	s_nop 1
	v_mov_b32_dpp v3, v2 row_mirror row_mask:0xf bank_mask:0xf
	v_add_f32_e32 v2, v2, v3
	s_nop 1
	v_mov_b32_dpp v3, v2 row_bcast:15 row_mask:0xf bank_mask:0xf
	v_add_f32_e32 v2, v2, v3
	s_nop 1
	v_mov_b32_dpp v3, v2 row_bcast:31 row_mask:0xf bank_mask:0xf
	v_add_f32_e32 v2, v2, v3
	ds_bpermute_b32 v1, v1, v2
	s_and_saveexec_b64 s[0:1], vcc
	s_cbranch_execz .LBB140_11
; %bb.9:
	s_load_dword s7, s[4:5], 0x4c
	v_lshl_add_u32 v2, v0, 2, 0
	s_mov_b64 s[2:3], 0
	v_mov_b32_e32 v3, v0
	s_waitcnt lgkmcnt(0)
	s_and_b32 s7, s7, 0xffff
	s_lshl_b32 s11, s7, 2
.LBB140_10:                             ; =>This Inner Loop Header: Depth=1
	ds_read_b32 v4, v2
	v_add_u32_e32 v3, s7, v3
	v_cmp_le_i32_e32 vcc, s8, v3
	s_or_b64 s[2:3], vcc, s[2:3]
	s_waitcnt lgkmcnt(0)
	v_div_scale_f32 v5, s[16:17], v1, v1, v4
	v_rcp_f32_e32 v6, v5
	v_div_scale_f32 v7, vcc, v4, v1, v4
	v_fma_f32 v8, -v5, v6, 1.0
	v_fmac_f32_e32 v6, v8, v6
	v_mul_f32_e32 v8, v7, v6
	v_fma_f32 v9, -v5, v8, v7
	v_fmac_f32_e32 v8, v9, v6
	v_fma_f32 v5, -v5, v8, v7
	v_div_fmas_f32 v5, v5, v6, v8
	v_div_fixup_f32 v4, v5, v1, v4
	ds_write_b32 v2, v4
	v_add_u32_e32 v2, s11, v2
	s_andn2_b64 exec, exec, s[2:3]
	s_cbranch_execnz .LBB140_10
.LBB140_11:
	s_or_b64 exec, exec, s[0:1]
	s_ashr_i32 s0, s8, 31
	s_lshr_b32 s0, s0, 30
	s_add_i32 s0, s8, s0
	s_ashr_i32 s11, s0, 2
	s_lshl_b32 s0, s8, 2
	s_add_i32 s7, s0, 0
	v_cmp_gt_u32_e32 vcc, 4, v0
	s_waitcnt lgkmcnt(0)
	s_barrier
	s_and_saveexec_b64 s[2:3], vcc
	s_cbranch_execz .LBB140_18
; %bb.12:
	s_load_dword s0, s[4:5], 0x4c
	v_mul_lo_u32 v1, v0, s11
	v_lshl_add_u32 v1, v1, 2, 0
	s_waitcnt lgkmcnt(0)
	s_and_b32 s20, s0, 0xffff
	s_cmp_gt_i32 s8, 3
	s_cselect_b64 s[0:1], -1, 0
	s_mul_i32 s16, s11, s20
	v_cndmask_b32_e64 v2, 0, 1, s[0:1]
	s_lshl_b32 s21, s16, 2
	s_mov_b64 s[16:17], 0
	v_cmp_ne_u32_e64 s[0:1], 1, v2
	v_mov_b32_e32 v2, v0
	s_branch .LBB140_14
.LBB140_13:                             ;   in Loop: Header=BB140_14 Depth=1
	v_lshl_add_u32 v4, v2, 2, s7
	v_add_u32_e32 v2, s20, v2
	v_cmp_lt_u32_e32 vcc, 3, v2
	s_or_b64 s[16:17], vcc, s[16:17]
	v_add_u32_e32 v1, s21, v1
	ds_write_b32 v4, v3
	s_andn2_b64 exec, exec, s[16:17]
	s_cbranch_execz .LBB140_18
.LBB140_14:                             ; =>This Loop Header: Depth=1
                                        ;     Child Loop BB140_16 Depth 2
	s_and_b64 vcc, exec, s[0:1]
	v_mov_b32_e32 v3, 0xff800000
	s_cbranch_vccnz .LBB140_13
; %bb.15:                               ;   in Loop: Header=BB140_14 Depth=1
	v_mul_lo_u32 v4, v2, s11
	v_add_u32_e32 v5, s11, v4
	s_mov_b64 s[18:19], 0
	v_mov_b32_e32 v3, 0xff800000
	v_mov_b32_e32 v6, v1
.LBB140_16:                             ;   Parent Loop BB140_14 Depth=1
                                        ; =>  This Inner Loop Header: Depth=2
	ds_read_b32 v7, v6
	v_add_u32_e32 v4, 1, v4
	v_cmp_ge_i32_e32 vcc, v4, v5
	s_or_b64 s[18:19], vcc, s[18:19]
	v_add_u32_e32 v6, 4, v6
	s_waitcnt lgkmcnt(0)
	v_cmp_gt_f32_e32 vcc, v7, v3
	v_cndmask_b32_e32 v3, v3, v7, vcc
	s_andn2_b64 exec, exec, s[18:19]
	s_cbranch_execnz .LBB140_16
; %bb.17:                               ;   in Loop: Header=BB140_14 Depth=1
	s_or_b64 exec, exec, s[18:19]
	s_branch .LBB140_13
.LBB140_18:
	s_or_b64 exec, exec, s[2:3]
	s_cmp_lt_i32 s10, 1
	s_waitcnt lgkmcnt(0)
	s_barrier
	s_cbranch_scc1 .LBB140_21
; %bb.19:
	v_mov_b32_e32 v1, s7
	s_mov_b32 s0, 0xff800000
	v_mov_b32_e32 v2, 0xff800000
.LBB140_20:                             ; =>This Inner Loop Header: Depth=1
	ds_read2_b32 v[4:5], v1 offset1:1
	ds_read2_b32 v[6:7], v1 offset0:2 offset1:3
	s_waitcnt lgkmcnt(1)
	v_cmp_nlg_f32_e32 vcc, s0, v4
	v_cndmask_b32_e64 v3, 0, 1, vcc
	v_cmp_lg_f32_e32 vcc, s0, v4
	v_cndmask_b32_e32 v4, v2, v4, vcc
	v_readfirstlane_b32 s1, v3
	v_cmp_gt_f32_e32 vcc, v5, v4
	s_lshl_b32 s1, s1, 2
	v_cndmask_b32_e32 v3, v4, v5, vcc
	s_and_b64 s[2:3], vcc, exec
	s_waitcnt lgkmcnt(0)
	v_cmp_gt_f32_e32 vcc, v6, v3
	v_cndmask_b32_e32 v3, v3, v6, vcc
	s_cselect_b32 s1, 1, s1
	s_and_b64 s[2:3], vcc, exec
	v_cmp_ngt_f32_e32 vcc, v7, v3
	s_cselect_b32 s1, 2, s1
	s_and_b64 s[2:3], vcc, exec
	s_cselect_b32 s1, s1, 3
	s_lshl_b32 s1, s1, 2
	s_add_i32 s1, s7, s1
	s_add_i32 s10, s10, -1
	v_mov_b32_e32 v3, s1
	s_cmp_lg_u32 s10, 0
	ds_write_b32 v3, v2
	s_cbranch_scc1 .LBB140_20
.LBB140_21:
	s_lshr_b32 s0, s8, 31
	s_add_i32 s0, s8, s0
	s_ashr_i32 s8, s0, 1
	v_cmp_gt_i32_e32 vcc, s8, v0
	v_lshlrev_b32_e32 v1, 1, v0
	v_lshl_add_u32 v4, v0, 3, 0
	s_and_saveexec_b64 s[2:3], vcc
	s_cbranch_execz .LBB140_26
; %bb.22:
	s_abs_i32 s18, s11
	v_cvt_f32_u32_e32 v2, s18
	s_load_dword s0, s[4:5], 0x4c
	s_sub_i32 s1, 0, s18
	s_ashr_i32 s19, s11, 31
	v_rcp_iflag_f32_e32 v2, v2
	v_lshlrev_b32_e32 v5, 1, v0
	s_waitcnt lgkmcnt(0)
	s_and_b32 s20, s0, 0xffff
	v_lshl_add_u32 v6, v0, 3, 0
	v_mul_f32_e32 v2, 0x4f7ffffe, v2
	v_cvt_u32_f32_e32 v2, v2
	s_mov_b64 s[10:11], 0
	s_lshl_b32 s21, s20, 1
	s_lshl_b32 s22, s20, 3
	v_mul_lo_u32 v3, s1, v2
	v_mul_hi_u32 v3, v2, v3
	v_add_u32_e32 v7, v2, v3
	s_mov_b32 s23, 0xff800000
	v_mov_b32_e32 v2, 0xff800000
	v_mov_b32_e32 v8, v0
	s_branch .LBB140_24
.LBB140_23:                             ;   in Loop: Header=BB140_24 Depth=1
	s_or_b64 exec, exec, s[16:17]
	v_add_u32_e32 v8, s20, v8
	v_cmp_le_i32_e64 s[0:1], s8, v8
	v_add_u32_e32 v5, s21, v5
	s_or_b64 s[10:11], s[0:1], s[10:11]
	v_add_u32_e32 v6, s22, v6
	s_andn2_b64 exec, exec, s[10:11]
	s_cbranch_execz .LBB140_26
.LBB140_24:                             ; =>This Inner Loop Header: Depth=1
	v_mul_hi_u32 v3, v5, v7
	v_mul_lo_u32 v9, v3, s18
	v_sub_u32_e32 v9, v5, v9
	v_add_u32_e32 v10, 1, v3
	v_cmp_le_u32_e64 s[0:1], s18, v9
	v_cndmask_b32_e64 v3, v3, v10, s[0:1]
	v_subrev_u32_e32 v10, s18, v9
	v_cndmask_b32_e64 v9, v9, v10, s[0:1]
	v_add_u32_e32 v10, 1, v3
	v_cmp_le_u32_e64 s[0:1], s18, v9
	v_cndmask_b32_e64 v3, v3, v10, s[0:1]
	v_xor_b32_e32 v3, s19, v3
	v_subrev_u32_e32 v3, s19, v3
	v_lshl_add_u32 v3, v3, 2, s7
	ds_read_b32 v3, v3
	s_waitcnt lgkmcnt(0)
	v_cmp_neq_f32_e64 s[0:1], s23, v3
	s_and_saveexec_b64 s[16:17], s[0:1]
	s_cbranch_execz .LBB140_23
; %bb.25:                               ;   in Loop: Header=BB140_24 Depth=1
	v_mov_b32_e32 v3, v2
	ds_write_b64 v6, v[2:3]
	s_branch .LBB140_23
.LBB140_26:
	s_or_b64 exec, exec, s[2:3]
	s_cmp_lt_i32 s9, 1
	s_waitcnt lgkmcnt(0)
	s_barrier
	s_cbranch_scc1 .LBB140_33
; %bb.27:
	s_add_u32 s2, s4, 64
	s_addc_u32 s3, s5, 0
	s_mov_b32 s7, 0
	v_mov_b32_e32 v5, 0xff800000
                                        ; implicit-def: $vgpr3
                                        ; implicit-def: $vgpr2
	s_branch .LBB140_29
.LBB140_28:                             ;   in Loop: Header=BB140_29 Depth=1
	s_or_b64 exec, exec, s[10:11]
	v_mov_b32_dpp v9, v7 quad_perm:[1,0,3,2] row_mask:0xf bank_mask:0xf
	v_cmp_lt_f32_e64 s[0:1], v7, v9
	v_cndmask_b32_e64 v7, v7, v9, s[0:1]
	v_mov_b32_dpp v8, v6 quad_perm:[1,0,3,2] row_mask:0xf bank_mask:0xf
	v_cndmask_b32_e64 v6, v6, v8, s[0:1]
	v_mov_b32_dpp v9, v7 quad_perm:[2,3,0,1] row_mask:0xf bank_mask:0xf
	v_cmp_gt_f32_e64 s[0:1], v9, v7
	v_cndmask_b32_e64 v7, v7, v9, s[0:1]
	v_mov_b32_dpp v8, v6 quad_perm:[2,3,0,1] row_mask:0xf bank_mask:0xf
	v_cndmask_b32_e64 v6, v6, v8, s[0:1]
	v_mov_b32_dpp v9, v7 row_half_mirror row_mask:0xf bank_mask:0xf
	v_cmp_gt_f32_e64 s[0:1], v9, v7
	v_cndmask_b32_e64 v7, v7, v9, s[0:1]
	v_mov_b32_dpp v8, v6 row_half_mirror row_mask:0xf bank_mask:0xf
	v_cndmask_b32_e64 v6, v6, v8, s[0:1]
	v_mov_b32_dpp v9, v7 row_mirror row_mask:0xf bank_mask:0xf
	v_cmp_gt_f32_e64 s[0:1], v9, v7
	v_cndmask_b32_e64 v7, v7, v9, s[0:1]
	v_mov_b32_dpp v8, v6 row_mirror row_mask:0xf bank_mask:0xf
	v_cndmask_b32_e64 v6, v6, v8, s[0:1]
	v_mov_b32_dpp v9, v7 row_bcast:15 row_mask:0xf bank_mask:0xf
	v_cmp_gt_f32_e64 s[0:1], v9, v7
	v_mov_b32_dpp v8, v6 row_bcast:15 row_mask:0xf bank_mask:0xf
	v_cndmask_b32_e64 v7, v7, v9, s[0:1]
	v_cndmask_b32_e64 v6, v6, v8, s[0:1]
	s_nop 0
	v_mov_b32_dpp v9, v7 row_bcast:31 row_mask:0xf bank_mask:0xf
	v_mov_b32_dpp v8, v6 row_bcast:31 row_mask:0xf bank_mask:0xf
	v_cmp_gt_f32_e64 s[0:1], v9, v7
	v_cndmask_b32_e64 v6, v6, v8, s[0:1]
	v_cndmask_b32_e64 v7, v7, v9, s[0:1]
	v_readlane_b32 s0, v6, 63
	s_lshl_b32 s1, s0, 2
	s_add_i32 s1, s1, 0
	v_mov_b32_e32 v6, s1
	v_readlane_b32 s10, v7, 63
	ds_write_b32 v6, v5
	v_mov_b32_e32 v6, s0
	v_cmp_eq_u32_e64 s[0:1], s7, v0
	v_cndmask_b32_e64 v2, v2, v6, s[0:1]
	v_mov_b32_e32 v6, s10
	s_add_i32 s7, s7, 1
	s_cmp_eq_u32 s7, s9
	v_cndmask_b32_e64 v3, v3, v6, s[0:1]
	s_cbranch_scc1 .LBB140_34
.LBB140_29:                             ; =>This Loop Header: Depth=1
                                        ;     Child Loop BB140_31 Depth 2
	v_mov_b32_e32 v6, s7
	v_mov_b32_e32 v7, 0xff800000
	s_and_saveexec_b64 s[10:11], vcc
	s_cbranch_execz .LBB140_28
; %bb.30:                               ;   in Loop: Header=BB140_29 Depth=1
	s_load_dword s0, s[2:3], 0xc
	s_mov_b64 s[16:17], 0
	v_mov_b32_e32 v6, s7
	v_mov_b32_e32 v7, 0xff800000
	;; [unrolled: 1-line block ×3, first 2 shown]
	s_waitcnt lgkmcnt(0)
	s_and_b32 s18, s0, 0xffff
	s_lshl_b32 s19, s18, 1
	s_lshl_b32 s20, s18, 3
	v_mov_b32_e32 v9, v1
	v_mov_b32_e32 v10, v0
.LBB140_31:                             ;   Parent Loop BB140_29 Depth=1
                                        ; =>  This Inner Loop Header: Depth=2
	ds_read_b64 v[12:13], v8
	v_add_u32_e32 v10, s18, v10
	v_cmp_le_i32_e64 s[0:1], s8, v10
	s_or_b64 s[16:17], s[0:1], s[16:17]
	v_add_u32_e32 v11, 1, v9
	s_waitcnt lgkmcnt(0)
	v_cmp_gt_f32_e64 s[0:1], v12, v7
	v_cndmask_b32_e64 v7, v7, v12, s[0:1]
	v_cndmask_b32_e64 v6, v6, v9, s[0:1]
	v_cmp_gt_f32_e64 s[0:1], v13, v7
	v_add_u32_e32 v8, s20, v8
	v_cndmask_b32_e64 v7, v7, v13, s[0:1]
	v_add_u32_e32 v9, s19, v9
	v_cndmask_b32_e64 v6, v6, v11, s[0:1]
	s_andn2_b64 exec, exec, s[16:17]
	s_cbranch_execnz .LBB140_31
; %bb.32:                               ;   in Loop: Header=BB140_29 Depth=1
	s_or_b64 exec, exec, s[16:17]
	s_branch .LBB140_28
.LBB140_33:
                                        ; implicit-def: $vgpr3
                                        ; implicit-def: $vgpr2
.LBB140_34:
	v_cmp_gt_i32_e32 vcc, s9, v0
	s_and_saveexec_b64 s[0:1], vcc
	s_cbranch_execz .LBB140_37
; %bb.35:
	s_load_dword s2, s[4:5], 0x38
	s_load_dwordx2 s[0:1], s[4:5], 0x20
	s_ashr_i32 s3, s6, 31
	s_load_dword s4, s[4:5], 0x4c
	v_mov_b32_e32 v4, s13
	s_waitcnt lgkmcnt(0)
	v_mul_f32_e32 v1, s2, v3
	s_mul_i32 s1, s6, s1
	s_mul_hi_u32 s2, s6, s0
	s_add_i32 s1, s2, s1
	s_mul_i32 s3, s3, s0
	s_add_i32 s5, s1, s3
	s_mul_i32 s2, s6, s0
	s_and_b32 s3, s4, 0xffff
	s_mov_b64 s[0:1], 0
	v_mov_b32_e32 v3, s5
	v_mov_b32_e32 v5, s15
.LBB140_36:                             ; =>This Inner Loop Header: Depth=1
	v_ashrrev_i32_e32 v7, 31, v0
	v_add_co_u32_e32 v6, vcc, s2, v0
	v_addc_co_u32_e32 v7, vcc, v3, v7, vcc
	v_add_u32_e32 v0, s3, v0
	v_cmp_le_i32_e32 vcc, s9, v0
	v_lshlrev_b64 v[6:7], 2, v[6:7]
	s_or_b64 s[0:1], vcc, s[0:1]
	v_add_co_u32_e32 v8, vcc, s12, v6
	v_addc_co_u32_e32 v9, vcc, v4, v7, vcc
	v_add_co_u32_e32 v6, vcc, s14, v6
	v_addc_co_u32_e32 v7, vcc, v5, v7, vcc
	global_store_dword v[8:9], v1, off
	global_store_dword v[6:7], v2, off
	s_andn2_b64 exec, exec, s[0:1]
	s_cbranch_execnz .LBB140_36
.LBB140_37:
	s_endpgm
	.section	.rodata,"a",@progbits
	.p2align	6, 0x0
	.amdhsa_kernel _ZN5aiter19grouped_topk_kernelIN3c104HalfEDv2_fLi4ELb0ELb0ELb1EEEvPT_PKS4_PfPimiiiif
		.amdhsa_group_segment_fixed_size 0
		.amdhsa_private_segment_fixed_size 0
		.amdhsa_kernarg_size 320
		.amdhsa_user_sgpr_count 6
		.amdhsa_user_sgpr_private_segment_buffer 1
		.amdhsa_user_sgpr_dispatch_ptr 0
		.amdhsa_user_sgpr_queue_ptr 0
		.amdhsa_user_sgpr_kernarg_segment_ptr 1
		.amdhsa_user_sgpr_dispatch_id 0
		.amdhsa_user_sgpr_flat_scratch_init 0
		.amdhsa_user_sgpr_kernarg_preload_length 0
		.amdhsa_user_sgpr_kernarg_preload_offset 0
		.amdhsa_user_sgpr_private_segment_size 0
		.amdhsa_uses_dynamic_stack 0
		.amdhsa_system_sgpr_private_segment_wavefront_offset 0
		.amdhsa_system_sgpr_workgroup_id_x 1
		.amdhsa_system_sgpr_workgroup_id_y 0
		.amdhsa_system_sgpr_workgroup_id_z 0
		.amdhsa_system_sgpr_workgroup_info 0
		.amdhsa_system_vgpr_workitem_id 0
		.amdhsa_next_free_vgpr 14
		.amdhsa_next_free_sgpr 24
		.amdhsa_accum_offset 16
		.amdhsa_reserve_vcc 1
		.amdhsa_reserve_flat_scratch 0
		.amdhsa_float_round_mode_32 0
		.amdhsa_float_round_mode_16_64 0
		.amdhsa_float_denorm_mode_32 3
		.amdhsa_float_denorm_mode_16_64 3
		.amdhsa_dx10_clamp 1
		.amdhsa_ieee_mode 1
		.amdhsa_fp16_overflow 0
		.amdhsa_tg_split 0
		.amdhsa_exception_fp_ieee_invalid_op 0
		.amdhsa_exception_fp_denorm_src 0
		.amdhsa_exception_fp_ieee_div_zero 0
		.amdhsa_exception_fp_ieee_overflow 0
		.amdhsa_exception_fp_ieee_underflow 0
		.amdhsa_exception_fp_ieee_inexact 0
		.amdhsa_exception_int_div_zero 0
	.end_amdhsa_kernel
	.section	.text._ZN5aiter19grouped_topk_kernelIN3c104HalfEDv2_fLi4ELb0ELb0ELb1EEEvPT_PKS4_PfPimiiiif,"axG",@progbits,_ZN5aiter19grouped_topk_kernelIN3c104HalfEDv2_fLi4ELb0ELb0ELb1EEEvPT_PKS4_PfPimiiiif,comdat
.Lfunc_end140:
	.size	_ZN5aiter19grouped_topk_kernelIN3c104HalfEDv2_fLi4ELb0ELb0ELb1EEEvPT_PKS4_PfPimiiiif, .Lfunc_end140-_ZN5aiter19grouped_topk_kernelIN3c104HalfEDv2_fLi4ELb0ELb0ELb1EEEvPT_PKS4_PfPimiiiif
                                        ; -- End function
	.section	.AMDGPU.csdata,"",@progbits
; Kernel info:
; codeLenInByte = 2404
; NumSgprs: 28
; NumVgprs: 14
; NumAgprs: 0
; TotalNumVgprs: 14
; ScratchSize: 0
; MemoryBound: 0
; FloatMode: 240
; IeeeMode: 1
; LDSByteSize: 0 bytes/workgroup (compile time only)
; SGPRBlocks: 3
; VGPRBlocks: 1
; NumSGPRsForWavesPerEU: 28
; NumVGPRsForWavesPerEU: 14
; AccumOffset: 16
; Occupancy: 8
; WaveLimiterHint : 0
; COMPUTE_PGM_RSRC2:SCRATCH_EN: 0
; COMPUTE_PGM_RSRC2:USER_SGPR: 6
; COMPUTE_PGM_RSRC2:TRAP_HANDLER: 0
; COMPUTE_PGM_RSRC2:TGID_X_EN: 1
; COMPUTE_PGM_RSRC2:TGID_Y_EN: 0
; COMPUTE_PGM_RSRC2:TGID_Z_EN: 0
; COMPUTE_PGM_RSRC2:TIDIG_COMP_CNT: 0
; COMPUTE_PGM_RSRC3_GFX90A:ACCUM_OFFSET: 3
; COMPUTE_PGM_RSRC3_GFX90A:TG_SPLIT: 0
	.section	.text._ZN5aiter19grouped_topk_kernelIN3c108BFloat16EDv2_fLi4ELb0ELb0ELb1EEEvPT_PKS4_PfPimiiiif,"axG",@progbits,_ZN5aiter19grouped_topk_kernelIN3c108BFloat16EDv2_fLi4ELb0ELb0ELb1EEEvPT_PKS4_PfPimiiiif,comdat
	.protected	_ZN5aiter19grouped_topk_kernelIN3c108BFloat16EDv2_fLi4ELb0ELb0ELb1EEEvPT_PKS4_PfPimiiiif ; -- Begin function _ZN5aiter19grouped_topk_kernelIN3c108BFloat16EDv2_fLi4ELb0ELb0ELb1EEEvPT_PKS4_PfPimiiiif
	.globl	_ZN5aiter19grouped_topk_kernelIN3c108BFloat16EDv2_fLi4ELb0ELb0ELb1EEEvPT_PKS4_PfPimiiiif
	.p2align	8
	.type	_ZN5aiter19grouped_topk_kernelIN3c108BFloat16EDv2_fLi4ELb0ELb0ELb1EEEvPT_PKS4_PfPimiiiif,@function
_ZN5aiter19grouped_topk_kernelIN3c108BFloat16EDv2_fLi4ELb0ELb0ELb1EEEvPT_PKS4_PfPimiiiif: ; @_ZN5aiter19grouped_topk_kernelIN3c108BFloat16EDv2_fLi4ELb0ELb0ELb1EEEvPT_PKS4_PfPimiiiif
; %bb.0:
	s_load_dwordx4 s[8:11], s[4:5], 0x28
	s_load_dwordx4 s[12:15], s[4:5], 0x10
	v_mov_b32_e32 v1, 0xff800000
	s_waitcnt lgkmcnt(0)
	v_cmp_gt_i32_e32 vcc, s8, v0
	s_and_saveexec_b64 s[2:3], vcc
	s_cbranch_execz .LBB141_4
; %bb.1:
	s_load_dword s0, s[4:5], 0x4c
	s_load_dwordx2 s[16:17], s[4:5], 0x0
	s_mul_i32 s7, s6, s8
	v_lshl_add_u32 v2, v0, 2, 0
	s_mov_b64 s[18:19], 0
	s_waitcnt lgkmcnt(0)
	s_and_b32 s11, s0, 0xffff
	s_lshl_b32 s20, s11, 2
	v_mov_b32_e32 v1, 0xff800000
	v_mov_b32_e32 v3, s17
	;; [unrolled: 1-line block ×3, first 2 shown]
.LBB141_2:                              ; =>This Inner Loop Header: Depth=1
	v_add_u32_e32 v6, s7, v4
	v_ashrrev_i32_e32 v7, 31, v6
	v_lshlrev_b64 v[6:7], 1, v[6:7]
	v_add_co_u32_e64 v6, s[0:1], s16, v6
	v_addc_co_u32_e64 v7, s[0:1], v3, v7, s[0:1]
	global_load_ushort v5, v[6:7], off
	v_add_u32_e32 v4, s11, v4
	v_cmp_le_i32_e64 s[0:1], s8, v4
	s_or_b64 s[18:19], s[0:1], s[18:19]
	s_waitcnt vmcnt(0)
	v_lshrrev_b16_e32 v6, 8, v5
	v_and_b32_e32 v5, 0xff, v5
	v_lshlrev_b32_e32 v5, 16, v5
	v_lshl_or_b32 v5, v6, 24, v5
	v_cmp_lt_f32_e64 s[0:1], v1, v5
	ds_write_b32 v2, v5
	v_cndmask_b32_e64 v1, v1, v5, s[0:1]
	v_add_u32_e32 v2, s20, v2
	s_andn2_b64 exec, exec, s[18:19]
	s_cbranch_execnz .LBB141_2
; %bb.3:
	s_or_b64 exec, exec, s[18:19]
.LBB141_4:
	s_or_b64 exec, exec, s[2:3]
	v_mov_b32_dpp v2, v1 quad_perm:[1,0,3,2] row_mask:0xf bank_mask:0xf
	v_cmp_lt_f32_e64 s[0:1], v1, v2
	v_cndmask_b32_e64 v1, v1, v2, s[0:1]
	v_bfrev_b32_e32 v3, 0.5
	s_waitcnt lgkmcnt(0)
	v_mov_b32_dpp v2, v1 quad_perm:[2,3,0,1] row_mask:0xf bank_mask:0xf
	v_cmp_lt_f32_e64 s[0:1], v1, v2
	v_cndmask_b32_e64 v1, v1, v2, s[0:1]
	s_barrier
	s_nop 0
	v_mov_b32_dpp v2, v1 row_half_mirror row_mask:0xf bank_mask:0xf
	v_cmp_lt_f32_e64 s[0:1], v1, v2
	v_cndmask_b32_e64 v1, v1, v2, s[0:1]
	s_nop 1
	v_mov_b32_dpp v2, v1 row_mirror row_mask:0xf bank_mask:0xf
	v_cmp_lt_f32_e64 s[0:1], v1, v2
	v_cndmask_b32_e64 v1, v1, v2, s[0:1]
	s_nop 1
	v_mov_b32_dpp v2, v1 row_bcast:15 row_mask:0xf bank_mask:0xf
	v_cmp_lt_f32_e64 s[0:1], v1, v2
	v_cndmask_b32_e64 v1, v1, v2, s[0:1]
	s_nop 1
	v_mov_b32_dpp v2, v1 row_bcast:31 row_mask:0xf bank_mask:0xf
	v_cmp_lt_f32_e64 s[0:1], v1, v2
	v_cndmask_b32_e64 v2, v1, v2, s[0:1]
	v_mbcnt_lo_u32_b32 v1, -1, 0
	v_mbcnt_hi_u32_b32 v1, -1, v1
	v_lshl_or_b32 v1, v1, 2, v3
	ds_bpermute_b32 v3, v1, v2
	v_mov_b32_e32 v2, 0
	s_and_saveexec_b64 s[2:3], vcc
	s_cbranch_execz .LBB141_8
; %bb.5:
	s_load_dword s0, s[4:5], 0x4c
	v_lshl_add_u32 v4, v0, 2, 0
	s_mov_b64 s[16:17], 0
	v_mov_b32_e32 v2, 0
	s_mov_b32 s7, 0x3fb8aa3b
	s_waitcnt lgkmcnt(0)
	s_and_b32 s11, s0, 0xffff
	s_lshl_b32 s18, s11, 2
	s_mov_b32 s19, 0xc2ce8ed0
	s_mov_b32 s20, 0x42b17218
	v_mov_b32_e32 v5, 0x7f800000
	v_mov_b32_e32 v6, v0
.LBB141_6:                              ; =>This Inner Loop Header: Depth=1
	ds_read_b32 v7, v4
	v_add_u32_e32 v6, s11, v6
	s_waitcnt lgkmcnt(0)
	v_sub_f32_e32 v7, v7, v3
	v_mul_f32_e32 v8, 0x3fb8aa3b, v7
	v_fma_f32 v9, v7, s7, -v8
	v_rndne_f32_e32 v10, v8
	v_fmac_f32_e32 v9, 0x32a5705f, v7
	v_sub_f32_e32 v8, v8, v10
	v_add_f32_e32 v8, v8, v9
	v_cvt_i32_f32_e32 v10, v10
	v_exp_f32_e32 v8, v8
	v_cmp_ngt_f32_e64 s[0:1], s19, v7
	v_ldexp_f32 v8, v8, v10
	v_cndmask_b32_e64 v8, 0, v8, s[0:1]
	v_cmp_nlt_f32_e64 s[0:1], s20, v7
	v_cndmask_b32_e64 v7, v5, v8, s[0:1]
	v_cmp_le_i32_e64 s[0:1], s8, v6
	ds_write_b32 v4, v7
	v_add_f32_e32 v2, v2, v7
	s_or_b64 s[16:17], s[0:1], s[16:17]
	v_add_u32_e32 v4, s18, v4
	s_andn2_b64 exec, exec, s[16:17]
	s_cbranch_execnz .LBB141_6
; %bb.7:
	s_or_b64 exec, exec, s[16:17]
.LBB141_8:
	s_or_b64 exec, exec, s[2:3]
	s_waitcnt lgkmcnt(0)
	v_mov_b32_dpp v3, v2 quad_perm:[1,0,3,2] row_mask:0xf bank_mask:0xf
	v_add_f32_e32 v2, v2, v3
	s_barrier
	s_nop 0
	v_mov_b32_dpp v3, v2 quad_perm:[2,3,0,1] row_mask:0xf bank_mask:0xf
	v_add_f32_e32 v2, v2, v3
	s_nop 1
	v_mov_b32_dpp v3, v2 row_half_mirror row_mask:0xf bank_mask:0xf
	v_add_f32_e32 v2, v2, v3
	s_nop 1
	v_mov_b32_dpp v3, v2 row_mirror row_mask:0xf bank_mask:0xf
	v_add_f32_e32 v2, v2, v3
	s_nop 1
	v_mov_b32_dpp v3, v2 row_bcast:15 row_mask:0xf bank_mask:0xf
	v_add_f32_e32 v2, v2, v3
	s_nop 1
	v_mov_b32_dpp v3, v2 row_bcast:31 row_mask:0xf bank_mask:0xf
	v_add_f32_e32 v2, v2, v3
	ds_bpermute_b32 v1, v1, v2
	s_and_saveexec_b64 s[0:1], vcc
	s_cbranch_execz .LBB141_11
; %bb.9:
	s_load_dword s7, s[4:5], 0x4c
	v_lshl_add_u32 v2, v0, 2, 0
	s_mov_b64 s[2:3], 0
	v_mov_b32_e32 v3, v0
	s_waitcnt lgkmcnt(0)
	s_and_b32 s7, s7, 0xffff
	s_lshl_b32 s11, s7, 2
.LBB141_10:                             ; =>This Inner Loop Header: Depth=1
	ds_read_b32 v4, v2
	v_add_u32_e32 v3, s7, v3
	v_cmp_le_i32_e32 vcc, s8, v3
	s_or_b64 s[2:3], vcc, s[2:3]
	s_waitcnt lgkmcnt(0)
	v_div_scale_f32 v5, s[16:17], v1, v1, v4
	v_rcp_f32_e32 v6, v5
	v_div_scale_f32 v7, vcc, v4, v1, v4
	v_fma_f32 v8, -v5, v6, 1.0
	v_fmac_f32_e32 v6, v8, v6
	v_mul_f32_e32 v8, v7, v6
	v_fma_f32 v9, -v5, v8, v7
	v_fmac_f32_e32 v8, v9, v6
	v_fma_f32 v5, -v5, v8, v7
	v_div_fmas_f32 v5, v5, v6, v8
	v_div_fixup_f32 v4, v5, v1, v4
	ds_write_b32 v2, v4
	v_add_u32_e32 v2, s11, v2
	s_andn2_b64 exec, exec, s[2:3]
	s_cbranch_execnz .LBB141_10
.LBB141_11:
	s_or_b64 exec, exec, s[0:1]
	s_ashr_i32 s0, s8, 31
	s_lshr_b32 s0, s0, 30
	s_add_i32 s0, s8, s0
	s_ashr_i32 s11, s0, 2
	s_lshl_b32 s0, s8, 2
	s_add_i32 s7, s0, 0
	v_cmp_gt_u32_e32 vcc, 4, v0
	s_waitcnt lgkmcnt(0)
	s_barrier
	s_and_saveexec_b64 s[2:3], vcc
	s_cbranch_execz .LBB141_18
; %bb.12:
	s_load_dword s0, s[4:5], 0x4c
	v_mul_lo_u32 v1, v0, s11
	v_lshl_add_u32 v1, v1, 2, 0
	s_waitcnt lgkmcnt(0)
	s_and_b32 s20, s0, 0xffff
	s_cmp_gt_i32 s8, 3
	s_cselect_b64 s[0:1], -1, 0
	s_mul_i32 s16, s11, s20
	v_cndmask_b32_e64 v2, 0, 1, s[0:1]
	s_lshl_b32 s21, s16, 2
	s_mov_b64 s[16:17], 0
	v_cmp_ne_u32_e64 s[0:1], 1, v2
	v_mov_b32_e32 v2, v0
	s_branch .LBB141_14
.LBB141_13:                             ;   in Loop: Header=BB141_14 Depth=1
	v_lshl_add_u32 v4, v2, 2, s7
	v_add_u32_e32 v2, s20, v2
	v_cmp_lt_u32_e32 vcc, 3, v2
	s_or_b64 s[16:17], vcc, s[16:17]
	v_add_u32_e32 v1, s21, v1
	ds_write_b32 v4, v3
	s_andn2_b64 exec, exec, s[16:17]
	s_cbranch_execz .LBB141_18
.LBB141_14:                             ; =>This Loop Header: Depth=1
                                        ;     Child Loop BB141_16 Depth 2
	s_and_b64 vcc, exec, s[0:1]
	v_mov_b32_e32 v3, 0xff800000
	s_cbranch_vccnz .LBB141_13
; %bb.15:                               ;   in Loop: Header=BB141_14 Depth=1
	v_mul_lo_u32 v4, v2, s11
	v_add_u32_e32 v5, s11, v4
	s_mov_b64 s[18:19], 0
	v_mov_b32_e32 v3, 0xff800000
	v_mov_b32_e32 v6, v1
.LBB141_16:                             ;   Parent Loop BB141_14 Depth=1
                                        ; =>  This Inner Loop Header: Depth=2
	ds_read_b32 v7, v6
	v_add_u32_e32 v4, 1, v4
	v_cmp_ge_i32_e32 vcc, v4, v5
	s_or_b64 s[18:19], vcc, s[18:19]
	v_add_u32_e32 v6, 4, v6
	s_waitcnt lgkmcnt(0)
	v_cmp_gt_f32_e32 vcc, v7, v3
	v_cndmask_b32_e32 v3, v3, v7, vcc
	s_andn2_b64 exec, exec, s[18:19]
	s_cbranch_execnz .LBB141_16
; %bb.17:                               ;   in Loop: Header=BB141_14 Depth=1
	s_or_b64 exec, exec, s[18:19]
	s_branch .LBB141_13
.LBB141_18:
	s_or_b64 exec, exec, s[2:3]
	s_cmp_lt_i32 s10, 1
	s_waitcnt lgkmcnt(0)
	s_barrier
	s_cbranch_scc1 .LBB141_21
; %bb.19:
	v_mov_b32_e32 v1, s7
	s_mov_b32 s0, 0xff800000
	v_mov_b32_e32 v2, 0xff800000
.LBB141_20:                             ; =>This Inner Loop Header: Depth=1
	ds_read2_b32 v[4:5], v1 offset1:1
	ds_read2_b32 v[6:7], v1 offset0:2 offset1:3
	s_waitcnt lgkmcnt(1)
	v_cmp_nlg_f32_e32 vcc, s0, v4
	v_cndmask_b32_e64 v3, 0, 1, vcc
	v_cmp_lg_f32_e32 vcc, s0, v4
	v_cndmask_b32_e32 v4, v2, v4, vcc
	v_readfirstlane_b32 s1, v3
	v_cmp_gt_f32_e32 vcc, v5, v4
	s_lshl_b32 s1, s1, 2
	v_cndmask_b32_e32 v3, v4, v5, vcc
	s_and_b64 s[2:3], vcc, exec
	s_waitcnt lgkmcnt(0)
	v_cmp_gt_f32_e32 vcc, v6, v3
	v_cndmask_b32_e32 v3, v3, v6, vcc
	s_cselect_b32 s1, 1, s1
	s_and_b64 s[2:3], vcc, exec
	v_cmp_ngt_f32_e32 vcc, v7, v3
	s_cselect_b32 s1, 2, s1
	s_and_b64 s[2:3], vcc, exec
	s_cselect_b32 s1, s1, 3
	s_lshl_b32 s1, s1, 2
	s_add_i32 s1, s7, s1
	s_add_i32 s10, s10, -1
	v_mov_b32_e32 v3, s1
	s_cmp_lg_u32 s10, 0
	ds_write_b32 v3, v2
	s_cbranch_scc1 .LBB141_20
.LBB141_21:
	s_lshr_b32 s0, s8, 31
	s_add_i32 s0, s8, s0
	s_ashr_i32 s8, s0, 1
	v_cmp_gt_i32_e32 vcc, s8, v0
	v_lshlrev_b32_e32 v1, 1, v0
	v_lshl_add_u32 v4, v0, 3, 0
	s_and_saveexec_b64 s[2:3], vcc
	s_cbranch_execz .LBB141_26
; %bb.22:
	s_abs_i32 s18, s11
	v_cvt_f32_u32_e32 v2, s18
	s_load_dword s0, s[4:5], 0x4c
	s_sub_i32 s1, 0, s18
	s_ashr_i32 s19, s11, 31
	v_rcp_iflag_f32_e32 v2, v2
	v_lshlrev_b32_e32 v5, 1, v0
	s_waitcnt lgkmcnt(0)
	s_and_b32 s20, s0, 0xffff
	v_lshl_add_u32 v6, v0, 3, 0
	v_mul_f32_e32 v2, 0x4f7ffffe, v2
	v_cvt_u32_f32_e32 v2, v2
	s_mov_b64 s[10:11], 0
	s_lshl_b32 s21, s20, 1
	s_lshl_b32 s22, s20, 3
	v_mul_lo_u32 v3, s1, v2
	v_mul_hi_u32 v3, v2, v3
	v_add_u32_e32 v7, v2, v3
	s_mov_b32 s23, 0xff800000
	v_mov_b32_e32 v2, 0xff800000
	v_mov_b32_e32 v8, v0
	s_branch .LBB141_24
.LBB141_23:                             ;   in Loop: Header=BB141_24 Depth=1
	s_or_b64 exec, exec, s[16:17]
	v_add_u32_e32 v8, s20, v8
	v_cmp_le_i32_e64 s[0:1], s8, v8
	v_add_u32_e32 v5, s21, v5
	s_or_b64 s[10:11], s[0:1], s[10:11]
	v_add_u32_e32 v6, s22, v6
	s_andn2_b64 exec, exec, s[10:11]
	s_cbranch_execz .LBB141_26
.LBB141_24:                             ; =>This Inner Loop Header: Depth=1
	v_mul_hi_u32 v3, v5, v7
	v_mul_lo_u32 v9, v3, s18
	v_sub_u32_e32 v9, v5, v9
	v_add_u32_e32 v10, 1, v3
	v_cmp_le_u32_e64 s[0:1], s18, v9
	v_cndmask_b32_e64 v3, v3, v10, s[0:1]
	v_subrev_u32_e32 v10, s18, v9
	v_cndmask_b32_e64 v9, v9, v10, s[0:1]
	v_add_u32_e32 v10, 1, v3
	v_cmp_le_u32_e64 s[0:1], s18, v9
	v_cndmask_b32_e64 v3, v3, v10, s[0:1]
	v_xor_b32_e32 v3, s19, v3
	v_subrev_u32_e32 v3, s19, v3
	v_lshl_add_u32 v3, v3, 2, s7
	ds_read_b32 v3, v3
	s_waitcnt lgkmcnt(0)
	v_cmp_neq_f32_e64 s[0:1], s23, v3
	s_and_saveexec_b64 s[16:17], s[0:1]
	s_cbranch_execz .LBB141_23
; %bb.25:                               ;   in Loop: Header=BB141_24 Depth=1
	v_mov_b32_e32 v3, v2
	ds_write_b64 v6, v[2:3]
	s_branch .LBB141_23
.LBB141_26:
	s_or_b64 exec, exec, s[2:3]
	s_cmp_lt_i32 s9, 1
	s_waitcnt lgkmcnt(0)
	s_barrier
	s_cbranch_scc1 .LBB141_33
; %bb.27:
	s_add_u32 s2, s4, 64
	s_addc_u32 s3, s5, 0
	s_mov_b32 s7, 0
	v_mov_b32_e32 v5, 0xff800000
                                        ; implicit-def: $vgpr3
                                        ; implicit-def: $vgpr2
	s_branch .LBB141_29
.LBB141_28:                             ;   in Loop: Header=BB141_29 Depth=1
	s_or_b64 exec, exec, s[10:11]
	v_mov_b32_dpp v9, v7 quad_perm:[1,0,3,2] row_mask:0xf bank_mask:0xf
	v_cmp_lt_f32_e64 s[0:1], v7, v9
	v_cndmask_b32_e64 v7, v7, v9, s[0:1]
	v_mov_b32_dpp v8, v6 quad_perm:[1,0,3,2] row_mask:0xf bank_mask:0xf
	v_cndmask_b32_e64 v6, v6, v8, s[0:1]
	v_mov_b32_dpp v9, v7 quad_perm:[2,3,0,1] row_mask:0xf bank_mask:0xf
	v_cmp_gt_f32_e64 s[0:1], v9, v7
	v_cndmask_b32_e64 v7, v7, v9, s[0:1]
	v_mov_b32_dpp v8, v6 quad_perm:[2,3,0,1] row_mask:0xf bank_mask:0xf
	v_cndmask_b32_e64 v6, v6, v8, s[0:1]
	v_mov_b32_dpp v9, v7 row_half_mirror row_mask:0xf bank_mask:0xf
	v_cmp_gt_f32_e64 s[0:1], v9, v7
	v_cndmask_b32_e64 v7, v7, v9, s[0:1]
	v_mov_b32_dpp v8, v6 row_half_mirror row_mask:0xf bank_mask:0xf
	v_cndmask_b32_e64 v6, v6, v8, s[0:1]
	v_mov_b32_dpp v9, v7 row_mirror row_mask:0xf bank_mask:0xf
	v_cmp_gt_f32_e64 s[0:1], v9, v7
	v_cndmask_b32_e64 v7, v7, v9, s[0:1]
	v_mov_b32_dpp v8, v6 row_mirror row_mask:0xf bank_mask:0xf
	v_cndmask_b32_e64 v6, v6, v8, s[0:1]
	v_mov_b32_dpp v9, v7 row_bcast:15 row_mask:0xf bank_mask:0xf
	v_cmp_gt_f32_e64 s[0:1], v9, v7
	v_mov_b32_dpp v8, v6 row_bcast:15 row_mask:0xf bank_mask:0xf
	v_cndmask_b32_e64 v7, v7, v9, s[0:1]
	v_cndmask_b32_e64 v6, v6, v8, s[0:1]
	s_nop 0
	v_mov_b32_dpp v9, v7 row_bcast:31 row_mask:0xf bank_mask:0xf
	v_mov_b32_dpp v8, v6 row_bcast:31 row_mask:0xf bank_mask:0xf
	v_cmp_gt_f32_e64 s[0:1], v9, v7
	v_cndmask_b32_e64 v6, v6, v8, s[0:1]
	v_cndmask_b32_e64 v7, v7, v9, s[0:1]
	v_readlane_b32 s0, v6, 63
	s_lshl_b32 s1, s0, 2
	s_add_i32 s1, s1, 0
	v_mov_b32_e32 v6, s1
	v_readlane_b32 s10, v7, 63
	ds_write_b32 v6, v5
	v_mov_b32_e32 v6, s0
	v_cmp_eq_u32_e64 s[0:1], s7, v0
	v_cndmask_b32_e64 v2, v2, v6, s[0:1]
	v_mov_b32_e32 v6, s10
	s_add_i32 s7, s7, 1
	s_cmp_eq_u32 s7, s9
	v_cndmask_b32_e64 v3, v3, v6, s[0:1]
	s_cbranch_scc1 .LBB141_34
.LBB141_29:                             ; =>This Loop Header: Depth=1
                                        ;     Child Loop BB141_31 Depth 2
	v_mov_b32_e32 v6, s7
	v_mov_b32_e32 v7, 0xff800000
	s_and_saveexec_b64 s[10:11], vcc
	s_cbranch_execz .LBB141_28
; %bb.30:                               ;   in Loop: Header=BB141_29 Depth=1
	s_load_dword s0, s[2:3], 0xc
	s_mov_b64 s[16:17], 0
	v_mov_b32_e32 v6, s7
	v_mov_b32_e32 v7, 0xff800000
	;; [unrolled: 1-line block ×3, first 2 shown]
	s_waitcnt lgkmcnt(0)
	s_and_b32 s18, s0, 0xffff
	s_lshl_b32 s19, s18, 1
	s_lshl_b32 s20, s18, 3
	v_mov_b32_e32 v9, v1
	v_mov_b32_e32 v10, v0
.LBB141_31:                             ;   Parent Loop BB141_29 Depth=1
                                        ; =>  This Inner Loop Header: Depth=2
	ds_read_b64 v[12:13], v8
	v_add_u32_e32 v10, s18, v10
	v_cmp_le_i32_e64 s[0:1], s8, v10
	s_or_b64 s[16:17], s[0:1], s[16:17]
	v_add_u32_e32 v11, 1, v9
	s_waitcnt lgkmcnt(0)
	v_cmp_gt_f32_e64 s[0:1], v12, v7
	v_cndmask_b32_e64 v7, v7, v12, s[0:1]
	v_cndmask_b32_e64 v6, v6, v9, s[0:1]
	v_cmp_gt_f32_e64 s[0:1], v13, v7
	v_add_u32_e32 v8, s20, v8
	v_cndmask_b32_e64 v7, v7, v13, s[0:1]
	v_add_u32_e32 v9, s19, v9
	v_cndmask_b32_e64 v6, v6, v11, s[0:1]
	s_andn2_b64 exec, exec, s[16:17]
	s_cbranch_execnz .LBB141_31
; %bb.32:                               ;   in Loop: Header=BB141_29 Depth=1
	s_or_b64 exec, exec, s[16:17]
	s_branch .LBB141_28
.LBB141_33:
                                        ; implicit-def: $vgpr3
                                        ; implicit-def: $vgpr2
.LBB141_34:
	v_cmp_gt_i32_e32 vcc, s9, v0
	s_and_saveexec_b64 s[0:1], vcc
	s_cbranch_execz .LBB141_37
; %bb.35:
	s_load_dword s2, s[4:5], 0x38
	s_load_dwordx2 s[0:1], s[4:5], 0x20
	s_ashr_i32 s3, s6, 31
	s_load_dword s4, s[4:5], 0x4c
	v_mov_b32_e32 v4, s13
	s_waitcnt lgkmcnt(0)
	v_mul_f32_e32 v1, s2, v3
	s_mul_i32 s1, s6, s1
	s_mul_hi_u32 s2, s6, s0
	s_add_i32 s1, s2, s1
	s_mul_i32 s3, s3, s0
	s_add_i32 s5, s1, s3
	s_mul_i32 s2, s6, s0
	s_and_b32 s3, s4, 0xffff
	s_mov_b64 s[0:1], 0
	v_mov_b32_e32 v3, s5
	v_mov_b32_e32 v5, s15
.LBB141_36:                             ; =>This Inner Loop Header: Depth=1
	v_ashrrev_i32_e32 v7, 31, v0
	v_add_co_u32_e32 v6, vcc, s2, v0
	v_addc_co_u32_e32 v7, vcc, v3, v7, vcc
	v_add_u32_e32 v0, s3, v0
	v_cmp_le_i32_e32 vcc, s9, v0
	v_lshlrev_b64 v[6:7], 2, v[6:7]
	s_or_b64 s[0:1], vcc, s[0:1]
	v_add_co_u32_e32 v8, vcc, s12, v6
	v_addc_co_u32_e32 v9, vcc, v4, v7, vcc
	v_add_co_u32_e32 v6, vcc, s14, v6
	v_addc_co_u32_e32 v7, vcc, v5, v7, vcc
	global_store_dword v[8:9], v1, off
	global_store_dword v[6:7], v2, off
	s_andn2_b64 exec, exec, s[0:1]
	s_cbranch_execnz .LBB141_36
.LBB141_37:
	s_endpgm
	.section	.rodata,"a",@progbits
	.p2align	6, 0x0
	.amdhsa_kernel _ZN5aiter19grouped_topk_kernelIN3c108BFloat16EDv2_fLi4ELb0ELb0ELb1EEEvPT_PKS4_PfPimiiiif
		.amdhsa_group_segment_fixed_size 0
		.amdhsa_private_segment_fixed_size 0
		.amdhsa_kernarg_size 320
		.amdhsa_user_sgpr_count 6
		.amdhsa_user_sgpr_private_segment_buffer 1
		.amdhsa_user_sgpr_dispatch_ptr 0
		.amdhsa_user_sgpr_queue_ptr 0
		.amdhsa_user_sgpr_kernarg_segment_ptr 1
		.amdhsa_user_sgpr_dispatch_id 0
		.amdhsa_user_sgpr_flat_scratch_init 0
		.amdhsa_user_sgpr_kernarg_preload_length 0
		.amdhsa_user_sgpr_kernarg_preload_offset 0
		.amdhsa_user_sgpr_private_segment_size 0
		.amdhsa_uses_dynamic_stack 0
		.amdhsa_system_sgpr_private_segment_wavefront_offset 0
		.amdhsa_system_sgpr_workgroup_id_x 1
		.amdhsa_system_sgpr_workgroup_id_y 0
		.amdhsa_system_sgpr_workgroup_id_z 0
		.amdhsa_system_sgpr_workgroup_info 0
		.amdhsa_system_vgpr_workitem_id 0
		.amdhsa_next_free_vgpr 14
		.amdhsa_next_free_sgpr 24
		.amdhsa_accum_offset 16
		.amdhsa_reserve_vcc 1
		.amdhsa_reserve_flat_scratch 0
		.amdhsa_float_round_mode_32 0
		.amdhsa_float_round_mode_16_64 0
		.amdhsa_float_denorm_mode_32 3
		.amdhsa_float_denorm_mode_16_64 3
		.amdhsa_dx10_clamp 1
		.amdhsa_ieee_mode 1
		.amdhsa_fp16_overflow 0
		.amdhsa_tg_split 0
		.amdhsa_exception_fp_ieee_invalid_op 0
		.amdhsa_exception_fp_denorm_src 0
		.amdhsa_exception_fp_ieee_div_zero 0
		.amdhsa_exception_fp_ieee_overflow 0
		.amdhsa_exception_fp_ieee_underflow 0
		.amdhsa_exception_fp_ieee_inexact 0
		.amdhsa_exception_int_div_zero 0
	.end_amdhsa_kernel
	.section	.text._ZN5aiter19grouped_topk_kernelIN3c108BFloat16EDv2_fLi4ELb0ELb0ELb1EEEvPT_PKS4_PfPimiiiif,"axG",@progbits,_ZN5aiter19grouped_topk_kernelIN3c108BFloat16EDv2_fLi4ELb0ELb0ELb1EEEvPT_PKS4_PfPimiiiif,comdat
.Lfunc_end141:
	.size	_ZN5aiter19grouped_topk_kernelIN3c108BFloat16EDv2_fLi4ELb0ELb0ELb1EEEvPT_PKS4_PfPimiiiif, .Lfunc_end141-_ZN5aiter19grouped_topk_kernelIN3c108BFloat16EDv2_fLi4ELb0ELb0ELb1EEEvPT_PKS4_PfPimiiiif
                                        ; -- End function
	.section	.AMDGPU.csdata,"",@progbits
; Kernel info:
; codeLenInByte = 2424
; NumSgprs: 28
; NumVgprs: 14
; NumAgprs: 0
; TotalNumVgprs: 14
; ScratchSize: 0
; MemoryBound: 0
; FloatMode: 240
; IeeeMode: 1
; LDSByteSize: 0 bytes/workgroup (compile time only)
; SGPRBlocks: 3
; VGPRBlocks: 1
; NumSGPRsForWavesPerEU: 28
; NumVGPRsForWavesPerEU: 14
; AccumOffset: 16
; Occupancy: 8
; WaveLimiterHint : 0
; COMPUTE_PGM_RSRC2:SCRATCH_EN: 0
; COMPUTE_PGM_RSRC2:USER_SGPR: 6
; COMPUTE_PGM_RSRC2:TRAP_HANDLER: 0
; COMPUTE_PGM_RSRC2:TGID_X_EN: 1
; COMPUTE_PGM_RSRC2:TGID_Y_EN: 0
; COMPUTE_PGM_RSRC2:TGID_Z_EN: 0
; COMPUTE_PGM_RSRC2:TIDIG_COMP_CNT: 0
; COMPUTE_PGM_RSRC3_GFX90A:ACCUM_OFFSET: 3
; COMPUTE_PGM_RSRC3_GFX90A:TG_SPLIT: 0
	.section	.text._ZN5aiter19grouped_topk_kernelIfDv2_fLi4ELb0ELb0ELb0EEEvPT_PKS2_PfPimiiiif,"axG",@progbits,_ZN5aiter19grouped_topk_kernelIfDv2_fLi4ELb0ELb0ELb0EEEvPT_PKS2_PfPimiiiif,comdat
	.protected	_ZN5aiter19grouped_topk_kernelIfDv2_fLi4ELb0ELb0ELb0EEEvPT_PKS2_PfPimiiiif ; -- Begin function _ZN5aiter19grouped_topk_kernelIfDv2_fLi4ELb0ELb0ELb0EEEvPT_PKS2_PfPimiiiif
	.globl	_ZN5aiter19grouped_topk_kernelIfDv2_fLi4ELb0ELb0ELb0EEEvPT_PKS2_PfPimiiiif
	.p2align	8
	.type	_ZN5aiter19grouped_topk_kernelIfDv2_fLi4ELb0ELb0ELb0EEEvPT_PKS2_PfPimiiiif,@function
_ZN5aiter19grouped_topk_kernelIfDv2_fLi4ELb0ELb0ELb0EEEvPT_PKS2_PfPimiiiif: ; @_ZN5aiter19grouped_topk_kernelIfDv2_fLi4ELb0ELb0ELb0EEEvPT_PKS2_PfPimiiiif
; %bb.0:
	s_load_dwordx4 s[8:11], s[4:5], 0x28
	s_load_dwordx4 s[12:15], s[4:5], 0x10
	s_waitcnt lgkmcnt(0)
	s_lshr_b32 s0, s8, 31
	s_add_i32 s0, s8, s0
	s_ashr_i32 s7, s0, 1
	v_cmp_gt_i32_e64 s[0:1], s7, v0
	s_and_saveexec_b64 s[16:17], s[0:1]
	s_cbranch_execz .LBB142_3
; %bb.1:
	s_load_dword s11, s[4:5], 0x4c
	s_load_dwordx2 s[2:3], s[4:5], 0x0
	s_mul_i32 s18, s6, s8
	s_ashr_i32 s19, s18, 31
	s_lshl_b64 s[18:19], s[18:19], 2
	s_waitcnt lgkmcnt(0)
	s_and_b32 s11, s11, 0xffff
	s_add_u32 s2, s2, s18
	v_lshlrev_b32_e32 v1, 3, v0
	s_addc_u32 s3, s3, s19
	s_mov_b32 s24, 0
	v_mov_b32_e32 v3, s3
	v_add_co_u32_e32 v2, vcc, s2, v1
	v_addc_co_u32_e32 v3, vcc, 0, v3, vcc
	s_lshl_b32 s20, s11, 3
	v_add_u32_e32 v1, 0, v1
	s_mov_b64 s[18:19], 0
	s_mov_b32 s21, 0xbfb8aa3b
	s_mov_b32 s22, 0x42ce8ed0
	;; [unrolled: 1-line block ×3, first 2 shown]
	v_mov_b32_e32 v4, 0x7f800000
	v_mov_b32_e32 v5, s24
	;; [unrolled: 1-line block ×3, first 2 shown]
.LBB142_2:                              ; =>This Inner Loop Header: Depth=1
	global_load_dwordx2 v[8:9], v[2:3], off
	v_add_co_u32_e32 v2, vcc, s20, v2
	v_add_u32_e32 v6, s11, v6
	v_addc_co_u32_e32 v3, vcc, v3, v5, vcc
	v_cmp_le_i32_e32 vcc, s7, v6
	s_or_b64 s[18:19], vcc, s[18:19]
	s_waitcnt vmcnt(0)
	v_mul_f32_e32 v7, 0xbfb8aa3b, v9
	v_mul_f32_e32 v10, 0xbfb8aa3b, v8
	v_rndne_f32_e32 v11, v7
	v_fma_f32 v12, v9, s21, -v7
	v_rndne_f32_e32 v13, v10
	v_fma_f32 v14, v8, s21, -v10
	v_sub_f32_e32 v7, v7, v11
	v_fmac_f32_e32 v12, 0xb2a5705f, v9
	v_sub_f32_e32 v10, v10, v13
	v_fmac_f32_e32 v14, 0xb2a5705f, v8
	v_add_f32_e32 v7, v7, v12
	v_add_f32_e32 v10, v10, v14
	v_cvt_i32_f32_e32 v11, v11
	v_cvt_i32_f32_e32 v13, v13
	v_exp_f32_e32 v7, v7
	v_exp_f32_e32 v10, v10
	v_cmp_nlt_f32_e32 vcc, s22, v8
	v_cmp_nlt_f32_e64 s[2:3], s22, v9
	v_ldexp_f32 v7, v7, v11
	v_ldexp_f32 v10, v10, v13
	v_cndmask_b32_e64 v7, 0, v7, s[2:3]
	v_cndmask_b32_e32 v10, 0, v10, vcc
	v_cmp_ngt_f32_e32 vcc, s23, v8
	v_cmp_ngt_f32_e64 s[2:3], s23, v9
	v_cndmask_b32_e64 v9, v4, v7, s[2:3]
	v_cndmask_b32_e32 v8, v4, v10, vcc
	v_pk_add_f32 v[8:9], v[8:9], 1.0 op_sel_hi:[1,0]
	v_div_scale_f32 v7, s[2:3], v9, v9, 1.0
	v_div_scale_f32 v11, s[2:3], v8, v8, 1.0
	v_rcp_f32_e32 v13, v7
	v_rcp_f32_e32 v14, v11
	v_div_scale_f32 v10, vcc, 1.0, v9, 1.0
	v_fma_f32 v15, -v7, v13, 1.0
	v_fma_f32 v16, -v11, v14, 1.0
	v_fmac_f32_e32 v13, v15, v13
	v_div_scale_f32 v12, s[2:3], 1.0, v8, 1.0
	v_fmac_f32_e32 v14, v16, v14
	v_mul_f32_e32 v15, v10, v13
	v_mul_f32_e32 v16, v12, v14
	v_fma_f32 v17, -v7, v15, v10
	v_fma_f32 v18, -v11, v16, v12
	v_fmac_f32_e32 v15, v17, v13
	v_fmac_f32_e32 v16, v18, v14
	v_fma_f32 v7, -v7, v15, v10
	v_fma_f32 v10, -v11, v16, v12
	v_div_fmas_f32 v7, v7, v13, v15
	s_mov_b64 vcc, s[2:3]
	v_div_fixup_f32 v9, v7, v9, 1.0
	v_div_fmas_f32 v7, v10, v14, v16
	v_div_fixup_f32 v8, v7, v8, 1.0
	ds_write_b64 v1, v[8:9]
	v_add_u32_e32 v1, s20, v1
	s_andn2_b64 exec, exec, s[18:19]
	s_cbranch_execnz .LBB142_2
.LBB142_3:
	s_or_b64 exec, exec, s[16:17]
	s_ashr_i32 s2, s8, 31
	s_lshr_b32 s2, s2, 30
	s_add_i32 s2, s8, s2
	s_ashr_i32 s11, s2, 2
	s_lshl_b32 s2, s8, 2
	s_add_i32 s22, s2, 0
	v_cmp_gt_u32_e32 vcc, 4, v0
	s_waitcnt lgkmcnt(0)
	s_barrier
	s_and_saveexec_b64 s[16:17], vcc
	s_cbranch_execz .LBB142_10
; %bb.4:
	s_load_dword s2, s[4:5], 0x4c
	v_mul_lo_u32 v1, v0, s11
	v_lshl_add_u32 v1, v1, 2, 0
	s_mov_b64 s[18:19], 0
	s_waitcnt lgkmcnt(0)
	s_and_b32 s23, s2, 0xffff
	s_cmp_gt_i32 s8, 3
	s_cselect_b64 s[2:3], -1, 0
	s_mul_i32 s8, s11, s23
	v_cndmask_b32_e64 v2, 0, 1, s[2:3]
	s_lshl_b32 s8, s8, 2
	v_cmp_ne_u32_e64 s[2:3], 1, v2
	v_mov_b32_e32 v2, v0
	s_branch .LBB142_6
.LBB142_5:                              ;   in Loop: Header=BB142_6 Depth=1
	v_lshl_add_u32 v4, v2, 2, s22
	v_add_u32_e32 v2, s23, v2
	v_cmp_lt_u32_e32 vcc, 3, v2
	s_or_b64 s[18:19], vcc, s[18:19]
	v_add_u32_e32 v1, s8, v1
	ds_write_b32 v4, v3
	s_andn2_b64 exec, exec, s[18:19]
	s_cbranch_execz .LBB142_10
.LBB142_6:                              ; =>This Loop Header: Depth=1
                                        ;     Child Loop BB142_8 Depth 2
	s_and_b64 vcc, exec, s[2:3]
	v_mov_b32_e32 v3, 0xff800000
	s_cbranch_vccnz .LBB142_5
; %bb.7:                                ;   in Loop: Header=BB142_6 Depth=1
	v_mul_lo_u32 v4, v2, s11
	v_add_u32_e32 v5, s11, v4
	s_mov_b64 s[20:21], 0
	v_mov_b32_e32 v3, 0xff800000
	v_mov_b32_e32 v6, v1
.LBB142_8:                              ;   Parent Loop BB142_6 Depth=1
                                        ; =>  This Inner Loop Header: Depth=2
	ds_read_b32 v7, v6
	v_add_u32_e32 v4, 1, v4
	v_cmp_ge_i32_e32 vcc, v4, v5
	s_or_b64 s[20:21], vcc, s[20:21]
	v_add_u32_e32 v6, 4, v6
	s_waitcnt lgkmcnt(0)
	v_cmp_gt_f32_e32 vcc, v7, v3
	v_cndmask_b32_e32 v3, v3, v7, vcc
	s_andn2_b64 exec, exec, s[20:21]
	s_cbranch_execnz .LBB142_8
; %bb.9:                                ;   in Loop: Header=BB142_6 Depth=1
	s_or_b64 exec, exec, s[20:21]
	s_branch .LBB142_5
.LBB142_10:
	s_or_b64 exec, exec, s[16:17]
	s_cmp_lt_i32 s10, 1
	s_waitcnt lgkmcnt(0)
	s_barrier
	s_cbranch_scc1 .LBB142_13
; %bb.11:
	v_mov_b32_e32 v1, s22
	s_mov_b32 s2, 0xff800000
	v_mov_b32_e32 v2, 0xff800000
.LBB142_12:                             ; =>This Inner Loop Header: Depth=1
	ds_read2_b32 v[4:5], v1 offset1:1
	ds_read2_b32 v[6:7], v1 offset0:2 offset1:3
	s_waitcnt lgkmcnt(1)
	v_cmp_nlg_f32_e32 vcc, s2, v4
	v_cndmask_b32_e64 v3, 0, 1, vcc
	v_cmp_lg_f32_e32 vcc, s2, v4
	v_cndmask_b32_e32 v4, v2, v4, vcc
	v_readfirstlane_b32 s3, v3
	v_cmp_gt_f32_e32 vcc, v5, v4
	s_lshl_b32 s3, s3, 2
	v_cndmask_b32_e32 v3, v4, v5, vcc
	s_and_b64 s[16:17], vcc, exec
	s_waitcnt lgkmcnt(0)
	v_cmp_gt_f32_e32 vcc, v6, v3
	v_cndmask_b32_e32 v3, v3, v6, vcc
	s_cselect_b32 s3, 1, s3
	s_and_b64 s[16:17], vcc, exec
	v_cmp_ngt_f32_e32 vcc, v7, v3
	s_cselect_b32 s3, 2, s3
	s_and_b64 s[16:17], vcc, exec
	s_cselect_b32 s3, s3, 3
	s_lshl_b32 s3, s3, 2
	s_add_i32 s3, s22, s3
	s_add_i32 s10, s10, -1
	v_mov_b32_e32 v3, s3
	s_cmp_lg_u32 s10, 0
	ds_write_b32 v3, v2
	s_cbranch_scc1 .LBB142_12
.LBB142_13:
	v_lshlrev_b32_e32 v1, 1, v0
	v_lshl_add_u32 v4, v0, 3, 0
	s_and_saveexec_b64 s[2:3], s[0:1]
	s_cbranch_execz .LBB142_18
; %bb.14:
	s_abs_i32 s8, s11
	v_cvt_f32_u32_e32 v2, s8
	s_load_dword s16, s[4:5], 0x4c
	s_sub_i32 s17, 0, s8
	s_ashr_i32 s18, s11, 31
	v_rcp_iflag_f32_e32 v2, v2
	v_lshlrev_b32_e32 v5, 1, v0
	s_waitcnt lgkmcnt(0)
	s_and_b32 s19, s16, 0xffff
	v_lshl_add_u32 v6, v0, 3, 0
	v_mul_f32_e32 v2, 0x4f7ffffe, v2
	v_cvt_u32_f32_e32 v2, v2
	s_mov_b64 s[10:11], 0
	s_lshl_b32 s20, s19, 1
	s_lshl_b32 s21, s19, 3
	v_mul_lo_u32 v3, s17, v2
	v_mul_hi_u32 v3, v2, v3
	v_add_u32_e32 v7, v2, v3
	s_mov_b32 s23, 0xff800000
	v_mov_b32_e32 v2, 0xff800000
	v_mov_b32_e32 v8, v0
	s_branch .LBB142_16
.LBB142_15:                             ;   in Loop: Header=BB142_16 Depth=1
	s_or_b64 exec, exec, s[16:17]
	v_add_u32_e32 v8, s19, v8
	v_cmp_le_i32_e32 vcc, s7, v8
	v_add_u32_e32 v5, s20, v5
	s_or_b64 s[10:11], vcc, s[10:11]
	v_add_u32_e32 v6, s21, v6
	s_andn2_b64 exec, exec, s[10:11]
	s_cbranch_execz .LBB142_18
.LBB142_16:                             ; =>This Inner Loop Header: Depth=1
	v_mul_hi_u32 v3, v5, v7
	v_mul_lo_u32 v9, v3, s8
	v_sub_u32_e32 v9, v5, v9
	v_add_u32_e32 v10, 1, v3
	v_cmp_le_u32_e32 vcc, s8, v9
	v_cndmask_b32_e32 v3, v3, v10, vcc
	v_subrev_u32_e32 v10, s8, v9
	v_cndmask_b32_e32 v9, v9, v10, vcc
	v_add_u32_e32 v10, 1, v3
	v_cmp_le_u32_e32 vcc, s8, v9
	v_cndmask_b32_e32 v3, v3, v10, vcc
	v_xor_b32_e32 v3, s18, v3
	v_subrev_u32_e32 v3, s18, v3
	v_lshl_add_u32 v3, v3, 2, s22
	ds_read_b32 v3, v3
	s_waitcnt lgkmcnt(0)
	v_cmp_neq_f32_e32 vcc, s23, v3
	s_and_saveexec_b64 s[16:17], vcc
	s_cbranch_execz .LBB142_15
; %bb.17:                               ;   in Loop: Header=BB142_16 Depth=1
	v_mov_b32_e32 v3, v2
	ds_write_b64 v6, v[2:3]
	s_branch .LBB142_15
.LBB142_18:
	s_or_b64 exec, exec, s[2:3]
	s_cmp_lt_i32 s9, 1
	s_waitcnt lgkmcnt(0)
	s_barrier
	s_cbranch_scc1 .LBB142_25
; %bb.19:
	s_add_u32 s2, s4, 64
	s_addc_u32 s3, s5, 0
	s_mov_b32 s8, 0
	v_mov_b32_e32 v5, 0xff800000
                                        ; implicit-def: $vgpr3
                                        ; implicit-def: $vgpr2
	s_branch .LBB142_21
.LBB142_20:                             ;   in Loop: Header=BB142_21 Depth=1
	s_or_b64 exec, exec, s[10:11]
	v_mov_b32_dpp v9, v7 quad_perm:[1,0,3,2] row_mask:0xf bank_mask:0xf
	v_cmp_lt_f32_e32 vcc, v7, v9
	v_cndmask_b32_e32 v7, v7, v9, vcc
	v_mov_b32_dpp v8, v6 quad_perm:[1,0,3,2] row_mask:0xf bank_mask:0xf
	v_cndmask_b32_e32 v6, v6, v8, vcc
	v_mov_b32_dpp v9, v7 quad_perm:[2,3,0,1] row_mask:0xf bank_mask:0xf
	v_cmp_gt_f32_e32 vcc, v9, v7
	v_cndmask_b32_e32 v7, v7, v9, vcc
	v_mov_b32_dpp v8, v6 quad_perm:[2,3,0,1] row_mask:0xf bank_mask:0xf
	v_cndmask_b32_e32 v6, v6, v8, vcc
	v_mov_b32_dpp v9, v7 row_half_mirror row_mask:0xf bank_mask:0xf
	v_cmp_gt_f32_e32 vcc, v9, v7
	v_cndmask_b32_e32 v7, v7, v9, vcc
	v_mov_b32_dpp v8, v6 row_half_mirror row_mask:0xf bank_mask:0xf
	v_cndmask_b32_e32 v6, v6, v8, vcc
	v_mov_b32_dpp v9, v7 row_mirror row_mask:0xf bank_mask:0xf
	v_cmp_gt_f32_e32 vcc, v9, v7
	v_cndmask_b32_e32 v7, v7, v9, vcc
	v_mov_b32_dpp v8, v6 row_mirror row_mask:0xf bank_mask:0xf
	v_cndmask_b32_e32 v6, v6, v8, vcc
	v_mov_b32_dpp v9, v7 row_bcast:15 row_mask:0xf bank_mask:0xf
	v_cmp_gt_f32_e32 vcc, v9, v7
	v_mov_b32_dpp v8, v6 row_bcast:15 row_mask:0xf bank_mask:0xf
	v_cndmask_b32_e32 v7, v7, v9, vcc
	v_cndmask_b32_e32 v6, v6, v8, vcc
	s_nop 0
	v_mov_b32_dpp v9, v7 row_bcast:31 row_mask:0xf bank_mask:0xf
	v_mov_b32_dpp v8, v6 row_bcast:31 row_mask:0xf bank_mask:0xf
	v_cmp_gt_f32_e32 vcc, v9, v7
	v_cndmask_b32_e32 v6, v6, v8, vcc
	v_readlane_b32 s11, v6, 63
	s_lshl_b32 s16, s11, 2
	s_add_i32 s16, s16, 0
	v_cndmask_b32_e32 v7, v7, v9, vcc
	v_mov_b32_e32 v6, s16
	v_readlane_b32 s10, v7, 63
	ds_write_b32 v6, v5
	v_mov_b32_e32 v6, s11
	v_cmp_eq_u32_e32 vcc, s8, v0
	v_cndmask_b32_e32 v2, v2, v6, vcc
	v_mov_b32_e32 v6, s10
	s_add_i32 s8, s8, 1
	s_cmp_eq_u32 s8, s9
	v_cndmask_b32_e32 v3, v3, v6, vcc
	s_cbranch_scc1 .LBB142_26
.LBB142_21:                             ; =>This Loop Header: Depth=1
                                        ;     Child Loop BB142_23 Depth 2
	v_mov_b32_e32 v6, s8
	v_mov_b32_e32 v7, 0xff800000
	s_and_saveexec_b64 s[10:11], s[0:1]
	s_cbranch_execz .LBB142_20
; %bb.22:                               ;   in Loop: Header=BB142_21 Depth=1
	s_load_dword s18, s[2:3], 0xc
	s_mov_b64 s[16:17], 0
	v_mov_b32_e32 v6, s8
	v_mov_b32_e32 v7, 0xff800000
	;; [unrolled: 1-line block ×3, first 2 shown]
	s_waitcnt lgkmcnt(0)
	s_and_b32 s18, s18, 0xffff
	s_lshl_b32 s19, s18, 1
	s_lshl_b32 s20, s18, 3
	v_mov_b32_e32 v9, v1
	v_mov_b32_e32 v10, v0
.LBB142_23:                             ;   Parent Loop BB142_21 Depth=1
                                        ; =>  This Inner Loop Header: Depth=2
	ds_read_b64 v[12:13], v8
	v_add_u32_e32 v10, s18, v10
	v_cmp_le_i32_e32 vcc, s7, v10
	s_or_b64 s[16:17], vcc, s[16:17]
	v_add_u32_e32 v11, 1, v9
	s_waitcnt lgkmcnt(0)
	v_cmp_gt_f32_e32 vcc, v12, v7
	v_cndmask_b32_e32 v7, v7, v12, vcc
	v_cndmask_b32_e32 v6, v6, v9, vcc
	v_cmp_gt_f32_e32 vcc, v13, v7
	v_add_u32_e32 v8, s20, v8
	v_cndmask_b32_e32 v7, v7, v13, vcc
	v_add_u32_e32 v9, s19, v9
	v_cndmask_b32_e32 v6, v6, v11, vcc
	s_andn2_b64 exec, exec, s[16:17]
	s_cbranch_execnz .LBB142_23
; %bb.24:                               ;   in Loop: Header=BB142_21 Depth=1
	s_or_b64 exec, exec, s[16:17]
	s_branch .LBB142_20
.LBB142_25:
                                        ; implicit-def: $vgpr3
                                        ; implicit-def: $vgpr2
.LBB142_26:
	v_cmp_gt_i32_e32 vcc, s9, v0
	s_and_saveexec_b64 s[0:1], vcc
	s_cbranch_execz .LBB142_29
; %bb.27:
	s_load_dword s2, s[4:5], 0x38
	s_load_dwordx2 s[0:1], s[4:5], 0x20
	s_ashr_i32 s3, s6, 31
	s_load_dword s4, s[4:5], 0x4c
	v_mov_b32_e32 v4, s13
	s_waitcnt lgkmcnt(0)
	v_mul_f32_e32 v1, s2, v3
	s_mul_i32 s1, s6, s1
	s_mul_hi_u32 s2, s6, s0
	s_add_i32 s1, s2, s1
	s_mul_i32 s3, s3, s0
	s_add_i32 s5, s1, s3
	s_mul_i32 s2, s6, s0
	s_and_b32 s3, s4, 0xffff
	s_mov_b64 s[0:1], 0
	v_mov_b32_e32 v3, s5
	v_mov_b32_e32 v5, s15
.LBB142_28:                             ; =>This Inner Loop Header: Depth=1
	v_ashrrev_i32_e32 v7, 31, v0
	v_add_co_u32_e32 v6, vcc, s2, v0
	v_addc_co_u32_e32 v7, vcc, v3, v7, vcc
	v_add_u32_e32 v0, s3, v0
	v_cmp_le_i32_e32 vcc, s9, v0
	v_lshlrev_b64 v[6:7], 2, v[6:7]
	s_or_b64 s[0:1], vcc, s[0:1]
	v_add_co_u32_e32 v8, vcc, s12, v6
	v_addc_co_u32_e32 v9, vcc, v4, v7, vcc
	v_add_co_u32_e32 v6, vcc, s14, v6
	v_addc_co_u32_e32 v7, vcc, v5, v7, vcc
	global_store_dword v[8:9], v1, off
	global_store_dword v[6:7], v2, off
	s_andn2_b64 exec, exec, s[0:1]
	s_cbranch_execnz .LBB142_28
.LBB142_29:
	s_endpgm
	.section	.rodata,"a",@progbits
	.p2align	6, 0x0
	.amdhsa_kernel _ZN5aiter19grouped_topk_kernelIfDv2_fLi4ELb0ELb0ELb0EEEvPT_PKS2_PfPimiiiif
		.amdhsa_group_segment_fixed_size 0
		.amdhsa_private_segment_fixed_size 0
		.amdhsa_kernarg_size 320
		.amdhsa_user_sgpr_count 6
		.amdhsa_user_sgpr_private_segment_buffer 1
		.amdhsa_user_sgpr_dispatch_ptr 0
		.amdhsa_user_sgpr_queue_ptr 0
		.amdhsa_user_sgpr_kernarg_segment_ptr 1
		.amdhsa_user_sgpr_dispatch_id 0
		.amdhsa_user_sgpr_flat_scratch_init 0
		.amdhsa_user_sgpr_kernarg_preload_length 0
		.amdhsa_user_sgpr_kernarg_preload_offset 0
		.amdhsa_user_sgpr_private_segment_size 0
		.amdhsa_uses_dynamic_stack 0
		.amdhsa_system_sgpr_private_segment_wavefront_offset 0
		.amdhsa_system_sgpr_workgroup_id_x 1
		.amdhsa_system_sgpr_workgroup_id_y 0
		.amdhsa_system_sgpr_workgroup_id_z 0
		.amdhsa_system_sgpr_workgroup_info 0
		.amdhsa_system_vgpr_workitem_id 0
		.amdhsa_next_free_vgpr 19
		.amdhsa_next_free_sgpr 25
		.amdhsa_accum_offset 20
		.amdhsa_reserve_vcc 1
		.amdhsa_reserve_flat_scratch 0
		.amdhsa_float_round_mode_32 0
		.amdhsa_float_round_mode_16_64 0
		.amdhsa_float_denorm_mode_32 3
		.amdhsa_float_denorm_mode_16_64 3
		.amdhsa_dx10_clamp 1
		.amdhsa_ieee_mode 1
		.amdhsa_fp16_overflow 0
		.amdhsa_tg_split 0
		.amdhsa_exception_fp_ieee_invalid_op 0
		.amdhsa_exception_fp_denorm_src 0
		.amdhsa_exception_fp_ieee_div_zero 0
		.amdhsa_exception_fp_ieee_overflow 0
		.amdhsa_exception_fp_ieee_underflow 0
		.amdhsa_exception_fp_ieee_inexact 0
		.amdhsa_exception_int_div_zero 0
	.end_amdhsa_kernel
	.section	.text._ZN5aiter19grouped_topk_kernelIfDv2_fLi4ELb0ELb0ELb0EEEvPT_PKS2_PfPimiiiif,"axG",@progbits,_ZN5aiter19grouped_topk_kernelIfDv2_fLi4ELb0ELb0ELb0EEEvPT_PKS2_PfPimiiiif,comdat
.Lfunc_end142:
	.size	_ZN5aiter19grouped_topk_kernelIfDv2_fLi4ELb0ELb0ELb0EEEvPT_PKS2_PfPimiiiif, .Lfunc_end142-_ZN5aiter19grouped_topk_kernelIfDv2_fLi4ELb0ELb0ELb0EEEvPT_PKS2_PfPimiiiif
                                        ; -- End function
	.section	.AMDGPU.csdata,"",@progbits
; Kernel info:
; codeLenInByte = 1852
; NumSgprs: 29
; NumVgprs: 19
; NumAgprs: 0
; TotalNumVgprs: 19
; ScratchSize: 0
; MemoryBound: 0
; FloatMode: 240
; IeeeMode: 1
; LDSByteSize: 0 bytes/workgroup (compile time only)
; SGPRBlocks: 3
; VGPRBlocks: 2
; NumSGPRsForWavesPerEU: 29
; NumVGPRsForWavesPerEU: 19
; AccumOffset: 20
; Occupancy: 8
; WaveLimiterHint : 0
; COMPUTE_PGM_RSRC2:SCRATCH_EN: 0
; COMPUTE_PGM_RSRC2:USER_SGPR: 6
; COMPUTE_PGM_RSRC2:TRAP_HANDLER: 0
; COMPUTE_PGM_RSRC2:TGID_X_EN: 1
; COMPUTE_PGM_RSRC2:TGID_Y_EN: 0
; COMPUTE_PGM_RSRC2:TGID_Z_EN: 0
; COMPUTE_PGM_RSRC2:TIDIG_COMP_CNT: 0
; COMPUTE_PGM_RSRC3_GFX90A:ACCUM_OFFSET: 4
; COMPUTE_PGM_RSRC3_GFX90A:TG_SPLIT: 0
	.section	.text._ZN5aiter19grouped_topk_kernelIN3c104HalfEDv2_fLi4ELb0ELb0ELb0EEEvPT_PKS4_PfPimiiiif,"axG",@progbits,_ZN5aiter19grouped_topk_kernelIN3c104HalfEDv2_fLi4ELb0ELb0ELb0EEEvPT_PKS4_PfPimiiiif,comdat
	.protected	_ZN5aiter19grouped_topk_kernelIN3c104HalfEDv2_fLi4ELb0ELb0ELb0EEEvPT_PKS4_PfPimiiiif ; -- Begin function _ZN5aiter19grouped_topk_kernelIN3c104HalfEDv2_fLi4ELb0ELb0ELb0EEEvPT_PKS4_PfPimiiiif
	.globl	_ZN5aiter19grouped_topk_kernelIN3c104HalfEDv2_fLi4ELb0ELb0ELb0EEEvPT_PKS4_PfPimiiiif
	.p2align	8
	.type	_ZN5aiter19grouped_topk_kernelIN3c104HalfEDv2_fLi4ELb0ELb0ELb0EEEvPT_PKS4_PfPimiiiif,@function
_ZN5aiter19grouped_topk_kernelIN3c104HalfEDv2_fLi4ELb0ELb0ELb0EEEvPT_PKS4_PfPimiiiif: ; @_ZN5aiter19grouped_topk_kernelIN3c104HalfEDv2_fLi4ELb0ELb0ELb0EEEvPT_PKS4_PfPimiiiif
; %bb.0:
	s_load_dwordx4 s[8:11], s[4:5], 0x28
	s_load_dwordx4 s[12:15], s[4:5], 0x10
	v_lshl_add_u32 v1, v0, 3, 0
	s_waitcnt lgkmcnt(0)
	s_lshr_b32 s0, s8, 31
	s_add_i32 s0, s8, s0
	s_ashr_i32 s7, s0, 1
	v_cmp_gt_i32_e64 s[0:1], s7, v0
	s_and_saveexec_b64 s[16:17], s[0:1]
	s_cbranch_execz .LBB143_3
; %bb.1:
	s_load_dword s11, s[4:5], 0x4c
	s_load_dwordx2 s[2:3], s[4:5], 0x0
	s_mul_i32 s18, s6, s8
	s_ashr_i32 s19, s18, 31
	s_lshl_b64 s[18:19], s[18:19], 1
	s_waitcnt lgkmcnt(0)
	s_and_b32 s11, s11, 0xffff
	s_add_u32 s2, s2, s18
	v_lshlrev_b32_e32 v2, 2, v0
	s_addc_u32 s3, s3, s19
	s_mov_b32 s26, 0
	v_mov_b32_e32 v3, s3
	v_add_co_u32_e32 v2, vcc, s2, v2
	v_addc_co_u32_e32 v3, vcc, 0, v3, vcc
	s_lshl_b32 s20, s11, 2
	v_lshl_add_u32 v4, v0, 3, 0
	s_lshl_b32 s21, s11, 3
	s_mov_b64 s[18:19], 0
	s_mov_b32 s22, 0x3fb8aa3b
	s_mov_b32 s23, 0x32a5705f
	s_mov_b32 s24, 0xc2ce8ed0
	s_mov_b32 s25, 0x42b17218
	v_mov_b32_e32 v5, 0x7f800000
	v_mov_b32_e32 v6, s26
	;; [unrolled: 1-line block ×3, first 2 shown]
.LBB143_2:                              ; =>This Inner Loop Header: Depth=1
	global_load_dword v8, v[2:3], off
	v_add_co_u32_e32 v2, vcc, s20, v2
	v_add_u32_e32 v7, s11, v7
	v_addc_co_u32_e32 v3, vcc, v3, v6, vcc
	v_cmp_le_i32_e32 vcc, s7, v7
	s_or_b64 s[18:19], vcc, s[18:19]
	s_waitcnt vmcnt(0)
	v_cvt_f32_f16_e64 v9, -v8
	v_cvt_f32_f16_sdwa v10, -v8 dst_sel:DWORD dst_unused:UNUSED_PAD src0_sel:WORD_1
	v_mul_f32_e32 v11, 0x3fb8aa3b, v9
	v_mul_f32_e32 v12, 0x3fb8aa3b, v10
	v_rndne_f32_e32 v13, v11
	v_fma_mix_f32 v14, -v8, s22, -v11 op_sel_hi:[1,0,0]
	v_rndne_f32_e32 v15, v12
	v_fma_mix_f32 v16, -v8, s22, -v12 op_sel:[1,0,0] op_sel_hi:[1,0,0]
	v_sub_f32_e32 v11, v11, v13
	v_fma_mix_f32 v14, -v8, s23, v14 op_sel_hi:[1,0,0]
	v_sub_f32_e32 v12, v12, v15
	v_fma_mix_f32 v8, -v8, s23, v16 op_sel:[1,0,0] op_sel_hi:[1,0,0]
	v_add_f32_e32 v11, v11, v14
	v_add_f32_e32 v8, v12, v8
	v_cvt_i32_f32_e32 v13, v13
	v_cvt_i32_f32_e32 v15, v15
	v_exp_f32_e32 v11, v11
	v_exp_f32_e32 v8, v8
	v_cmp_ngt_f32_e32 vcc, s24, v10
	v_cmp_ngt_f32_e64 s[2:3], s24, v9
	v_ldexp_f32 v11, v11, v13
	v_ldexp_f32 v8, v8, v15
	v_cndmask_b32_e64 v11, 0, v11, s[2:3]
	v_cndmask_b32_e32 v12, 0, v8, vcc
	v_cmp_nlt_f32_e32 vcc, s25, v10
	v_cmp_nlt_f32_e64 s[2:3], s25, v9
	v_cndmask_b32_e64 v8, v5, v11, s[2:3]
	v_cndmask_b32_e32 v9, v5, v12, vcc
	v_pk_add_f32 v[8:9], v[8:9], 1.0 op_sel_hi:[1,0]
	v_div_scale_f32 v10, s[2:3], v9, v9, 1.0
	v_div_scale_f32 v12, s[2:3], v8, v8, 1.0
	v_rcp_f32_e32 v14, v10
	v_rcp_f32_e32 v15, v12
	v_div_scale_f32 v11, vcc, 1.0, v9, 1.0
	v_fma_f32 v16, -v10, v14, 1.0
	v_fma_f32 v17, -v12, v15, 1.0
	v_fmac_f32_e32 v14, v16, v14
	v_div_scale_f32 v13, s[2:3], 1.0, v8, 1.0
	v_fmac_f32_e32 v15, v17, v15
	v_mul_f32_e32 v16, v11, v14
	v_mul_f32_e32 v17, v13, v15
	v_fma_f32 v18, -v10, v16, v11
	v_fma_f32 v19, -v12, v17, v13
	v_fmac_f32_e32 v16, v18, v14
	v_fmac_f32_e32 v17, v19, v15
	v_fma_f32 v10, -v10, v16, v11
	v_fma_f32 v11, -v12, v17, v13
	v_div_fmas_f32 v10, v10, v14, v16
	s_mov_b64 vcc, s[2:3]
	v_div_fixup_f32 v9, v10, v9, 1.0
	v_div_fmas_f32 v10, v11, v15, v17
	v_div_fixup_f32 v8, v10, v8, 1.0
	ds_write_b64 v4, v[8:9]
	v_add_u32_e32 v4, s21, v4
	s_andn2_b64 exec, exec, s[18:19]
	s_cbranch_execnz .LBB143_2
.LBB143_3:
	s_or_b64 exec, exec, s[16:17]
	s_ashr_i32 s2, s8, 31
	s_lshr_b32 s2, s2, 30
	s_add_i32 s2, s8, s2
	s_ashr_i32 s11, s2, 2
	s_lshl_b32 s2, s8, 2
	s_add_i32 s22, s2, 0
	v_cmp_gt_u32_e32 vcc, 4, v0
	s_waitcnt lgkmcnt(0)
	s_barrier
	s_and_saveexec_b64 s[16:17], vcc
	s_cbranch_execz .LBB143_10
; %bb.4:
	s_load_dword s2, s[4:5], 0x4c
	v_mul_lo_u32 v2, v0, s11
	v_lshl_add_u32 v2, v2, 2, 0
	s_mov_b64 s[18:19], 0
	s_waitcnt lgkmcnt(0)
	s_and_b32 s23, s2, 0xffff
	s_cmp_gt_i32 s8, 3
	s_cselect_b64 s[2:3], -1, 0
	s_mul_i32 s8, s11, s23
	v_cndmask_b32_e64 v3, 0, 1, s[2:3]
	s_lshl_b32 s8, s8, 2
	v_cmp_ne_u32_e64 s[2:3], 1, v3
	v_mov_b32_e32 v3, v0
	s_branch .LBB143_6
.LBB143_5:                              ;   in Loop: Header=BB143_6 Depth=1
	v_lshl_add_u32 v5, v3, 2, s22
	v_add_u32_e32 v3, s23, v3
	v_cmp_lt_u32_e32 vcc, 3, v3
	s_or_b64 s[18:19], vcc, s[18:19]
	v_add_u32_e32 v2, s8, v2
	ds_write_b32 v5, v4
	s_andn2_b64 exec, exec, s[18:19]
	s_cbranch_execz .LBB143_10
.LBB143_6:                              ; =>This Loop Header: Depth=1
                                        ;     Child Loop BB143_8 Depth 2
	s_and_b64 vcc, exec, s[2:3]
	v_mov_b32_e32 v4, 0xff800000
	s_cbranch_vccnz .LBB143_5
; %bb.7:                                ;   in Loop: Header=BB143_6 Depth=1
	v_mul_lo_u32 v5, v3, s11
	v_add_u32_e32 v6, s11, v5
	s_mov_b64 s[20:21], 0
	v_mov_b32_e32 v4, 0xff800000
	v_mov_b32_e32 v7, v2
.LBB143_8:                              ;   Parent Loop BB143_6 Depth=1
                                        ; =>  This Inner Loop Header: Depth=2
	ds_read_b32 v8, v7
	v_add_u32_e32 v5, 1, v5
	v_cmp_ge_i32_e32 vcc, v5, v6
	s_or_b64 s[20:21], vcc, s[20:21]
	v_add_u32_e32 v7, 4, v7
	s_waitcnt lgkmcnt(0)
	v_cmp_gt_f32_e32 vcc, v8, v4
	v_cndmask_b32_e32 v4, v4, v8, vcc
	s_andn2_b64 exec, exec, s[20:21]
	s_cbranch_execnz .LBB143_8
; %bb.9:                                ;   in Loop: Header=BB143_6 Depth=1
	s_or_b64 exec, exec, s[20:21]
	s_branch .LBB143_5
.LBB143_10:
	s_or_b64 exec, exec, s[16:17]
	s_cmp_lt_i32 s10, 1
	s_waitcnt lgkmcnt(0)
	s_barrier
	s_cbranch_scc1 .LBB143_13
; %bb.11:
	v_mov_b32_e32 v2, s22
	s_mov_b32 s2, 0xff800000
	v_mov_b32_e32 v3, 0xff800000
.LBB143_12:                             ; =>This Inner Loop Header: Depth=1
	ds_read2_b32 v[4:5], v2 offset1:1
	ds_read2_b32 v[6:7], v2 offset0:2 offset1:3
	s_waitcnt lgkmcnt(1)
	v_cmp_nlg_f32_e32 vcc, s2, v4
	v_cndmask_b32_e64 v8, 0, 1, vcc
	v_cmp_lg_f32_e32 vcc, s2, v4
	v_cndmask_b32_e32 v4, v3, v4, vcc
	v_readfirstlane_b32 s3, v8
	v_cmp_gt_f32_e32 vcc, v5, v4
	s_lshl_b32 s3, s3, 2
	v_cndmask_b32_e32 v4, v4, v5, vcc
	s_and_b64 s[16:17], vcc, exec
	s_waitcnt lgkmcnt(0)
	v_cmp_gt_f32_e32 vcc, v6, v4
	v_cndmask_b32_e32 v4, v4, v6, vcc
	s_cselect_b32 s3, 1, s3
	s_and_b64 s[16:17], vcc, exec
	v_cmp_ngt_f32_e32 vcc, v7, v4
	s_cselect_b32 s3, 2, s3
	s_and_b64 s[16:17], vcc, exec
	s_cselect_b32 s3, s3, 3
	s_lshl_b32 s3, s3, 2
	s_add_i32 s3, s22, s3
	s_add_i32 s10, s10, -1
	v_mov_b32_e32 v4, s3
	s_cmp_lg_u32 s10, 0
	ds_write_b32 v4, v3
	s_cbranch_scc1 .LBB143_12
.LBB143_13:
	v_lshlrev_b32_e32 v4, 1, v0
	s_and_saveexec_b64 s[2:3], s[0:1]
	s_cbranch_execz .LBB143_18
; %bb.14:
	s_abs_i32 s8, s11
	v_cvt_f32_u32_e32 v2, s8
	s_load_dword s16, s[4:5], 0x4c
	s_sub_i32 s17, 0, s8
	s_ashr_i32 s18, s11, 31
	v_rcp_iflag_f32_e32 v2, v2
	v_lshlrev_b32_e32 v5, 1, v0
	s_waitcnt lgkmcnt(0)
	s_and_b32 s19, s16, 0xffff
	v_lshl_add_u32 v6, v0, 3, 0
	v_mul_f32_e32 v2, 0x4f7ffffe, v2
	v_cvt_u32_f32_e32 v2, v2
	s_mov_b64 s[10:11], 0
	s_lshl_b32 s20, s19, 1
	s_lshl_b32 s21, s19, 3
	v_mul_lo_u32 v3, s17, v2
	v_mul_hi_u32 v3, v2, v3
	v_add_u32_e32 v7, v2, v3
	s_mov_b32 s23, 0xff800000
	v_mov_b32_e32 v2, 0xff800000
	v_mov_b32_e32 v8, v0
	s_branch .LBB143_16
.LBB143_15:                             ;   in Loop: Header=BB143_16 Depth=1
	s_or_b64 exec, exec, s[16:17]
	v_add_u32_e32 v8, s19, v8
	v_cmp_le_i32_e32 vcc, s7, v8
	v_add_u32_e32 v5, s20, v5
	s_or_b64 s[10:11], vcc, s[10:11]
	v_add_u32_e32 v6, s21, v6
	s_andn2_b64 exec, exec, s[10:11]
	s_cbranch_execz .LBB143_18
.LBB143_16:                             ; =>This Inner Loop Header: Depth=1
	v_mul_hi_u32 v3, v5, v7
	v_mul_lo_u32 v9, v3, s8
	v_sub_u32_e32 v9, v5, v9
	v_add_u32_e32 v10, 1, v3
	v_cmp_le_u32_e32 vcc, s8, v9
	v_cndmask_b32_e32 v3, v3, v10, vcc
	v_subrev_u32_e32 v10, s8, v9
	v_cndmask_b32_e32 v9, v9, v10, vcc
	v_add_u32_e32 v10, 1, v3
	v_cmp_le_u32_e32 vcc, s8, v9
	v_cndmask_b32_e32 v3, v3, v10, vcc
	v_xor_b32_e32 v3, s18, v3
	v_subrev_u32_e32 v3, s18, v3
	v_lshl_add_u32 v3, v3, 2, s22
	ds_read_b32 v3, v3
	s_waitcnt lgkmcnt(0)
	v_cmp_neq_f32_e32 vcc, s23, v3
	s_and_saveexec_b64 s[16:17], vcc
	s_cbranch_execz .LBB143_15
; %bb.17:                               ;   in Loop: Header=BB143_16 Depth=1
	v_mov_b32_e32 v3, v2
	ds_write_b64 v6, v[2:3]
	s_branch .LBB143_15
.LBB143_18:
	s_or_b64 exec, exec, s[2:3]
	s_cmp_lt_i32 s9, 1
	s_waitcnt lgkmcnt(0)
	s_barrier
	s_cbranch_scc1 .LBB143_25
; %bb.19:
	s_add_u32 s2, s4, 64
	s_addc_u32 s3, s5, 0
	s_mov_b32 s8, 0
	v_mov_b32_e32 v5, 0xff800000
                                        ; implicit-def: $vgpr3
                                        ; implicit-def: $vgpr2
	s_branch .LBB143_21
.LBB143_20:                             ;   in Loop: Header=BB143_21 Depth=1
	s_or_b64 exec, exec, s[10:11]
	v_mov_b32_dpp v9, v7 quad_perm:[1,0,3,2] row_mask:0xf bank_mask:0xf
	v_cmp_lt_f32_e32 vcc, v7, v9
	v_cndmask_b32_e32 v7, v7, v9, vcc
	v_mov_b32_dpp v8, v6 quad_perm:[1,0,3,2] row_mask:0xf bank_mask:0xf
	v_cndmask_b32_e32 v6, v6, v8, vcc
	v_mov_b32_dpp v9, v7 quad_perm:[2,3,0,1] row_mask:0xf bank_mask:0xf
	v_cmp_gt_f32_e32 vcc, v9, v7
	v_cndmask_b32_e32 v7, v7, v9, vcc
	v_mov_b32_dpp v8, v6 quad_perm:[2,3,0,1] row_mask:0xf bank_mask:0xf
	v_cndmask_b32_e32 v6, v6, v8, vcc
	v_mov_b32_dpp v9, v7 row_half_mirror row_mask:0xf bank_mask:0xf
	v_cmp_gt_f32_e32 vcc, v9, v7
	v_cndmask_b32_e32 v7, v7, v9, vcc
	v_mov_b32_dpp v8, v6 row_half_mirror row_mask:0xf bank_mask:0xf
	v_cndmask_b32_e32 v6, v6, v8, vcc
	v_mov_b32_dpp v9, v7 row_mirror row_mask:0xf bank_mask:0xf
	v_cmp_gt_f32_e32 vcc, v9, v7
	v_cndmask_b32_e32 v7, v7, v9, vcc
	v_mov_b32_dpp v8, v6 row_mirror row_mask:0xf bank_mask:0xf
	v_cndmask_b32_e32 v6, v6, v8, vcc
	v_mov_b32_dpp v9, v7 row_bcast:15 row_mask:0xf bank_mask:0xf
	v_cmp_gt_f32_e32 vcc, v9, v7
	v_mov_b32_dpp v8, v6 row_bcast:15 row_mask:0xf bank_mask:0xf
	v_cndmask_b32_e32 v7, v7, v9, vcc
	v_cndmask_b32_e32 v6, v6, v8, vcc
	s_nop 0
	v_mov_b32_dpp v9, v7 row_bcast:31 row_mask:0xf bank_mask:0xf
	v_mov_b32_dpp v8, v6 row_bcast:31 row_mask:0xf bank_mask:0xf
	v_cmp_gt_f32_e32 vcc, v9, v7
	v_cndmask_b32_e32 v6, v6, v8, vcc
	v_readlane_b32 s11, v6, 63
	s_lshl_b32 s16, s11, 2
	s_add_i32 s16, s16, 0
	v_cndmask_b32_e32 v7, v7, v9, vcc
	v_mov_b32_e32 v6, s16
	v_readlane_b32 s10, v7, 63
	ds_write_b32 v6, v5
	v_mov_b32_e32 v6, s11
	v_cmp_eq_u32_e32 vcc, s8, v0
	v_cndmask_b32_e32 v2, v2, v6, vcc
	v_mov_b32_e32 v6, s10
	s_add_i32 s8, s8, 1
	s_cmp_eq_u32 s8, s9
	v_cndmask_b32_e32 v3, v3, v6, vcc
	s_cbranch_scc1 .LBB143_26
.LBB143_21:                             ; =>This Loop Header: Depth=1
                                        ;     Child Loop BB143_23 Depth 2
	v_mov_b32_e32 v6, s8
	v_mov_b32_e32 v7, 0xff800000
	s_and_saveexec_b64 s[10:11], s[0:1]
	s_cbranch_execz .LBB143_20
; %bb.22:                               ;   in Loop: Header=BB143_21 Depth=1
	s_load_dword s18, s[2:3], 0xc
	s_mov_b64 s[16:17], 0
	v_mov_b32_e32 v6, s8
	v_mov_b32_e32 v7, 0xff800000
	;; [unrolled: 1-line block ×3, first 2 shown]
	s_waitcnt lgkmcnt(0)
	s_and_b32 s18, s18, 0xffff
	s_lshl_b32 s19, s18, 1
	s_lshl_b32 s20, s18, 3
	v_mov_b32_e32 v9, v4
	v_mov_b32_e32 v10, v0
.LBB143_23:                             ;   Parent Loop BB143_21 Depth=1
                                        ; =>  This Inner Loop Header: Depth=2
	ds_read_b64 v[12:13], v8
	v_add_u32_e32 v10, s18, v10
	v_cmp_le_i32_e32 vcc, s7, v10
	s_or_b64 s[16:17], vcc, s[16:17]
	v_add_u32_e32 v11, 1, v9
	s_waitcnt lgkmcnt(0)
	v_cmp_gt_f32_e32 vcc, v12, v7
	v_cndmask_b32_e32 v7, v7, v12, vcc
	v_cndmask_b32_e32 v6, v6, v9, vcc
	v_cmp_gt_f32_e32 vcc, v13, v7
	v_add_u32_e32 v8, s20, v8
	v_cndmask_b32_e32 v7, v7, v13, vcc
	v_add_u32_e32 v9, s19, v9
	v_cndmask_b32_e32 v6, v6, v11, vcc
	s_andn2_b64 exec, exec, s[16:17]
	s_cbranch_execnz .LBB143_23
; %bb.24:                               ;   in Loop: Header=BB143_21 Depth=1
	s_or_b64 exec, exec, s[16:17]
	s_branch .LBB143_20
.LBB143_25:
                                        ; implicit-def: $vgpr3
                                        ; implicit-def: $vgpr2
.LBB143_26:
	v_cmp_gt_i32_e32 vcc, s9, v0
	s_and_saveexec_b64 s[0:1], vcc
	s_cbranch_execz .LBB143_29
; %bb.27:
	s_load_dword s2, s[4:5], 0x38
	s_load_dwordx2 s[0:1], s[4:5], 0x20
	s_ashr_i32 s3, s6, 31
	s_load_dword s4, s[4:5], 0x4c
	v_mov_b32_e32 v4, s13
	s_waitcnt lgkmcnt(0)
	v_mul_f32_e32 v1, s2, v3
	s_mul_i32 s1, s6, s1
	s_mul_hi_u32 s2, s6, s0
	s_add_i32 s1, s2, s1
	s_mul_i32 s3, s3, s0
	s_add_i32 s5, s1, s3
	s_mul_i32 s2, s6, s0
	s_and_b32 s3, s4, 0xffff
	s_mov_b64 s[0:1], 0
	v_mov_b32_e32 v3, s5
	v_mov_b32_e32 v5, s15
.LBB143_28:                             ; =>This Inner Loop Header: Depth=1
	v_ashrrev_i32_e32 v7, 31, v0
	v_add_co_u32_e32 v6, vcc, s2, v0
	v_addc_co_u32_e32 v7, vcc, v3, v7, vcc
	v_add_u32_e32 v0, s3, v0
	v_cmp_le_i32_e32 vcc, s9, v0
	v_lshlrev_b64 v[6:7], 2, v[6:7]
	s_or_b64 s[0:1], vcc, s[0:1]
	v_add_co_u32_e32 v8, vcc, s12, v6
	v_addc_co_u32_e32 v9, vcc, v4, v7, vcc
	v_add_co_u32_e32 v6, vcc, s14, v6
	v_addc_co_u32_e32 v7, vcc, v5, v7, vcc
	global_store_dword v[8:9], v1, off
	global_store_dword v[6:7], v2, off
	s_andn2_b64 exec, exec, s[0:1]
	s_cbranch_execnz .LBB143_28
.LBB143_29:
	s_endpgm
	.section	.rodata,"a",@progbits
	.p2align	6, 0x0
	.amdhsa_kernel _ZN5aiter19grouped_topk_kernelIN3c104HalfEDv2_fLi4ELb0ELb0ELb0EEEvPT_PKS4_PfPimiiiif
		.amdhsa_group_segment_fixed_size 0
		.amdhsa_private_segment_fixed_size 0
		.amdhsa_kernarg_size 320
		.amdhsa_user_sgpr_count 6
		.amdhsa_user_sgpr_private_segment_buffer 1
		.amdhsa_user_sgpr_dispatch_ptr 0
		.amdhsa_user_sgpr_queue_ptr 0
		.amdhsa_user_sgpr_kernarg_segment_ptr 1
		.amdhsa_user_sgpr_dispatch_id 0
		.amdhsa_user_sgpr_flat_scratch_init 0
		.amdhsa_user_sgpr_kernarg_preload_length 0
		.amdhsa_user_sgpr_kernarg_preload_offset 0
		.amdhsa_user_sgpr_private_segment_size 0
		.amdhsa_uses_dynamic_stack 0
		.amdhsa_system_sgpr_private_segment_wavefront_offset 0
		.amdhsa_system_sgpr_workgroup_id_x 1
		.amdhsa_system_sgpr_workgroup_id_y 0
		.amdhsa_system_sgpr_workgroup_id_z 0
		.amdhsa_system_sgpr_workgroup_info 0
		.amdhsa_system_vgpr_workitem_id 0
		.amdhsa_next_free_vgpr 20
		.amdhsa_next_free_sgpr 27
		.amdhsa_accum_offset 20
		.amdhsa_reserve_vcc 1
		.amdhsa_reserve_flat_scratch 0
		.amdhsa_float_round_mode_32 0
		.amdhsa_float_round_mode_16_64 0
		.amdhsa_float_denorm_mode_32 3
		.amdhsa_float_denorm_mode_16_64 3
		.amdhsa_dx10_clamp 1
		.amdhsa_ieee_mode 1
		.amdhsa_fp16_overflow 0
		.amdhsa_tg_split 0
		.amdhsa_exception_fp_ieee_invalid_op 0
		.amdhsa_exception_fp_denorm_src 0
		.amdhsa_exception_fp_ieee_div_zero 0
		.amdhsa_exception_fp_ieee_overflow 0
		.amdhsa_exception_fp_ieee_underflow 0
		.amdhsa_exception_fp_ieee_inexact 0
		.amdhsa_exception_int_div_zero 0
	.end_amdhsa_kernel
	.section	.text._ZN5aiter19grouped_topk_kernelIN3c104HalfEDv2_fLi4ELb0ELb0ELb0EEEvPT_PKS4_PfPimiiiif,"axG",@progbits,_ZN5aiter19grouped_topk_kernelIN3c104HalfEDv2_fLi4ELb0ELb0ELb0EEEvPT_PKS4_PfPimiiiif,comdat
.Lfunc_end143:
	.size	_ZN5aiter19grouped_topk_kernelIN3c104HalfEDv2_fLi4ELb0ELb0ELb0EEEvPT_PKS4_PfPimiiiif, .Lfunc_end143-_ZN5aiter19grouped_topk_kernelIN3c104HalfEDv2_fLi4ELb0ELb0ELb0EEEvPT_PKS4_PfPimiiiif
                                        ; -- End function
	.section	.AMDGPU.csdata,"",@progbits
; Kernel info:
; codeLenInByte = 1884
; NumSgprs: 31
; NumVgprs: 20
; NumAgprs: 0
; TotalNumVgprs: 20
; ScratchSize: 0
; MemoryBound: 0
; FloatMode: 240
; IeeeMode: 1
; LDSByteSize: 0 bytes/workgroup (compile time only)
; SGPRBlocks: 3
; VGPRBlocks: 2
; NumSGPRsForWavesPerEU: 31
; NumVGPRsForWavesPerEU: 20
; AccumOffset: 20
; Occupancy: 8
; WaveLimiterHint : 0
; COMPUTE_PGM_RSRC2:SCRATCH_EN: 0
; COMPUTE_PGM_RSRC2:USER_SGPR: 6
; COMPUTE_PGM_RSRC2:TRAP_HANDLER: 0
; COMPUTE_PGM_RSRC2:TGID_X_EN: 1
; COMPUTE_PGM_RSRC2:TGID_Y_EN: 0
; COMPUTE_PGM_RSRC2:TGID_Z_EN: 0
; COMPUTE_PGM_RSRC2:TIDIG_COMP_CNT: 0
; COMPUTE_PGM_RSRC3_GFX90A:ACCUM_OFFSET: 4
; COMPUTE_PGM_RSRC3_GFX90A:TG_SPLIT: 0
	.section	.text._ZN5aiter19grouped_topk_kernelIN3c108BFloat16EDv2_fLi4ELb0ELb0ELb0EEEvPT_PKS4_PfPimiiiif,"axG",@progbits,_ZN5aiter19grouped_topk_kernelIN3c108BFloat16EDv2_fLi4ELb0ELb0ELb0EEEvPT_PKS4_PfPimiiiif,comdat
	.protected	_ZN5aiter19grouped_topk_kernelIN3c108BFloat16EDv2_fLi4ELb0ELb0ELb0EEEvPT_PKS4_PfPimiiiif ; -- Begin function _ZN5aiter19grouped_topk_kernelIN3c108BFloat16EDv2_fLi4ELb0ELb0ELb0EEEvPT_PKS4_PfPimiiiif
	.globl	_ZN5aiter19grouped_topk_kernelIN3c108BFloat16EDv2_fLi4ELb0ELb0ELb0EEEvPT_PKS4_PfPimiiiif
	.p2align	8
	.type	_ZN5aiter19grouped_topk_kernelIN3c108BFloat16EDv2_fLi4ELb0ELb0ELb0EEEvPT_PKS4_PfPimiiiif,@function
_ZN5aiter19grouped_topk_kernelIN3c108BFloat16EDv2_fLi4ELb0ELb0ELb0EEEvPT_PKS4_PfPimiiiif: ; @_ZN5aiter19grouped_topk_kernelIN3c108BFloat16EDv2_fLi4ELb0ELb0ELb0EEEvPT_PKS4_PfPimiiiif
; %bb.0:
	s_load_dwordx4 s[8:11], s[4:5], 0x28
	s_load_dwordx4 s[12:15], s[4:5], 0x10
	v_lshl_add_u32 v1, v0, 3, 0
	s_waitcnt lgkmcnt(0)
	s_lshr_b32 s0, s8, 31
	s_add_i32 s0, s8, s0
	s_ashr_i32 s7, s0, 1
	v_cmp_gt_i32_e64 s[0:1], s7, v0
	s_and_saveexec_b64 s[16:17], s[0:1]
	s_cbranch_execz .LBB144_3
; %bb.1:
	s_load_dword s11, s[4:5], 0x4c
	s_load_dwordx2 s[2:3], s[4:5], 0x0
	s_mul_i32 s18, s6, s8
	s_ashr_i32 s19, s18, 31
	s_lshl_b64 s[18:19], s[18:19], 1
	s_waitcnt lgkmcnt(0)
	s_and_b32 s11, s11, 0xffff
	s_add_u32 s2, s2, s18
	v_lshlrev_b32_e32 v2, 2, v0
	s_addc_u32 s3, s3, s19
	s_mov_b32 s25, 0
	v_mov_b32_e32 v3, s3
	v_add_co_u32_e32 v2, vcc, s2, v2
	v_addc_co_u32_e32 v3, vcc, 0, v3, vcc
	s_lshl_b32 s20, s11, 2
	v_lshl_add_u32 v4, v0, 3, 0
	s_lshl_b32 s21, s11, 3
	s_mov_b64 s[18:19], 0
	s_mov_b32 s22, 0xbfb8aa3b
	s_mov_b32 s23, 0x42ce8ed0
	;; [unrolled: 1-line block ×3, first 2 shown]
	v_mov_b32_e32 v5, 0x7f800000
	v_mov_b32_e32 v6, s25
	;; [unrolled: 1-line block ×3, first 2 shown]
.LBB144_2:                              ; =>This Inner Loop Header: Depth=1
	global_load_dword v8, v[2:3], off
	v_add_co_u32_e32 v2, vcc, s20, v2
	v_add_u32_e32 v7, s11, v7
	v_addc_co_u32_e32 v3, vcc, v3, v6, vcc
	v_cmp_le_i32_e32 vcc, s7, v7
	s_or_b64 s[18:19], vcc, s[18:19]
	s_waitcnt vmcnt(0)
	v_cvt_f32_u32_sdwa v9, v8 dst_sel:DWORD dst_unused:UNUSED_PAD src0_sel:WORD_1
	v_cvt_f32_u32_sdwa v8, v8 dst_sel:DWORD dst_unused:UNUSED_PAD src0_sel:WORD_0
	v_mul_f32_e32 v10, 0xbfb8aa3b, v9
	v_mul_f32_e32 v11, 0xbfb8aa3b, v8
	v_fma_f32 v12, v9, s22, -v10
	v_rndne_f32_e32 v13, v10
	v_fma_f32 v14, v8, s22, -v11
	v_rndne_f32_e32 v15, v11
	v_fmac_f32_e32 v12, 0xb2a5705f, v9
	v_sub_f32_e32 v10, v10, v13
	v_fmac_f32_e32 v14, 0xb2a5705f, v8
	v_sub_f32_e32 v11, v11, v15
	v_add_f32_e32 v10, v10, v12
	v_add_f32_e32 v11, v11, v14
	v_cvt_i32_f32_e32 v13, v13
	v_cvt_i32_f32_e32 v15, v15
	v_exp_f32_e32 v10, v10
	v_exp_f32_e32 v11, v11
	v_cmp_nlt_f32_e32 vcc, s23, v8
	v_cmp_nlt_f32_e64 s[2:3], s23, v9
	v_ldexp_f32 v10, v10, v13
	v_ldexp_f32 v11, v11, v15
	v_cndmask_b32_e64 v10, 0, v10, s[2:3]
	v_cndmask_b32_e32 v11, 0, v11, vcc
	v_cmp_ngt_f32_e32 vcc, s24, v8
	v_cmp_ngt_f32_e64 s[2:3], s24, v9
	v_cndmask_b32_e64 v9, v5, v10, s[2:3]
	v_cndmask_b32_e32 v8, v5, v11, vcc
	v_pk_add_f32 v[8:9], v[8:9], 1.0 op_sel_hi:[1,0]
	v_div_scale_f32 v10, s[2:3], v9, v9, 1.0
	v_div_scale_f32 v12, s[2:3], v8, v8, 1.0
	v_rcp_f32_e32 v14, v10
	v_rcp_f32_e32 v15, v12
	v_div_scale_f32 v11, vcc, 1.0, v9, 1.0
	v_fma_f32 v16, -v10, v14, 1.0
	v_fma_f32 v17, -v12, v15, 1.0
	v_fmac_f32_e32 v14, v16, v14
	v_div_scale_f32 v13, s[2:3], 1.0, v8, 1.0
	v_fmac_f32_e32 v15, v17, v15
	v_mul_f32_e32 v16, v11, v14
	v_mul_f32_e32 v17, v13, v15
	v_fma_f32 v18, -v10, v16, v11
	v_fma_f32 v19, -v12, v17, v13
	v_fmac_f32_e32 v16, v18, v14
	v_fmac_f32_e32 v17, v19, v15
	v_fma_f32 v10, -v10, v16, v11
	v_fma_f32 v11, -v12, v17, v13
	v_div_fmas_f32 v10, v10, v14, v16
	s_mov_b64 vcc, s[2:3]
	v_div_fixup_f32 v9, v10, v9, 1.0
	v_div_fmas_f32 v10, v11, v15, v17
	v_div_fixup_f32 v8, v10, v8, 1.0
	ds_write_b64 v4, v[8:9]
	v_add_u32_e32 v4, s21, v4
	s_andn2_b64 exec, exec, s[18:19]
	s_cbranch_execnz .LBB144_2
.LBB144_3:
	s_or_b64 exec, exec, s[16:17]
	s_ashr_i32 s2, s8, 31
	s_lshr_b32 s2, s2, 30
	s_add_i32 s2, s8, s2
	s_ashr_i32 s11, s2, 2
	s_lshl_b32 s2, s8, 2
	s_add_i32 s22, s2, 0
	v_cmp_gt_u32_e32 vcc, 4, v0
	s_waitcnt lgkmcnt(0)
	s_barrier
	s_and_saveexec_b64 s[16:17], vcc
	s_cbranch_execz .LBB144_10
; %bb.4:
	s_load_dword s2, s[4:5], 0x4c
	v_mul_lo_u32 v2, v0, s11
	v_lshl_add_u32 v2, v2, 2, 0
	s_mov_b64 s[18:19], 0
	s_waitcnt lgkmcnt(0)
	s_and_b32 s23, s2, 0xffff
	s_cmp_gt_i32 s8, 3
	s_cselect_b64 s[2:3], -1, 0
	s_mul_i32 s8, s11, s23
	v_cndmask_b32_e64 v3, 0, 1, s[2:3]
	s_lshl_b32 s8, s8, 2
	v_cmp_ne_u32_e64 s[2:3], 1, v3
	v_mov_b32_e32 v3, v0
	s_branch .LBB144_6
.LBB144_5:                              ;   in Loop: Header=BB144_6 Depth=1
	v_lshl_add_u32 v5, v3, 2, s22
	v_add_u32_e32 v3, s23, v3
	v_cmp_lt_u32_e32 vcc, 3, v3
	s_or_b64 s[18:19], vcc, s[18:19]
	v_add_u32_e32 v2, s8, v2
	ds_write_b32 v5, v4
	s_andn2_b64 exec, exec, s[18:19]
	s_cbranch_execz .LBB144_10
.LBB144_6:                              ; =>This Loop Header: Depth=1
                                        ;     Child Loop BB144_8 Depth 2
	s_and_b64 vcc, exec, s[2:3]
	v_mov_b32_e32 v4, 0xff800000
	s_cbranch_vccnz .LBB144_5
; %bb.7:                                ;   in Loop: Header=BB144_6 Depth=1
	v_mul_lo_u32 v5, v3, s11
	v_add_u32_e32 v6, s11, v5
	s_mov_b64 s[20:21], 0
	v_mov_b32_e32 v4, 0xff800000
	v_mov_b32_e32 v7, v2
.LBB144_8:                              ;   Parent Loop BB144_6 Depth=1
                                        ; =>  This Inner Loop Header: Depth=2
	ds_read_b32 v8, v7
	v_add_u32_e32 v5, 1, v5
	v_cmp_ge_i32_e32 vcc, v5, v6
	s_or_b64 s[20:21], vcc, s[20:21]
	v_add_u32_e32 v7, 4, v7
	s_waitcnt lgkmcnt(0)
	v_cmp_gt_f32_e32 vcc, v8, v4
	v_cndmask_b32_e32 v4, v4, v8, vcc
	s_andn2_b64 exec, exec, s[20:21]
	s_cbranch_execnz .LBB144_8
; %bb.9:                                ;   in Loop: Header=BB144_6 Depth=1
	s_or_b64 exec, exec, s[20:21]
	s_branch .LBB144_5
.LBB144_10:
	s_or_b64 exec, exec, s[16:17]
	s_cmp_lt_i32 s10, 1
	s_waitcnt lgkmcnt(0)
	s_barrier
	s_cbranch_scc1 .LBB144_13
; %bb.11:
	v_mov_b32_e32 v2, s22
	s_mov_b32 s2, 0xff800000
	v_mov_b32_e32 v3, 0xff800000
.LBB144_12:                             ; =>This Inner Loop Header: Depth=1
	ds_read2_b32 v[4:5], v2 offset1:1
	ds_read2_b32 v[6:7], v2 offset0:2 offset1:3
	s_waitcnt lgkmcnt(1)
	v_cmp_nlg_f32_e32 vcc, s2, v4
	v_cndmask_b32_e64 v8, 0, 1, vcc
	v_cmp_lg_f32_e32 vcc, s2, v4
	v_cndmask_b32_e32 v4, v3, v4, vcc
	v_readfirstlane_b32 s3, v8
	v_cmp_gt_f32_e32 vcc, v5, v4
	s_lshl_b32 s3, s3, 2
	v_cndmask_b32_e32 v4, v4, v5, vcc
	s_and_b64 s[16:17], vcc, exec
	s_waitcnt lgkmcnt(0)
	v_cmp_gt_f32_e32 vcc, v6, v4
	v_cndmask_b32_e32 v4, v4, v6, vcc
	s_cselect_b32 s3, 1, s3
	s_and_b64 s[16:17], vcc, exec
	v_cmp_ngt_f32_e32 vcc, v7, v4
	s_cselect_b32 s3, 2, s3
	s_and_b64 s[16:17], vcc, exec
	s_cselect_b32 s3, s3, 3
	s_lshl_b32 s3, s3, 2
	s_add_i32 s3, s22, s3
	s_add_i32 s10, s10, -1
	v_mov_b32_e32 v4, s3
	s_cmp_lg_u32 s10, 0
	ds_write_b32 v4, v3
	s_cbranch_scc1 .LBB144_12
.LBB144_13:
	v_lshlrev_b32_e32 v4, 1, v0
	s_and_saveexec_b64 s[2:3], s[0:1]
	s_cbranch_execz .LBB144_18
; %bb.14:
	s_abs_i32 s8, s11
	v_cvt_f32_u32_e32 v2, s8
	s_load_dword s16, s[4:5], 0x4c
	s_sub_i32 s17, 0, s8
	s_ashr_i32 s18, s11, 31
	v_rcp_iflag_f32_e32 v2, v2
	v_lshlrev_b32_e32 v5, 1, v0
	s_waitcnt lgkmcnt(0)
	s_and_b32 s19, s16, 0xffff
	v_lshl_add_u32 v6, v0, 3, 0
	v_mul_f32_e32 v2, 0x4f7ffffe, v2
	v_cvt_u32_f32_e32 v2, v2
	s_mov_b64 s[10:11], 0
	s_lshl_b32 s20, s19, 1
	s_lshl_b32 s21, s19, 3
	v_mul_lo_u32 v3, s17, v2
	v_mul_hi_u32 v3, v2, v3
	v_add_u32_e32 v7, v2, v3
	s_mov_b32 s23, 0xff800000
	v_mov_b32_e32 v2, 0xff800000
	v_mov_b32_e32 v8, v0
	s_branch .LBB144_16
.LBB144_15:                             ;   in Loop: Header=BB144_16 Depth=1
	s_or_b64 exec, exec, s[16:17]
	v_add_u32_e32 v8, s19, v8
	v_cmp_le_i32_e32 vcc, s7, v8
	v_add_u32_e32 v5, s20, v5
	s_or_b64 s[10:11], vcc, s[10:11]
	v_add_u32_e32 v6, s21, v6
	s_andn2_b64 exec, exec, s[10:11]
	s_cbranch_execz .LBB144_18
.LBB144_16:                             ; =>This Inner Loop Header: Depth=1
	v_mul_hi_u32 v3, v5, v7
	v_mul_lo_u32 v9, v3, s8
	v_sub_u32_e32 v9, v5, v9
	v_add_u32_e32 v10, 1, v3
	v_cmp_le_u32_e32 vcc, s8, v9
	v_cndmask_b32_e32 v3, v3, v10, vcc
	v_subrev_u32_e32 v10, s8, v9
	v_cndmask_b32_e32 v9, v9, v10, vcc
	v_add_u32_e32 v10, 1, v3
	v_cmp_le_u32_e32 vcc, s8, v9
	v_cndmask_b32_e32 v3, v3, v10, vcc
	v_xor_b32_e32 v3, s18, v3
	v_subrev_u32_e32 v3, s18, v3
	v_lshl_add_u32 v3, v3, 2, s22
	ds_read_b32 v3, v3
	s_waitcnt lgkmcnt(0)
	v_cmp_neq_f32_e32 vcc, s23, v3
	s_and_saveexec_b64 s[16:17], vcc
	s_cbranch_execz .LBB144_15
; %bb.17:                               ;   in Loop: Header=BB144_16 Depth=1
	v_mov_b32_e32 v3, v2
	ds_write_b64 v6, v[2:3]
	s_branch .LBB144_15
.LBB144_18:
	s_or_b64 exec, exec, s[2:3]
	s_cmp_lt_i32 s9, 1
	s_waitcnt lgkmcnt(0)
	s_barrier
	s_cbranch_scc1 .LBB144_25
; %bb.19:
	s_add_u32 s2, s4, 64
	s_addc_u32 s3, s5, 0
	s_mov_b32 s8, 0
	v_mov_b32_e32 v5, 0xff800000
                                        ; implicit-def: $vgpr3
                                        ; implicit-def: $vgpr2
	s_branch .LBB144_21
.LBB144_20:                             ;   in Loop: Header=BB144_21 Depth=1
	s_or_b64 exec, exec, s[10:11]
	v_mov_b32_dpp v9, v7 quad_perm:[1,0,3,2] row_mask:0xf bank_mask:0xf
	v_cmp_lt_f32_e32 vcc, v7, v9
	v_cndmask_b32_e32 v7, v7, v9, vcc
	v_mov_b32_dpp v8, v6 quad_perm:[1,0,3,2] row_mask:0xf bank_mask:0xf
	v_cndmask_b32_e32 v6, v6, v8, vcc
	v_mov_b32_dpp v9, v7 quad_perm:[2,3,0,1] row_mask:0xf bank_mask:0xf
	v_cmp_gt_f32_e32 vcc, v9, v7
	v_cndmask_b32_e32 v7, v7, v9, vcc
	v_mov_b32_dpp v8, v6 quad_perm:[2,3,0,1] row_mask:0xf bank_mask:0xf
	v_cndmask_b32_e32 v6, v6, v8, vcc
	v_mov_b32_dpp v9, v7 row_half_mirror row_mask:0xf bank_mask:0xf
	v_cmp_gt_f32_e32 vcc, v9, v7
	v_cndmask_b32_e32 v7, v7, v9, vcc
	v_mov_b32_dpp v8, v6 row_half_mirror row_mask:0xf bank_mask:0xf
	v_cndmask_b32_e32 v6, v6, v8, vcc
	v_mov_b32_dpp v9, v7 row_mirror row_mask:0xf bank_mask:0xf
	v_cmp_gt_f32_e32 vcc, v9, v7
	v_cndmask_b32_e32 v7, v7, v9, vcc
	v_mov_b32_dpp v8, v6 row_mirror row_mask:0xf bank_mask:0xf
	v_cndmask_b32_e32 v6, v6, v8, vcc
	v_mov_b32_dpp v9, v7 row_bcast:15 row_mask:0xf bank_mask:0xf
	v_cmp_gt_f32_e32 vcc, v9, v7
	v_mov_b32_dpp v8, v6 row_bcast:15 row_mask:0xf bank_mask:0xf
	v_cndmask_b32_e32 v7, v7, v9, vcc
	v_cndmask_b32_e32 v6, v6, v8, vcc
	s_nop 0
	v_mov_b32_dpp v9, v7 row_bcast:31 row_mask:0xf bank_mask:0xf
	v_mov_b32_dpp v8, v6 row_bcast:31 row_mask:0xf bank_mask:0xf
	v_cmp_gt_f32_e32 vcc, v9, v7
	v_cndmask_b32_e32 v6, v6, v8, vcc
	v_readlane_b32 s11, v6, 63
	s_lshl_b32 s16, s11, 2
	s_add_i32 s16, s16, 0
	v_cndmask_b32_e32 v7, v7, v9, vcc
	v_mov_b32_e32 v6, s16
	v_readlane_b32 s10, v7, 63
	ds_write_b32 v6, v5
	v_mov_b32_e32 v6, s11
	v_cmp_eq_u32_e32 vcc, s8, v0
	v_cndmask_b32_e32 v2, v2, v6, vcc
	v_mov_b32_e32 v6, s10
	s_add_i32 s8, s8, 1
	s_cmp_eq_u32 s8, s9
	v_cndmask_b32_e32 v3, v3, v6, vcc
	s_cbranch_scc1 .LBB144_26
.LBB144_21:                             ; =>This Loop Header: Depth=1
                                        ;     Child Loop BB144_23 Depth 2
	v_mov_b32_e32 v6, s8
	v_mov_b32_e32 v7, 0xff800000
	s_and_saveexec_b64 s[10:11], s[0:1]
	s_cbranch_execz .LBB144_20
; %bb.22:                               ;   in Loop: Header=BB144_21 Depth=1
	s_load_dword s18, s[2:3], 0xc
	s_mov_b64 s[16:17], 0
	v_mov_b32_e32 v6, s8
	v_mov_b32_e32 v7, 0xff800000
	v_mov_b32_e32 v8, v1
	s_waitcnt lgkmcnt(0)
	s_and_b32 s18, s18, 0xffff
	s_lshl_b32 s19, s18, 1
	s_lshl_b32 s20, s18, 3
	v_mov_b32_e32 v9, v4
	v_mov_b32_e32 v10, v0
.LBB144_23:                             ;   Parent Loop BB144_21 Depth=1
                                        ; =>  This Inner Loop Header: Depth=2
	ds_read_b64 v[12:13], v8
	v_add_u32_e32 v10, s18, v10
	v_cmp_le_i32_e32 vcc, s7, v10
	s_or_b64 s[16:17], vcc, s[16:17]
	v_add_u32_e32 v11, 1, v9
	s_waitcnt lgkmcnt(0)
	v_cmp_gt_f32_e32 vcc, v12, v7
	v_cndmask_b32_e32 v7, v7, v12, vcc
	v_cndmask_b32_e32 v6, v6, v9, vcc
	v_cmp_gt_f32_e32 vcc, v13, v7
	v_add_u32_e32 v8, s20, v8
	v_cndmask_b32_e32 v7, v7, v13, vcc
	v_add_u32_e32 v9, s19, v9
	v_cndmask_b32_e32 v6, v6, v11, vcc
	s_andn2_b64 exec, exec, s[16:17]
	s_cbranch_execnz .LBB144_23
; %bb.24:                               ;   in Loop: Header=BB144_21 Depth=1
	s_or_b64 exec, exec, s[16:17]
	s_branch .LBB144_20
.LBB144_25:
                                        ; implicit-def: $vgpr3
                                        ; implicit-def: $vgpr2
.LBB144_26:
	v_cmp_gt_i32_e32 vcc, s9, v0
	s_and_saveexec_b64 s[0:1], vcc
	s_cbranch_execz .LBB144_29
; %bb.27:
	s_load_dword s2, s[4:5], 0x38
	s_load_dwordx2 s[0:1], s[4:5], 0x20
	s_ashr_i32 s3, s6, 31
	s_load_dword s4, s[4:5], 0x4c
	v_mov_b32_e32 v4, s13
	s_waitcnt lgkmcnt(0)
	v_mul_f32_e32 v1, s2, v3
	s_mul_i32 s1, s6, s1
	s_mul_hi_u32 s2, s6, s0
	s_add_i32 s1, s2, s1
	s_mul_i32 s3, s3, s0
	s_add_i32 s5, s1, s3
	s_mul_i32 s2, s6, s0
	s_and_b32 s3, s4, 0xffff
	s_mov_b64 s[0:1], 0
	v_mov_b32_e32 v3, s5
	v_mov_b32_e32 v5, s15
.LBB144_28:                             ; =>This Inner Loop Header: Depth=1
	v_ashrrev_i32_e32 v7, 31, v0
	v_add_co_u32_e32 v6, vcc, s2, v0
	v_addc_co_u32_e32 v7, vcc, v3, v7, vcc
	v_add_u32_e32 v0, s3, v0
	v_cmp_le_i32_e32 vcc, s9, v0
	v_lshlrev_b64 v[6:7], 2, v[6:7]
	s_or_b64 s[0:1], vcc, s[0:1]
	v_add_co_u32_e32 v8, vcc, s12, v6
	v_addc_co_u32_e32 v9, vcc, v4, v7, vcc
	v_add_co_u32_e32 v6, vcc, s14, v6
	v_addc_co_u32_e32 v7, vcc, v5, v7, vcc
	global_store_dword v[8:9], v1, off
	global_store_dword v[6:7], v2, off
	s_andn2_b64 exec, exec, s[0:1]
	s_cbranch_execnz .LBB144_28
.LBB144_29:
	s_endpgm
	.section	.rodata,"a",@progbits
	.p2align	6, 0x0
	.amdhsa_kernel _ZN5aiter19grouped_topk_kernelIN3c108BFloat16EDv2_fLi4ELb0ELb0ELb0EEEvPT_PKS4_PfPimiiiif
		.amdhsa_group_segment_fixed_size 0
		.amdhsa_private_segment_fixed_size 0
		.amdhsa_kernarg_size 320
		.amdhsa_user_sgpr_count 6
		.amdhsa_user_sgpr_private_segment_buffer 1
		.amdhsa_user_sgpr_dispatch_ptr 0
		.amdhsa_user_sgpr_queue_ptr 0
		.amdhsa_user_sgpr_kernarg_segment_ptr 1
		.amdhsa_user_sgpr_dispatch_id 0
		.amdhsa_user_sgpr_flat_scratch_init 0
		.amdhsa_user_sgpr_kernarg_preload_length 0
		.amdhsa_user_sgpr_kernarg_preload_offset 0
		.amdhsa_user_sgpr_private_segment_size 0
		.amdhsa_uses_dynamic_stack 0
		.amdhsa_system_sgpr_private_segment_wavefront_offset 0
		.amdhsa_system_sgpr_workgroup_id_x 1
		.amdhsa_system_sgpr_workgroup_id_y 0
		.amdhsa_system_sgpr_workgroup_id_z 0
		.amdhsa_system_sgpr_workgroup_info 0
		.amdhsa_system_vgpr_workitem_id 0
		.amdhsa_next_free_vgpr 20
		.amdhsa_next_free_sgpr 26
		.amdhsa_accum_offset 20
		.amdhsa_reserve_vcc 1
		.amdhsa_reserve_flat_scratch 0
		.amdhsa_float_round_mode_32 0
		.amdhsa_float_round_mode_16_64 0
		.amdhsa_float_denorm_mode_32 3
		.amdhsa_float_denorm_mode_16_64 3
		.amdhsa_dx10_clamp 1
		.amdhsa_ieee_mode 1
		.amdhsa_fp16_overflow 0
		.amdhsa_tg_split 0
		.amdhsa_exception_fp_ieee_invalid_op 0
		.amdhsa_exception_fp_denorm_src 0
		.amdhsa_exception_fp_ieee_div_zero 0
		.amdhsa_exception_fp_ieee_overflow 0
		.amdhsa_exception_fp_ieee_underflow 0
		.amdhsa_exception_fp_ieee_inexact 0
		.amdhsa_exception_int_div_zero 0
	.end_amdhsa_kernel
	.section	.text._ZN5aiter19grouped_topk_kernelIN3c108BFloat16EDv2_fLi4ELb0ELb0ELb0EEEvPT_PKS4_PfPimiiiif,"axG",@progbits,_ZN5aiter19grouped_topk_kernelIN3c108BFloat16EDv2_fLi4ELb0ELb0ELb0EEEvPT_PKS4_PfPimiiiif,comdat
.Lfunc_end144:
	.size	_ZN5aiter19grouped_topk_kernelIN3c108BFloat16EDv2_fLi4ELb0ELb0ELb0EEEvPT_PKS4_PfPimiiiif, .Lfunc_end144-_ZN5aiter19grouped_topk_kernelIN3c108BFloat16EDv2_fLi4ELb0ELb0ELb0EEEvPT_PKS4_PfPimiiiif
                                        ; -- End function
	.section	.AMDGPU.csdata,"",@progbits
; Kernel info:
; codeLenInByte = 1876
; NumSgprs: 30
; NumVgprs: 20
; NumAgprs: 0
; TotalNumVgprs: 20
; ScratchSize: 0
; MemoryBound: 0
; FloatMode: 240
; IeeeMode: 1
; LDSByteSize: 0 bytes/workgroup (compile time only)
; SGPRBlocks: 3
; VGPRBlocks: 2
; NumSGPRsForWavesPerEU: 30
; NumVGPRsForWavesPerEU: 20
; AccumOffset: 20
; Occupancy: 8
; WaveLimiterHint : 0
; COMPUTE_PGM_RSRC2:SCRATCH_EN: 0
; COMPUTE_PGM_RSRC2:USER_SGPR: 6
; COMPUTE_PGM_RSRC2:TRAP_HANDLER: 0
; COMPUTE_PGM_RSRC2:TGID_X_EN: 1
; COMPUTE_PGM_RSRC2:TGID_Y_EN: 0
; COMPUTE_PGM_RSRC2:TGID_Z_EN: 0
; COMPUTE_PGM_RSRC2:TIDIG_COMP_CNT: 0
; COMPUTE_PGM_RSRC3_GFX90A:ACCUM_OFFSET: 4
; COMPUTE_PGM_RSRC3_GFX90A:TG_SPLIT: 0
	.section	.text._ZN5aiter28grouped_topk_opt_sort_kernelIfDv2_fLi2ELb1ELb1ELb0EEEvPT_PKS2_PfPimiiiif,"axG",@progbits,_ZN5aiter28grouped_topk_opt_sort_kernelIfDv2_fLi2ELb1ELb1ELb0EEEvPT_PKS2_PfPimiiiif,comdat
	.protected	_ZN5aiter28grouped_topk_opt_sort_kernelIfDv2_fLi2ELb1ELb1ELb0EEEvPT_PKS2_PfPimiiiif ; -- Begin function _ZN5aiter28grouped_topk_opt_sort_kernelIfDv2_fLi2ELb1ELb1ELb0EEEvPT_PKS2_PfPimiiiif
	.globl	_ZN5aiter28grouped_topk_opt_sort_kernelIfDv2_fLi2ELb1ELb1ELb0EEEvPT_PKS2_PfPimiiiif
	.p2align	8
	.type	_ZN5aiter28grouped_topk_opt_sort_kernelIfDv2_fLi2ELb1ELb1ELb0EEEvPT_PKS2_PfPimiiiif,@function
_ZN5aiter28grouped_topk_opt_sort_kernelIfDv2_fLi2ELb1ELb1ELb0EEEvPT_PKS2_PfPimiiiif: ; @_ZN5aiter28grouped_topk_opt_sort_kernelIfDv2_fLi2ELb1ELb1ELb0EEEvPT_PKS2_PfPimiiiif
; %bb.0:
	s_load_dword s7, s[4:5], 0x28
	s_load_dwordx4 s[0:3], s[4:5], 0x0
	s_load_dword s8, s[4:5], 0x30
	v_lshlrev_b32_e32 v1, 3, v0
	v_mbcnt_lo_u32_b32 v6, -1, 0
	s_waitcnt lgkmcnt(0)
	s_mul_i32 s4, s6, s7
	s_ashr_i32 s5, s4, 31
	s_lshl_b64 s[4:5], s[4:5], 2
	s_add_u32 s0, s0, s4
	s_addc_u32 s1, s1, s5
	global_load_dwordx2 v[2:3], v1, s[0:1]
	global_load_dwordx2 v[4:5], v1, s[2:3]
	s_mov_b32 s0, 0x652b82fe
	s_mov_b32 s1, 0xbff71547
	v_mbcnt_hi_u32_b32 v13, -1, v6
	s_mov_b32 s2, 0xc2fc0000
	v_mov_b32_e32 v8, 0x42800000
	v_mov_b32_e32 v9, 0x1f800000
	;; [unrolled: 1-line block ×3, first 2 shown]
	s_mov_b32 s3, 0xff800000
	v_lshlrev_b32_e32 v12, 5, v0
	v_mov_b32_e32 v11, 0x7f800000
	v_add_u32_e32 v1, 0, v1
	s_waitcnt vmcnt(1)
	v_cvt_f64_f32_e32 v[6:7], v2
	v_cvt_f64_f32_e32 v[2:3], v3
	v_mul_f64 v[6:7], v[6:7], s[0:1]
	v_mul_f64 v[2:3], v[2:3], s[0:1]
	v_cvt_f32_f64_e32 v6, v[6:7]
	v_cvt_f32_f64_e32 v2, v[2:3]
	v_cmp_gt_f32_e32 vcc, s2, v6
	v_cmp_gt_f32_e64 s[0:1], s2, v2
	v_cndmask_b32_e32 v3, 0, v8, vcc
	v_cndmask_b32_e64 v7, 0, v8, s[0:1]
	v_add_f32_e32 v3, v6, v3
	v_add_f32_e32 v2, v2, v7
	v_exp_f32_e32 v3, v3
	v_exp_f32_e32 v2, v2
	v_cndmask_b32_e32 v6, 1.0, v9, vcc
	v_cndmask_b32_e64 v7, 1.0, v9, s[0:1]
	v_fma_f32 v3, v3, v6, 1.0
	v_fma_f32 v6, v2, v7, 1.0
	v_rcp_f32_e32 v2, v3
	v_rcp_f32_e32 v3, v6
	v_and_b32_e32 v6, 64, v13
	v_and_or_b32 v7, v12, 32, v6
	v_lshlrev_b32_e32 v7, 2, v7
	s_waitcnt vmcnt(0)
	v_pk_add_f32 v[2:3], v[4:5], v[2:3]
	v_cmp_o_f32_e32 vcc, v3, v3
	v_cndmask_b32_e32 v3, v10, v3, vcc
	v_cmp_o_f32_e32 vcc, v2, v2
	v_cndmask_b32_e32 v2, v10, v2, vcc
	v_med3_f32 v4, v3, v2, s3
	v_max_f32_e32 v5, v3, v2
	v_add_f32_e32 v4, v5, v4
	ds_bpermute_b32 v4, v7, v4
	v_and_b32_e32 v5, 1, v0
	v_cmp_eq_u32_e32 vcc, 0, v5
	v_cndmask_b32_e32 v5, v10, v11, vcc
	v_lshlrev_b32_e32 v6, 2, v6
	s_waitcnt lgkmcnt(0)
	v_mov_b32_dpp v7, v4 quad_perm:[1,0,3,2] row_mask:0xf bank_mask:0xf bound_ctrl:1
	v_med3_f32 v5, v4, v7, v5
	ds_bpermute_b32 v5, v6, v5 offset:12
	ds_write_b64 v1, v[2:3]
	s_waitcnt lgkmcnt(1)
	v_cmp_gt_f32_e32 vcc, v4, v5
	v_cndmask_b32_e64 v1, 0, 1, vcc
	v_cmp_eq_f32_e64 s[0:1], v4, v5
	v_cndmask_b32_e64 v2, 0, 1, s[0:1]
	v_mov_b32_dpp v1, v1 row_shr:1 row_mask:0xf bank_mask:0xf bound_ctrl:1
	v_addc_co_u32_e32 v1, vcc, 0, v1, vcc
	v_readlane_b32 s4, v1, 1
	v_mov_b32_dpp v2, v2 row_shr:1 row_mask:0xf bank_mask:0xf bound_ctrl:1
	v_mov_b32_e32 v3, s4
	v_addc_co_u32_e64 v2, vcc, v2, v3, s[0:1]
	v_cndmask_b32_e64 v1, v1, v2, s[0:1]
	v_cmp_ge_f32_e64 s[2:3], v4, v5
	v_cmp_ge_i32_e32 vcc, s8, v1
	s_and_b64 s[0:1], s[2:3], vcc
	v_cmp_gt_u32_e32 vcc, 2, v0
	s_and_b64 s[2:3], vcc, s[0:1]
	s_and_saveexec_b64 s[0:1], s[2:3]
	s_cbranch_execz .LBB145_2
; %bb.1:
	s_lshl_b32 s2, s7, 2
	s_add_i32 s2, s2, 0
	v_lshl_add_u32 v1, v1, 2, s2
	ds_write_b32 v1, v0 offset:4
.LBB145_2:
	s_or_b64 exec, exec, s[0:1]
	s_waitcnt lgkmcnt(0)
	s_barrier
	s_endpgm
	.section	.rodata,"a",@progbits
	.p2align	6, 0x0
	.amdhsa_kernel _ZN5aiter28grouped_topk_opt_sort_kernelIfDv2_fLi2ELb1ELb1ELb0EEEvPT_PKS2_PfPimiiiif
		.amdhsa_group_segment_fixed_size 0
		.amdhsa_private_segment_fixed_size 0
		.amdhsa_kernarg_size 60
		.amdhsa_user_sgpr_count 6
		.amdhsa_user_sgpr_private_segment_buffer 1
		.amdhsa_user_sgpr_dispatch_ptr 0
		.amdhsa_user_sgpr_queue_ptr 0
		.amdhsa_user_sgpr_kernarg_segment_ptr 1
		.amdhsa_user_sgpr_dispatch_id 0
		.amdhsa_user_sgpr_flat_scratch_init 0
		.amdhsa_user_sgpr_kernarg_preload_length 0
		.amdhsa_user_sgpr_kernarg_preload_offset 0
		.amdhsa_user_sgpr_private_segment_size 0
		.amdhsa_uses_dynamic_stack 0
		.amdhsa_system_sgpr_private_segment_wavefront_offset 0
		.amdhsa_system_sgpr_workgroup_id_x 1
		.amdhsa_system_sgpr_workgroup_id_y 0
		.amdhsa_system_sgpr_workgroup_id_z 0
		.amdhsa_system_sgpr_workgroup_info 0
		.amdhsa_system_vgpr_workitem_id 0
		.amdhsa_next_free_vgpr 14
		.amdhsa_next_free_sgpr 9
		.amdhsa_accum_offset 16
		.amdhsa_reserve_vcc 1
		.amdhsa_reserve_flat_scratch 0
		.amdhsa_float_round_mode_32 0
		.amdhsa_float_round_mode_16_64 0
		.amdhsa_float_denorm_mode_32 3
		.amdhsa_float_denorm_mode_16_64 3
		.amdhsa_dx10_clamp 1
		.amdhsa_ieee_mode 1
		.amdhsa_fp16_overflow 0
		.amdhsa_tg_split 0
		.amdhsa_exception_fp_ieee_invalid_op 0
		.amdhsa_exception_fp_denorm_src 0
		.amdhsa_exception_fp_ieee_div_zero 0
		.amdhsa_exception_fp_ieee_overflow 0
		.amdhsa_exception_fp_ieee_underflow 0
		.amdhsa_exception_fp_ieee_inexact 0
		.amdhsa_exception_int_div_zero 0
	.end_amdhsa_kernel
	.section	.text._ZN5aiter28grouped_topk_opt_sort_kernelIfDv2_fLi2ELb1ELb1ELb0EEEvPT_PKS2_PfPimiiiif,"axG",@progbits,_ZN5aiter28grouped_topk_opt_sort_kernelIfDv2_fLi2ELb1ELb1ELb0EEEvPT_PKS2_PfPimiiiif,comdat
.Lfunc_end145:
	.size	_ZN5aiter28grouped_topk_opt_sort_kernelIfDv2_fLi2ELb1ELb1ELb0EEEvPT_PKS2_PfPimiiiif, .Lfunc_end145-_ZN5aiter28grouped_topk_opt_sort_kernelIfDv2_fLi2ELb1ELb1ELb0EEEvPT_PKS2_PfPimiiiif
                                        ; -- End function
	.section	.AMDGPU.csdata,"",@progbits
; Kernel info:
; codeLenInByte = 540
; NumSgprs: 13
; NumVgprs: 14
; NumAgprs: 0
; TotalNumVgprs: 14
; ScratchSize: 0
; MemoryBound: 0
; FloatMode: 240
; IeeeMode: 1
; LDSByteSize: 0 bytes/workgroup (compile time only)
; SGPRBlocks: 1
; VGPRBlocks: 1
; NumSGPRsForWavesPerEU: 13
; NumVGPRsForWavesPerEU: 14
; AccumOffset: 16
; Occupancy: 8
; WaveLimiterHint : 0
; COMPUTE_PGM_RSRC2:SCRATCH_EN: 0
; COMPUTE_PGM_RSRC2:USER_SGPR: 6
; COMPUTE_PGM_RSRC2:TRAP_HANDLER: 0
; COMPUTE_PGM_RSRC2:TGID_X_EN: 1
; COMPUTE_PGM_RSRC2:TGID_Y_EN: 0
; COMPUTE_PGM_RSRC2:TGID_Z_EN: 0
; COMPUTE_PGM_RSRC2:TIDIG_COMP_CNT: 0
; COMPUTE_PGM_RSRC3_GFX90A:ACCUM_OFFSET: 3
; COMPUTE_PGM_RSRC3_GFX90A:TG_SPLIT: 0
	.section	.text._ZN5aiter28grouped_topk_opt_sort_kernelIN3c104HalfEDv2_fLi2ELb1ELb1ELb0EEEvPT_PKS4_PfPimiiiif,"axG",@progbits,_ZN5aiter28grouped_topk_opt_sort_kernelIN3c104HalfEDv2_fLi2ELb1ELb1ELb0EEEvPT_PKS4_PfPimiiiif,comdat
	.protected	_ZN5aiter28grouped_topk_opt_sort_kernelIN3c104HalfEDv2_fLi2ELb1ELb1ELb0EEEvPT_PKS4_PfPimiiiif ; -- Begin function _ZN5aiter28grouped_topk_opt_sort_kernelIN3c104HalfEDv2_fLi2ELb1ELb1ELb0EEEvPT_PKS4_PfPimiiiif
	.globl	_ZN5aiter28grouped_topk_opt_sort_kernelIN3c104HalfEDv2_fLi2ELb1ELb1ELb0EEEvPT_PKS4_PfPimiiiif
	.p2align	8
	.type	_ZN5aiter28grouped_topk_opt_sort_kernelIN3c104HalfEDv2_fLi2ELb1ELb1ELb0EEEvPT_PKS4_PfPimiiiif,@function
_ZN5aiter28grouped_topk_opt_sort_kernelIN3c104HalfEDv2_fLi2ELb1ELb1ELb0EEEvPT_PKS4_PfPimiiiif: ; @_ZN5aiter28grouped_topk_opt_sort_kernelIN3c104HalfEDv2_fLi2ELb1ELb1ELb0EEEvPT_PKS4_PfPimiiiif
; %bb.0:
	s_load_dword s7, s[4:5], 0x28
	s_load_dwordx4 s[0:3], s[4:5], 0x0
	s_load_dword s8, s[4:5], 0x30
	v_lshlrev_b32_e32 v1, 2, v0
	v_mbcnt_lo_u32_b32 v4, -1, 0
	s_waitcnt lgkmcnt(0)
	s_mul_i32 s4, s6, s7
	s_ashr_i32 s5, s4, 31
	s_lshl_b64 s[4:5], s[4:5], 1
	s_add_u32 s0, s0, s4
	s_addc_u32 s1, s1, s5
	global_load_dword v2, v1, s[0:1]
	global_load_dword v3, v1, s[2:3]
	v_mbcnt_hi_u32_b32 v12, -1, v4
	s_mov_b32 s0, 0x652b82fe
	s_mov_b32 s1, 0xbff71547
	;; [unrolled: 1-line block ×3, first 2 shown]
	v_mov_b32_e32 v1, 0x42800000
	v_mov_b32_e32 v8, 0x1f800000
	;; [unrolled: 1-line block ×3, first 2 shown]
	s_mov_b32 s3, 0xff800000
	v_lshlrev_b32_e32 v11, 5, v0
	v_mov_b32_e32 v10, 0x7f800000
	s_waitcnt vmcnt(1)
	v_cvt_f32_f16_e32 v4, v2
	v_cvt_f32_f16_sdwa v6, v2 dst_sel:DWORD dst_unused:UNUSED_PAD src0_sel:WORD_1
	s_waitcnt vmcnt(0)
	v_cvt_f32_f16_e32 v2, v3
	v_cvt_f32_f16_sdwa v3, v3 dst_sel:DWORD dst_unused:UNUSED_PAD src0_sel:WORD_1
	v_cvt_f64_f32_e32 v[4:5], v4
	v_cvt_f64_f32_e32 v[6:7], v6
	v_mul_f64 v[4:5], v[4:5], s[0:1]
	v_mul_f64 v[6:7], v[6:7], s[0:1]
	v_cvt_f32_f64_e32 v4, v[4:5]
	v_cvt_f32_f64_e32 v5, v[6:7]
	v_cmp_gt_f32_e32 vcc, s2, v4
	v_cmp_gt_f32_e64 s[0:1], s2, v5
	v_cndmask_b32_e32 v6, 0, v1, vcc
	v_cndmask_b32_e64 v1, 0, v1, s[0:1]
	v_add_f32_e32 v4, v4, v6
	v_add_f32_e32 v1, v5, v1
	v_exp_f32_e32 v4, v4
	v_exp_f32_e32 v1, v1
	v_cndmask_b32_e32 v5, 1.0, v8, vcc
	v_cndmask_b32_e64 v6, 1.0, v8, s[0:1]
	v_fma_f32 v4, v4, v5, 1.0
	v_fma_f32 v1, v1, v6, 1.0
	v_rcp_f32_e32 v4, v4
	v_rcp_f32_e32 v5, v1
	v_and_b32_e32 v1, 64, v12
	v_and_or_b32 v6, v11, 32, v1
	v_lshlrev_b32_e32 v6, 2, v6
	v_pk_add_f32 v[2:3], v[4:5], v[2:3]
	v_cmp_o_f32_e32 vcc, v3, v3
	v_cndmask_b32_e32 v3, v9, v3, vcc
	v_cmp_o_f32_e32 vcc, v2, v2
	v_cndmask_b32_e32 v2, v9, v2, vcc
	v_med3_f32 v4, v3, v2, s3
	v_max_f32_e32 v5, v3, v2
	v_add_f32_e32 v4, v5, v4
	ds_bpermute_b32 v4, v6, v4
	v_and_b32_e32 v5, 1, v0
	v_cmp_eq_u32_e32 vcc, 0, v5
	v_cndmask_b32_e32 v5, v9, v10, vcc
	v_lshlrev_b32_e32 v1, 2, v1
	s_waitcnt lgkmcnt(0)
	v_mov_b32_dpp v6, v4 quad_perm:[1,0,3,2] row_mask:0xf bank_mask:0xf bound_ctrl:1
	v_med3_f32 v5, v4, v6, v5
	ds_bpermute_b32 v1, v1, v5 offset:12
	v_lshl_add_u32 v5, v0, 3, 0
	ds_write_b64 v5, v[2:3]
	s_waitcnt lgkmcnt(1)
	v_cmp_gt_f32_e32 vcc, v4, v1
	v_cndmask_b32_e64 v2, 0, 1, vcc
	v_cmp_eq_f32_e64 s[0:1], v4, v1
	v_cmp_ge_f32_e64 s[2:3], v4, v1
	v_mov_b32_dpp v1, v2 row_shr:1 row_mask:0xf bank_mask:0xf bound_ctrl:1
	v_addc_co_u32_e32 v1, vcc, 0, v1, vcc
	v_cndmask_b32_e64 v3, 0, 1, s[0:1]
	v_readlane_b32 s4, v1, 1
	s_nop 0
	v_mov_b32_dpp v2, v3 row_shr:1 row_mask:0xf bank_mask:0xf bound_ctrl:1
	v_mov_b32_e32 v3, s4
	v_addc_co_u32_e64 v2, vcc, v2, v3, s[0:1]
	v_cndmask_b32_e64 v1, v1, v2, s[0:1]
	v_cmp_ge_i32_e32 vcc, s8, v1
	s_and_b64 s[0:1], s[2:3], vcc
	v_cmp_gt_u32_e32 vcc, 2, v0
	s_and_b64 s[2:3], vcc, s[0:1]
	s_and_saveexec_b64 s[0:1], s[2:3]
	s_cbranch_execz .LBB146_2
; %bb.1:
	s_lshl_b32 s2, s7, 2
	s_add_i32 s2, s2, 0
	v_lshl_add_u32 v1, v1, 2, s2
	ds_write_b32 v1, v0 offset:4
.LBB146_2:
	s_or_b64 exec, exec, s[0:1]
	s_waitcnt lgkmcnt(0)
	s_barrier
	s_endpgm
	.section	.rodata,"a",@progbits
	.p2align	6, 0x0
	.amdhsa_kernel _ZN5aiter28grouped_topk_opt_sort_kernelIN3c104HalfEDv2_fLi2ELb1ELb1ELb0EEEvPT_PKS4_PfPimiiiif
		.amdhsa_group_segment_fixed_size 0
		.amdhsa_private_segment_fixed_size 0
		.amdhsa_kernarg_size 60
		.amdhsa_user_sgpr_count 6
		.amdhsa_user_sgpr_private_segment_buffer 1
		.amdhsa_user_sgpr_dispatch_ptr 0
		.amdhsa_user_sgpr_queue_ptr 0
		.amdhsa_user_sgpr_kernarg_segment_ptr 1
		.amdhsa_user_sgpr_dispatch_id 0
		.amdhsa_user_sgpr_flat_scratch_init 0
		.amdhsa_user_sgpr_kernarg_preload_length 0
		.amdhsa_user_sgpr_kernarg_preload_offset 0
		.amdhsa_user_sgpr_private_segment_size 0
		.amdhsa_uses_dynamic_stack 0
		.amdhsa_system_sgpr_private_segment_wavefront_offset 0
		.amdhsa_system_sgpr_workgroup_id_x 1
		.amdhsa_system_sgpr_workgroup_id_y 0
		.amdhsa_system_sgpr_workgroup_id_z 0
		.amdhsa_system_sgpr_workgroup_info 0
		.amdhsa_system_vgpr_workitem_id 0
		.amdhsa_next_free_vgpr 13
		.amdhsa_next_free_sgpr 9
		.amdhsa_accum_offset 16
		.amdhsa_reserve_vcc 1
		.amdhsa_reserve_flat_scratch 0
		.amdhsa_float_round_mode_32 0
		.amdhsa_float_round_mode_16_64 0
		.amdhsa_float_denorm_mode_32 3
		.amdhsa_float_denorm_mode_16_64 3
		.amdhsa_dx10_clamp 1
		.amdhsa_ieee_mode 1
		.amdhsa_fp16_overflow 0
		.amdhsa_tg_split 0
		.amdhsa_exception_fp_ieee_invalid_op 0
		.amdhsa_exception_fp_denorm_src 0
		.amdhsa_exception_fp_ieee_div_zero 0
		.amdhsa_exception_fp_ieee_overflow 0
		.amdhsa_exception_fp_ieee_underflow 0
		.amdhsa_exception_fp_ieee_inexact 0
		.amdhsa_exception_int_div_zero 0
	.end_amdhsa_kernel
	.section	.text._ZN5aiter28grouped_topk_opt_sort_kernelIN3c104HalfEDv2_fLi2ELb1ELb1ELb0EEEvPT_PKS4_PfPimiiiif,"axG",@progbits,_ZN5aiter28grouped_topk_opt_sort_kernelIN3c104HalfEDv2_fLi2ELb1ELb1ELb0EEEvPT_PKS4_PfPimiiiif,comdat
.Lfunc_end146:
	.size	_ZN5aiter28grouped_topk_opt_sort_kernelIN3c104HalfEDv2_fLi2ELb1ELb1ELb0EEEvPT_PKS4_PfPimiiiif, .Lfunc_end146-_ZN5aiter28grouped_topk_opt_sort_kernelIN3c104HalfEDv2_fLi2ELb1ELb1ELb0EEEvPT_PKS4_PfPimiiiif
                                        ; -- End function
	.section	.AMDGPU.csdata,"",@progbits
; Kernel info:
; codeLenInByte = 572
; NumSgprs: 13
; NumVgprs: 13
; NumAgprs: 0
; TotalNumVgprs: 13
; ScratchSize: 0
; MemoryBound: 0
; FloatMode: 240
; IeeeMode: 1
; LDSByteSize: 0 bytes/workgroup (compile time only)
; SGPRBlocks: 1
; VGPRBlocks: 1
; NumSGPRsForWavesPerEU: 13
; NumVGPRsForWavesPerEU: 13
; AccumOffset: 16
; Occupancy: 8
; WaveLimiterHint : 0
; COMPUTE_PGM_RSRC2:SCRATCH_EN: 0
; COMPUTE_PGM_RSRC2:USER_SGPR: 6
; COMPUTE_PGM_RSRC2:TRAP_HANDLER: 0
; COMPUTE_PGM_RSRC2:TGID_X_EN: 1
; COMPUTE_PGM_RSRC2:TGID_Y_EN: 0
; COMPUTE_PGM_RSRC2:TGID_Z_EN: 0
; COMPUTE_PGM_RSRC2:TIDIG_COMP_CNT: 0
; COMPUTE_PGM_RSRC3_GFX90A:ACCUM_OFFSET: 3
; COMPUTE_PGM_RSRC3_GFX90A:TG_SPLIT: 0
	.section	.text._ZN5aiter28grouped_topk_opt_sort_kernelIN3c108BFloat16EDv2_fLi2ELb1ELb1ELb0EEEvPT_PKS4_PfPimiiiif,"axG",@progbits,_ZN5aiter28grouped_topk_opt_sort_kernelIN3c108BFloat16EDv2_fLi2ELb1ELb1ELb0EEEvPT_PKS4_PfPimiiiif,comdat
	.protected	_ZN5aiter28grouped_topk_opt_sort_kernelIN3c108BFloat16EDv2_fLi2ELb1ELb1ELb0EEEvPT_PKS4_PfPimiiiif ; -- Begin function _ZN5aiter28grouped_topk_opt_sort_kernelIN3c108BFloat16EDv2_fLi2ELb1ELb1ELb0EEEvPT_PKS4_PfPimiiiif
	.globl	_ZN5aiter28grouped_topk_opt_sort_kernelIN3c108BFloat16EDv2_fLi2ELb1ELb1ELb0EEEvPT_PKS4_PfPimiiiif
	.p2align	8
	.type	_ZN5aiter28grouped_topk_opt_sort_kernelIN3c108BFloat16EDv2_fLi2ELb1ELb1ELb0EEEvPT_PKS4_PfPimiiiif,@function
_ZN5aiter28grouped_topk_opt_sort_kernelIN3c108BFloat16EDv2_fLi2ELb1ELb1ELb0EEEvPT_PKS4_PfPimiiiif: ; @_ZN5aiter28grouped_topk_opt_sort_kernelIN3c108BFloat16EDv2_fLi2ELb1ELb1ELb0EEEvPT_PKS4_PfPimiiiif
; %bb.0:
	s_load_dword s7, s[4:5], 0x28
	s_load_dwordx4 s[0:3], s[4:5], 0x0
	s_load_dword s8, s[4:5], 0x30
	v_lshlrev_b32_e32 v1, 2, v0
	v_mbcnt_lo_u32_b32 v3, -1, 0
	s_waitcnt lgkmcnt(0)
	s_mul_i32 s4, s6, s7
	s_ashr_i32 s5, s4, 31
	s_lshl_b64 s[4:5], s[4:5], 1
	s_add_u32 s0, s0, s4
	s_addc_u32 s1, s1, s5
	global_load_dword v2, v1, s[0:1]
	global_load_dword v4, v1, s[2:3]
	s_mov_b32 s0, 0x652b82fe
	s_mov_b32 s1, 0xbff71547
	v_mbcnt_hi_u32_b32 v12, -1, v3
	s_mov_b32 s2, 0xc2fc0000
	v_mov_b32_e32 v1, 0x42800000
	v_mov_b32_e32 v8, 0x1f800000
	;; [unrolled: 1-line block ×3, first 2 shown]
	s_mov_b32 s3, 0xff800000
	v_lshlrev_b32_e32 v11, 5, v0
	v_mov_b32_e32 v10, 0x7f800000
	s_waitcnt vmcnt(1)
	v_and_b32_e32 v5, 0xffff, v2
	v_lshrrev_b32_e32 v6, 16, v2
	s_waitcnt vmcnt(0)
	v_cvt_f32_u32_sdwa v3, v4 dst_sel:DWORD dst_unused:UNUSED_PAD src0_sel:WORD_1
	v_cvt_f32_u32_sdwa v2, v4 dst_sel:DWORD dst_unused:UNUSED_PAD src0_sel:WORD_0
	v_cvt_f64_u32_e32 v[4:5], v5
	v_cvt_f64_u32_e32 v[6:7], v6
	v_mul_f64 v[4:5], v[4:5], s[0:1]
	v_mul_f64 v[6:7], v[6:7], s[0:1]
	v_cvt_f32_f64_e32 v4, v[4:5]
	v_cvt_f32_f64_e32 v5, v[6:7]
	v_cmp_gt_f32_e32 vcc, s2, v4
	v_cmp_gt_f32_e64 s[0:1], s2, v5
	v_cndmask_b32_e32 v6, 0, v1, vcc
	v_cndmask_b32_e64 v1, 0, v1, s[0:1]
	v_add_f32_e32 v4, v4, v6
	v_add_f32_e32 v1, v5, v1
	v_exp_f32_e32 v4, v4
	v_exp_f32_e32 v1, v1
	v_cndmask_b32_e32 v5, 1.0, v8, vcc
	v_cndmask_b32_e64 v6, 1.0, v8, s[0:1]
	v_fma_f32 v4, v4, v5, 1.0
	v_fma_f32 v1, v1, v6, 1.0
	v_rcp_f32_e32 v4, v4
	v_rcp_f32_e32 v5, v1
	v_and_b32_e32 v1, 64, v12
	v_and_or_b32 v6, v11, 32, v1
	v_lshlrev_b32_e32 v6, 2, v6
	v_pk_add_f32 v[2:3], v[4:5], v[2:3]
	v_cmp_o_f32_e32 vcc, v3, v3
	v_cndmask_b32_e32 v3, v9, v3, vcc
	v_cmp_o_f32_e32 vcc, v2, v2
	v_cndmask_b32_e32 v2, v9, v2, vcc
	v_med3_f32 v4, v3, v2, s3
	v_max_f32_e32 v5, v3, v2
	v_add_f32_e32 v4, v5, v4
	ds_bpermute_b32 v4, v6, v4
	v_and_b32_e32 v5, 1, v0
	v_cmp_eq_u32_e32 vcc, 0, v5
	v_cndmask_b32_e32 v5, v9, v10, vcc
	v_lshlrev_b32_e32 v1, 2, v1
	s_waitcnt lgkmcnt(0)
	v_mov_b32_dpp v6, v4 quad_perm:[1,0,3,2] row_mask:0xf bank_mask:0xf bound_ctrl:1
	v_med3_f32 v5, v4, v6, v5
	ds_bpermute_b32 v1, v1, v5 offset:12
	v_lshl_add_u32 v5, v0, 3, 0
	ds_write_b64 v5, v[2:3]
	s_waitcnt lgkmcnt(1)
	v_cmp_gt_f32_e32 vcc, v4, v1
	v_cndmask_b32_e64 v2, 0, 1, vcc
	v_cmp_eq_f32_e64 s[0:1], v4, v1
	v_cmp_ge_f32_e64 s[2:3], v4, v1
	v_mov_b32_dpp v1, v2 row_shr:1 row_mask:0xf bank_mask:0xf bound_ctrl:1
	v_addc_co_u32_e32 v1, vcc, 0, v1, vcc
	v_cndmask_b32_e64 v3, 0, 1, s[0:1]
	v_readlane_b32 s4, v1, 1
	s_nop 0
	v_mov_b32_dpp v2, v3 row_shr:1 row_mask:0xf bank_mask:0xf bound_ctrl:1
	v_mov_b32_e32 v3, s4
	v_addc_co_u32_e64 v2, vcc, v2, v3, s[0:1]
	v_cndmask_b32_e64 v1, v1, v2, s[0:1]
	v_cmp_ge_i32_e32 vcc, s8, v1
	s_and_b64 s[0:1], s[2:3], vcc
	v_cmp_gt_u32_e32 vcc, 2, v0
	s_and_b64 s[2:3], vcc, s[0:1]
	s_and_saveexec_b64 s[0:1], s[2:3]
	s_cbranch_execz .LBB147_2
; %bb.1:
	s_lshl_b32 s2, s7, 2
	s_add_i32 s2, s2, 0
	v_lshl_add_u32 v1, v1, 2, s2
	ds_write_b32 v1, v0 offset:4
.LBB147_2:
	s_or_b64 exec, exec, s[0:1]
	s_waitcnt lgkmcnt(0)
	s_barrier
	s_endpgm
	.section	.rodata,"a",@progbits
	.p2align	6, 0x0
	.amdhsa_kernel _ZN5aiter28grouped_topk_opt_sort_kernelIN3c108BFloat16EDv2_fLi2ELb1ELb1ELb0EEEvPT_PKS4_PfPimiiiif
		.amdhsa_group_segment_fixed_size 0
		.amdhsa_private_segment_fixed_size 0
		.amdhsa_kernarg_size 60
		.amdhsa_user_sgpr_count 6
		.amdhsa_user_sgpr_private_segment_buffer 1
		.amdhsa_user_sgpr_dispatch_ptr 0
		.amdhsa_user_sgpr_queue_ptr 0
		.amdhsa_user_sgpr_kernarg_segment_ptr 1
		.amdhsa_user_sgpr_dispatch_id 0
		.amdhsa_user_sgpr_flat_scratch_init 0
		.amdhsa_user_sgpr_kernarg_preload_length 0
		.amdhsa_user_sgpr_kernarg_preload_offset 0
		.amdhsa_user_sgpr_private_segment_size 0
		.amdhsa_uses_dynamic_stack 0
		.amdhsa_system_sgpr_private_segment_wavefront_offset 0
		.amdhsa_system_sgpr_workgroup_id_x 1
		.amdhsa_system_sgpr_workgroup_id_y 0
		.amdhsa_system_sgpr_workgroup_id_z 0
		.amdhsa_system_sgpr_workgroup_info 0
		.amdhsa_system_vgpr_workitem_id 0
		.amdhsa_next_free_vgpr 13
		.amdhsa_next_free_sgpr 9
		.amdhsa_accum_offset 16
		.amdhsa_reserve_vcc 1
		.amdhsa_reserve_flat_scratch 0
		.amdhsa_float_round_mode_32 0
		.amdhsa_float_round_mode_16_64 0
		.amdhsa_float_denorm_mode_32 3
		.amdhsa_float_denorm_mode_16_64 3
		.amdhsa_dx10_clamp 1
		.amdhsa_ieee_mode 1
		.amdhsa_fp16_overflow 0
		.amdhsa_tg_split 0
		.amdhsa_exception_fp_ieee_invalid_op 0
		.amdhsa_exception_fp_denorm_src 0
		.amdhsa_exception_fp_ieee_div_zero 0
		.amdhsa_exception_fp_ieee_overflow 0
		.amdhsa_exception_fp_ieee_underflow 0
		.amdhsa_exception_fp_ieee_inexact 0
		.amdhsa_exception_int_div_zero 0
	.end_amdhsa_kernel
	.section	.text._ZN5aiter28grouped_topk_opt_sort_kernelIN3c108BFloat16EDv2_fLi2ELb1ELb1ELb0EEEvPT_PKS4_PfPimiiiif,"axG",@progbits,_ZN5aiter28grouped_topk_opt_sort_kernelIN3c108BFloat16EDv2_fLi2ELb1ELb1ELb0EEEvPT_PKS4_PfPimiiiif,comdat
.Lfunc_end147:
	.size	_ZN5aiter28grouped_topk_opt_sort_kernelIN3c108BFloat16EDv2_fLi2ELb1ELb1ELb0EEEvPT_PKS4_PfPimiiiif, .Lfunc_end147-_ZN5aiter28grouped_topk_opt_sort_kernelIN3c108BFloat16EDv2_fLi2ELb1ELb1ELb0EEEvPT_PKS4_PfPimiiiif
                                        ; -- End function
	.section	.AMDGPU.csdata,"",@progbits
; Kernel info:
; codeLenInByte = 576
; NumSgprs: 13
; NumVgprs: 13
; NumAgprs: 0
; TotalNumVgprs: 13
; ScratchSize: 0
; MemoryBound: 0
; FloatMode: 240
; IeeeMode: 1
; LDSByteSize: 0 bytes/workgroup (compile time only)
; SGPRBlocks: 1
; VGPRBlocks: 1
; NumSGPRsForWavesPerEU: 13
; NumVGPRsForWavesPerEU: 13
; AccumOffset: 16
; Occupancy: 8
; WaveLimiterHint : 0
; COMPUTE_PGM_RSRC2:SCRATCH_EN: 0
; COMPUTE_PGM_RSRC2:USER_SGPR: 6
; COMPUTE_PGM_RSRC2:TRAP_HANDLER: 0
; COMPUTE_PGM_RSRC2:TGID_X_EN: 1
; COMPUTE_PGM_RSRC2:TGID_Y_EN: 0
; COMPUTE_PGM_RSRC2:TGID_Z_EN: 0
; COMPUTE_PGM_RSRC2:TIDIG_COMP_CNT: 0
; COMPUTE_PGM_RSRC3_GFX90A:ACCUM_OFFSET: 3
; COMPUTE_PGM_RSRC3_GFX90A:TG_SPLIT: 0
	.section	.text._ZN5aiter19grouped_topk_kernelIfDv2_fLi2ELb1ELb1ELb0EEEvPT_PKS2_PfPimiiiif,"axG",@progbits,_ZN5aiter19grouped_topk_kernelIfDv2_fLi2ELb1ELb1ELb0EEEvPT_PKS2_PfPimiiiif,comdat
	.protected	_ZN5aiter19grouped_topk_kernelIfDv2_fLi2ELb1ELb1ELb0EEEvPT_PKS2_PfPimiiiif ; -- Begin function _ZN5aiter19grouped_topk_kernelIfDv2_fLi2ELb1ELb1ELb0EEEvPT_PKS2_PfPimiiiif
	.globl	_ZN5aiter19grouped_topk_kernelIfDv2_fLi2ELb1ELb1ELb0EEEvPT_PKS2_PfPimiiiif
	.p2align	8
	.type	_ZN5aiter19grouped_topk_kernelIfDv2_fLi2ELb1ELb1ELb0EEEvPT_PKS2_PfPimiiiif,@function
_ZN5aiter19grouped_topk_kernelIfDv2_fLi2ELb1ELb1ELb0EEEvPT_PKS2_PfPimiiiif: ; @_ZN5aiter19grouped_topk_kernelIfDv2_fLi2ELb1ELb1ELb0EEEvPT_PKS2_PfPimiiiif
; %bb.0:
	s_load_dwordx4 s[12:15], s[4:5], 0x28
	s_load_dwordx4 s[16:19], s[4:5], 0x8
	s_load_dwordx2 s[10:11], s[4:5], 0x18
	s_waitcnt lgkmcnt(0)
	s_lshr_b32 s0, s12, 31
	s_add_i32 s0, s12, s0
	s_ashr_i32 s7, s0, 1
	v_cmp_gt_i32_e64 s[0:1], s7, v0
	s_and_saveexec_b64 s[8:9], s[0:1]
	s_cbranch_execz .LBB148_3
; %bb.1:
	s_load_dwordx2 s[2:3], s[4:5], 0x0
	s_load_dword s22, s[4:5], 0x4c
	s_mul_i32 s20, s6, s12
	s_ashr_i32 s21, s20, 31
	s_lshl_b64 s[20:21], s[20:21], 2
	s_waitcnt lgkmcnt(0)
	s_add_u32 s15, s2, s20
	s_addc_u32 s2, s3, s21
	s_and_b32 s22, s22, 0xffff
	s_mov_b32 s3, 0
	v_lshlrev_b32_e32 v2, 3, v0
	v_mov_b32_e32 v1, 0
	s_lshl_b32 s23, s22, 3
	v_add_u32_e32 v3, 0, v2
	s_mov_b64 s[20:21], 0
	v_mov_b32_e32 v4, s2
	v_mov_b32_e32 v5, s17
	s_mov_b32 s24, 0xbfb8aa3b
	s_mov_b32 s25, 0x42ce8ed0
	;; [unrolled: 1-line block ×3, first 2 shown]
	v_mov_b32_e32 v6, 0x7f800000
	v_mov_b32_e32 v7, s3
	;; [unrolled: 1-line block ×3, first 2 shown]
.LBB148_2:                              ; =>This Inner Loop Header: Depth=1
	v_add_co_u32_e32 v10, vcc, s15, v2
	v_addc_co_u32_e32 v11, vcc, v4, v1, vcc
	global_load_dwordx2 v[10:11], v[10:11], off
	v_add_co_u32_e32 v12, vcc, s16, v2
	v_addc_co_u32_e32 v13, vcc, v5, v1, vcc
	global_load_dwordx2 v[12:13], v[12:13], off
	v_add_co_u32_e32 v2, vcc, s23, v2
	v_add_u32_e32 v8, s22, v8
	v_addc_co_u32_e32 v1, vcc, v1, v7, vcc
	v_cmp_le_i32_e32 vcc, s7, v8
	s_or_b64 s[20:21], vcc, s[20:21]
	s_waitcnt vmcnt(1)
	v_mul_f32_e32 v9, 0xbfb8aa3b, v11
	v_mul_f32_e32 v14, 0xbfb8aa3b, v10
	v_fma_f32 v15, v11, s24, -v9
	v_rndne_f32_e32 v16, v9
	v_fma_f32 v17, v10, s24, -v14
	v_rndne_f32_e32 v18, v14
	v_fmac_f32_e32 v15, 0xb2a5705f, v11
	v_sub_f32_e32 v9, v9, v16
	v_fmac_f32_e32 v17, 0xb2a5705f, v10
	v_sub_f32_e32 v14, v14, v18
	v_add_f32_e32 v9, v9, v15
	v_add_f32_e32 v14, v14, v17
	v_cvt_i32_f32_e32 v16, v16
	v_cvt_i32_f32_e32 v18, v18
	v_exp_f32_e32 v9, v9
	v_exp_f32_e32 v14, v14
	v_cmp_nlt_f32_e32 vcc, s25, v10
	v_cmp_nlt_f32_e64 s[2:3], s25, v11
	v_ldexp_f32 v9, v9, v16
	v_ldexp_f32 v14, v14, v18
	v_cndmask_b32_e64 v9, 0, v9, s[2:3]
	v_cndmask_b32_e32 v14, 0, v14, vcc
	v_cmp_ngt_f32_e32 vcc, s26, v10
	v_cmp_ngt_f32_e64 s[2:3], s26, v11
	v_cndmask_b32_e64 v11, v6, v9, s[2:3]
	v_cndmask_b32_e32 v10, v6, v14, vcc
	v_pk_add_f32 v[10:11], v[10:11], 1.0 op_sel_hi:[1,0]
	v_div_scale_f32 v9, s[2:3], v11, v11, 1.0
	v_div_scale_f32 v15, s[2:3], v10, v10, 1.0
	v_rcp_f32_e32 v17, v9
	v_rcp_f32_e32 v18, v15
	v_div_scale_f32 v14, vcc, 1.0, v11, 1.0
	v_fma_f32 v19, -v9, v17, 1.0
	v_fma_f32 v20, -v15, v18, 1.0
	v_fmac_f32_e32 v17, v19, v17
	v_div_scale_f32 v16, s[2:3], 1.0, v10, 1.0
	v_fmac_f32_e32 v18, v20, v18
	v_mul_f32_e32 v19, v14, v17
	v_mul_f32_e32 v20, v16, v18
	v_fma_f32 v21, -v9, v19, v14
	v_fma_f32 v22, -v15, v20, v16
	v_fmac_f32_e32 v19, v21, v17
	v_fmac_f32_e32 v20, v22, v18
	v_fma_f32 v9, -v9, v19, v14
	v_fma_f32 v14, -v15, v20, v16
	v_div_fmas_f32 v9, v9, v17, v19
	s_mov_b64 vcc, s[2:3]
	v_div_fixup_f32 v11, v9, v11, 1.0
	v_div_fmas_f32 v9, v14, v18, v20
	v_div_fixup_f32 v10, v9, v10, 1.0
	s_waitcnt vmcnt(0)
	v_pk_add_f32 v[10:11], v[12:13], v[10:11]
	ds_write_b64 v3, v[10:11]
	v_add_u32_e32 v3, s23, v3
	s_andn2_b64 exec, exec, s[20:21]
	s_cbranch_execnz .LBB148_2
.LBB148_3:
	s_or_b64 exec, exec, s[8:9]
	s_lshl_b32 s2, s12, 2
	s_add_i32 s28, s2, 0
	v_cmp_gt_u32_e32 vcc, 64, v0
	s_waitcnt lgkmcnt(0)
	s_barrier
	s_and_saveexec_b64 s[20:21], vcc
	s_cbranch_execz .LBB148_12
; %bb.4:
	s_load_dword s8, s[4:5], 0x4c
	s_ashr_i32 s2, s12, 31
	v_lshrrev_b32_e32 v2, 5, v0
	s_lshr_b32 s2, s2, 30
	v_and_b32_e32 v1, 31, v0
	s_add_i32 s2, s12, s2
	s_waitcnt lgkmcnt(0)
	s_bfe_u32 s15, s8, 0xb0005
	v_mul_lo_u32 v3, s7, v2
	s_ashr_i32 s12, s2, 2
	v_lshlrev_b32_e32 v3, 2, v3
	v_lshlrev_b32_e32 v4, 3, v1
	s_mul_i32 s8, s7, s15
	v_cmp_gt_i32_e32 vcc, s12, v1
	v_cmp_eq_u32_e64 s[2:3], 0, v1
	v_add3_u32 v3, v3, v4, 0
	s_lshl_b32 s29, s8, 2
	s_mov_b64 s[22:23], 0
	s_branch .LBB148_6
.LBB148_5:                              ;   in Loop: Header=BB148_6 Depth=1
	s_or_b64 exec, exec, s[8:9]
	v_add_u32_e32 v2, s15, v2
	v_cmp_lt_u32_e64 s[8:9], 1, v2
	s_or_b64 s[22:23], s[8:9], s[22:23]
	v_add_u32_e32 v3, s29, v3
	s_andn2_b64 exec, exec, s[22:23]
	s_cbranch_execz .LBB148_12
.LBB148_6:                              ; =>This Loop Header: Depth=1
                                        ;     Child Loop BB148_8 Depth 2
	v_mov_b32_e32 v4, 0xff800000
	v_mov_b32_e32 v7, 0xff800000
	s_and_saveexec_b64 s[24:25], vcc
	s_cbranch_execz .LBB148_10
; %bb.7:                                ;   in Loop: Header=BB148_6 Depth=1
	s_mov_b64 s[26:27], 0
	v_mov_b32_e32 v4, 0xff800000
	v_mov_b32_e32 v5, v3
	;; [unrolled: 1-line block ×4, first 2 shown]
.LBB148_8:                              ;   Parent Loop BB148_6 Depth=1
                                        ; =>  This Inner Loop Header: Depth=2
	ds_read_b64 v[8:9], v5
	v_add_u32_e32 v6, 32, v6
	v_max_f32_e32 v7, v7, v7
	v_cmp_le_i32_e64 s[8:9], s12, v6
	s_or_b64 s[26:27], s[8:9], s[26:27]
	s_waitcnt lgkmcnt(0)
	v_max_f32_e32 v11, v8, v8
	v_max_f32_e32 v7, v11, v7
	v_cmp_gt_f32_e64 s[8:9], v8, v4
	v_max_f32_e32 v10, v4, v4
	v_cndmask_b32_e64 v7, v7, v4, s[8:9]
	v_max_f32_e32 v12, v9, v9
	v_max_f32_e32 v10, v11, v10
	;; [unrolled: 1-line block ×4, first 2 shown]
	v_cmp_gt_f32_e64 s[8:9], v9, v10
	v_add_u32_e32 v5, 0x100, v5
	v_max_f32_e32 v4, v12, v10
	v_cndmask_b32_e64 v7, v7, v10, s[8:9]
	s_andn2_b64 exec, exec, s[26:27]
	s_cbranch_execnz .LBB148_8
; %bb.9:                                ;   in Loop: Header=BB148_6 Depth=1
	s_or_b64 exec, exec, s[26:27]
.LBB148_10:                             ;   in Loop: Header=BB148_6 Depth=1
	s_or_b64 exec, exec, s[24:25]
	s_and_saveexec_b64 s[8:9], s[2:3]
	s_cbranch_execz .LBB148_5
; %bb.11:                               ;   in Loop: Header=BB148_6 Depth=1
	v_lshl_add_u32 v5, v2, 2, s28
	v_add_f32_e32 v4, v7, v4
	ds_write_b32 v5, v4
	s_branch .LBB148_5
.LBB148_12:
	s_or_b64 exec, exec, s[20:21]
	s_cmp_lt_i32 s14, 1
	s_waitcnt lgkmcnt(0)
	s_barrier
	s_cbranch_scc1 .LBB148_15
; %bb.13:
	v_mov_b32_e32 v1, s28
	s_mov_b32 s2, 0xff800000
	v_mov_b32_e32 v2, 0xff800000
.LBB148_14:                             ; =>This Inner Loop Header: Depth=1
	ds_read2_b32 v[4:5], v1 offset1:1
	s_add_i32 s14, s14, -1
	s_cmp_lg_u32 s14, 0
	s_waitcnt lgkmcnt(0)
	v_cmp_nlg_f32_e32 vcc, s2, v4
	v_cndmask_b32_e64 v3, 0, 1, vcc
	v_cmp_lg_f32_e32 vcc, s2, v4
	v_cndmask_b32_e32 v4, v2, v4, vcc
	v_lshlrev_b32_e32 v3, 1, v3
	v_cmp_ngt_f32_e32 vcc, v5, v4
	v_cndmask_b32_e32 v3, 1, v3, vcc
	v_lshlrev_b32_e32 v3, 2, v3
	v_add_u32_e32 v3, s28, v3
	ds_write_b32 v3, v2
	s_cbranch_scc1 .LBB148_14
.LBB148_15:
	v_lshlrev_b32_e32 v4, 1, v0
	v_lshl_add_u32 v5, v0, 3, 0
	s_and_saveexec_b64 s[2:3], s[0:1]
	s_cbranch_execz .LBB148_20
; %bb.16:
	s_abs_i32 s12, s7
	v_cvt_f32_u32_e32 v2, s12
	s_load_dword s14, s[4:5], 0x4c
	s_sub_i32 s15, 0, s12
	s_ashr_i32 s20, s7, 31
	v_rcp_iflag_f32_e32 v2, v2
	v_lshlrev_b32_e32 v1, 1, v0
	s_waitcnt lgkmcnt(0)
	s_and_b32 s21, s14, 0xffff
	v_lshl_add_u32 v6, v0, 3, 0
	v_mul_f32_e32 v2, 0x4f7ffffe, v2
	v_cvt_u32_f32_e32 v2, v2
	s_mov_b64 s[8:9], 0
	s_lshl_b32 s22, s21, 1
	s_lshl_b32 s23, s21, 3
	v_mul_lo_u32 v3, s15, v2
	v_mul_hi_u32 v3, v2, v3
	v_add_u32_e32 v7, v2, v3
	s_mov_b32 s24, 0xff800000
	v_mov_b32_e32 v2, 0xff800000
	v_mov_b32_e32 v8, v0
	s_branch .LBB148_18
.LBB148_17:                             ;   in Loop: Header=BB148_18 Depth=1
	s_or_b64 exec, exec, s[14:15]
	v_add_u32_e32 v8, s21, v8
	v_cmp_le_i32_e32 vcc, s7, v8
	v_add_u32_e32 v1, s22, v1
	s_or_b64 s[8:9], vcc, s[8:9]
	v_add_u32_e32 v6, s23, v6
	s_andn2_b64 exec, exec, s[8:9]
	s_cbranch_execz .LBB148_20
.LBB148_18:                             ; =>This Inner Loop Header: Depth=1
	v_mul_hi_u32 v3, v1, v7
	v_mul_lo_u32 v9, v3, s12
	v_sub_u32_e32 v9, v1, v9
	v_add_u32_e32 v10, 1, v3
	v_cmp_le_u32_e32 vcc, s12, v9
	v_cndmask_b32_e32 v3, v3, v10, vcc
	v_subrev_u32_e32 v10, s12, v9
	v_cndmask_b32_e32 v9, v9, v10, vcc
	v_add_u32_e32 v10, 1, v3
	v_cmp_le_u32_e32 vcc, s12, v9
	v_cndmask_b32_e32 v3, v3, v10, vcc
	v_xor_b32_e32 v3, s20, v3
	v_subrev_u32_e32 v3, s20, v3
	v_lshl_add_u32 v3, v3, 2, s28
	ds_read_b32 v3, v3
	s_waitcnt lgkmcnt(0)
	v_cmp_neq_f32_e32 vcc, s24, v3
	s_and_saveexec_b64 s[14:15], vcc
	s_cbranch_execz .LBB148_17
; %bb.19:                               ;   in Loop: Header=BB148_18 Depth=1
	v_mov_b32_e32 v3, v2
	ds_write_b64 v6, v[2:3]
	s_branch .LBB148_17
.LBB148_20:
	s_or_b64 exec, exec, s[2:3]
	s_cmp_lt_i32 s13, 1
	s_waitcnt lgkmcnt(0)
	s_barrier
	s_cbranch_scc1 .LBB148_27
; %bb.21:
	s_add_u32 s2, s4, 64
	s_addc_u32 s3, s5, 0
	s_mov_b32 s12, 0
	v_mov_b32_e32 v2, 0
	v_mov_b32_e32 v6, 0xff800000
                                        ; implicit-def: $vgpr3
                                        ; implicit-def: $vgpr1
	s_branch .LBB148_23
.LBB148_22:                             ;   in Loop: Header=BB148_23 Depth=1
	s_or_b64 exec, exec, s[8:9]
	v_mov_b32_dpp v10, v8 quad_perm:[1,0,3,2] row_mask:0xf bank_mask:0xf
	v_cmp_lt_f32_e32 vcc, v8, v10
	v_cndmask_b32_e32 v8, v8, v10, vcc
	v_mov_b32_dpp v9, v7 quad_perm:[1,0,3,2] row_mask:0xf bank_mask:0xf
	v_cndmask_b32_e32 v7, v7, v9, vcc
	v_mov_b32_dpp v10, v8 quad_perm:[2,3,0,1] row_mask:0xf bank_mask:0xf
	v_cmp_gt_f32_e32 vcc, v10, v8
	v_cndmask_b32_e32 v8, v8, v10, vcc
	v_mov_b32_dpp v9, v7 quad_perm:[2,3,0,1] row_mask:0xf bank_mask:0xf
	v_cndmask_b32_e32 v7, v7, v9, vcc
	v_mov_b32_dpp v10, v8 row_half_mirror row_mask:0xf bank_mask:0xf
	v_cmp_gt_f32_e32 vcc, v10, v8
	v_cndmask_b32_e32 v8, v8, v10, vcc
	v_mov_b32_dpp v9, v7 row_half_mirror row_mask:0xf bank_mask:0xf
	v_cndmask_b32_e32 v7, v7, v9, vcc
	v_mov_b32_dpp v10, v8 row_mirror row_mask:0xf bank_mask:0xf
	v_cmp_gt_f32_e32 vcc, v10, v8
	v_cndmask_b32_e32 v8, v8, v10, vcc
	v_mov_b32_dpp v9, v7 row_mirror row_mask:0xf bank_mask:0xf
	v_cndmask_b32_e32 v7, v7, v9, vcc
	v_mov_b32_dpp v10, v8 row_bcast:15 row_mask:0xf bank_mask:0xf
	v_cmp_gt_f32_e32 vcc, v10, v8
	v_mov_b32_dpp v9, v7 row_bcast:15 row_mask:0xf bank_mask:0xf
	v_cndmask_b32_e32 v8, v8, v10, vcc
	v_cndmask_b32_e32 v7, v7, v9, vcc
	s_nop 0
	v_mov_b32_dpp v10, v8 row_bcast:31 row_mask:0xf bank_mask:0xf
	v_mov_b32_dpp v9, v7 row_bcast:31 row_mask:0xf bank_mask:0xf
	v_cmp_gt_f32_e32 vcc, v10, v8
	v_cndmask_b32_e32 v7, v7, v9, vcc
	v_readlane_b32 s8, v7, 63
	s_ashr_i32 s9, s8, 31
	s_lshl_b64 s[14:15], s[8:9], 2
	s_add_u32 s14, s16, s14
	s_addc_u32 s15, s17, s15
	s_load_dword s9, s[14:15], 0x0
	v_cndmask_b32_e32 v7, v8, v10, vcc
	v_readlane_b32 s14, v7, 63
	v_cmp_eq_u32_e32 vcc, s12, v0
	s_add_i32 s12, s12, 1
	s_waitcnt lgkmcnt(0)
	v_mov_b32_e32 v7, s9
	s_lshl_b32 s9, s8, 2
	s_add_i32 s9, s9, 0
	v_mov_b32_e32 v8, s9
	v_sub_f32_e32 v7, s14, v7
	ds_write_b32 v8, v6
	v_mov_b32_e32 v8, s8
	v_cndmask_b32_e32 v1, v1, v8, vcc
	v_cndmask_b32_e32 v3, v3, v7, vcc
	s_cmp_eq_u32 s12, s13
	v_add_f32_e32 v2, v2, v7
	s_cbranch_scc1 .LBB148_28
.LBB148_23:                             ; =>This Loop Header: Depth=1
                                        ;     Child Loop BB148_25 Depth 2
	v_mov_b32_e32 v7, s12
	v_mov_b32_e32 v8, 0xff800000
	s_and_saveexec_b64 s[8:9], s[0:1]
	s_cbranch_execz .LBB148_22
; %bb.24:                               ;   in Loop: Header=BB148_23 Depth=1
	s_load_dword s20, s[2:3], 0xc
	s_mov_b64 s[14:15], 0
	v_mov_b32_e32 v7, s12
	v_mov_b32_e32 v8, 0xff800000
	;; [unrolled: 1-line block ×3, first 2 shown]
	s_waitcnt lgkmcnt(0)
	s_and_b32 s20, s20, 0xffff
	s_lshl_b32 s21, s20, 1
	s_lshl_b32 s22, s20, 3
	v_mov_b32_e32 v10, v4
	v_mov_b32_e32 v11, v0
.LBB148_25:                             ;   Parent Loop BB148_23 Depth=1
                                        ; =>  This Inner Loop Header: Depth=2
	ds_read_b64 v[12:13], v9
	v_add_u32_e32 v11, s20, v11
	v_cmp_le_i32_e32 vcc, s7, v11
	s_or_b64 s[14:15], vcc, s[14:15]
	v_add_u32_e32 v14, 1, v10
	s_waitcnt lgkmcnt(0)
	v_cmp_gt_f32_e32 vcc, v12, v8
	v_cndmask_b32_e32 v8, v8, v12, vcc
	v_cndmask_b32_e32 v7, v7, v10, vcc
	v_cmp_gt_f32_e32 vcc, v13, v8
	v_add_u32_e32 v9, s22, v9
	v_cndmask_b32_e32 v8, v8, v13, vcc
	v_add_u32_e32 v10, s21, v10
	v_cndmask_b32_e32 v7, v7, v14, vcc
	s_andn2_b64 exec, exec, s[14:15]
	s_cbranch_execnz .LBB148_25
; %bb.26:                               ;   in Loop: Header=BB148_23 Depth=1
	s_or_b64 exec, exec, s[14:15]
	s_branch .LBB148_22
.LBB148_27:
	v_mov_b32_e32 v2, 0
                                        ; implicit-def: $vgpr3
                                        ; implicit-def: $vgpr1
.LBB148_28:
	v_cmp_gt_i32_e32 vcc, s13, v0
	s_and_saveexec_b64 s[0:1], vcc
	s_cbranch_execz .LBB148_31
; %bb.29:
	s_load_dword s7, s[4:5], 0x38
	s_load_dwordx2 s[0:1], s[4:5], 0x20
	s_load_dword s8, s[4:5], 0x4c
	s_waitcnt lgkmcnt(0)
	v_div_scale_f32 v4, s[2:3], v2, v2, s7
	v_rcp_f32_e32 v5, v4
	v_div_scale_f32 v6, vcc, s7, v2, s7
	s_ashr_i32 s2, s6, 31
	v_fma_f32 v7, -v4, v5, 1.0
	v_fmac_f32_e32 v5, v7, v5
	v_mul_f32_e32 v7, v6, v5
	v_fma_f32 v8, -v4, v7, v6
	v_fmac_f32_e32 v7, v8, v5
	v_fma_f32 v4, -v4, v7, v6
	s_mul_i32 s1, s6, s1
	s_mul_hi_u32 s3, s6, s0
	v_div_fmas_f32 v4, v4, v5, v7
	s_add_i32 s1, s3, s1
	s_mul_i32 s2, s2, s0
	v_div_fixup_f32 v2, v4, v2, s7
	s_add_i32 s4, s1, s2
	v_mul_f32_e32 v2, v2, v3
	s_mul_i32 s2, s6, s0
	s_and_b32 s3, s8, 0xffff
	s_mov_b64 s[0:1], 0
	v_mov_b32_e32 v3, s4
	v_mov_b32_e32 v4, s19
	;; [unrolled: 1-line block ×3, first 2 shown]
.LBB148_30:                             ; =>This Inner Loop Header: Depth=1
	v_ashrrev_i32_e32 v7, 31, v0
	v_add_co_u32_e32 v6, vcc, s2, v0
	v_addc_co_u32_e32 v7, vcc, v3, v7, vcc
	v_add_u32_e32 v0, s3, v0
	v_cmp_le_i32_e32 vcc, s13, v0
	v_lshlrev_b64 v[6:7], 2, v[6:7]
	s_or_b64 s[0:1], vcc, s[0:1]
	v_add_co_u32_e32 v8, vcc, s18, v6
	v_addc_co_u32_e32 v9, vcc, v4, v7, vcc
	v_add_co_u32_e32 v6, vcc, s10, v6
	v_addc_co_u32_e32 v7, vcc, v5, v7, vcc
	global_store_dword v[8:9], v2, off
	global_store_dword v[6:7], v1, off
	s_andn2_b64 exec, exec, s[0:1]
	s_cbranch_execnz .LBB148_30
.LBB148_31:
	s_endpgm
	.section	.rodata,"a",@progbits
	.p2align	6, 0x0
	.amdhsa_kernel _ZN5aiter19grouped_topk_kernelIfDv2_fLi2ELb1ELb1ELb0EEEvPT_PKS2_PfPimiiiif
		.amdhsa_group_segment_fixed_size 0
		.amdhsa_private_segment_fixed_size 0
		.amdhsa_kernarg_size 320
		.amdhsa_user_sgpr_count 6
		.amdhsa_user_sgpr_private_segment_buffer 1
		.amdhsa_user_sgpr_dispatch_ptr 0
		.amdhsa_user_sgpr_queue_ptr 0
		.amdhsa_user_sgpr_kernarg_segment_ptr 1
		.amdhsa_user_sgpr_dispatch_id 0
		.amdhsa_user_sgpr_flat_scratch_init 0
		.amdhsa_user_sgpr_kernarg_preload_length 0
		.amdhsa_user_sgpr_kernarg_preload_offset 0
		.amdhsa_user_sgpr_private_segment_size 0
		.amdhsa_uses_dynamic_stack 0
		.amdhsa_system_sgpr_private_segment_wavefront_offset 0
		.amdhsa_system_sgpr_workgroup_id_x 1
		.amdhsa_system_sgpr_workgroup_id_y 0
		.amdhsa_system_sgpr_workgroup_id_z 0
		.amdhsa_system_sgpr_workgroup_info 0
		.amdhsa_system_vgpr_workitem_id 0
		.amdhsa_next_free_vgpr 23
		.amdhsa_next_free_sgpr 30
		.amdhsa_accum_offset 24
		.amdhsa_reserve_vcc 1
		.amdhsa_reserve_flat_scratch 0
		.amdhsa_float_round_mode_32 0
		.amdhsa_float_round_mode_16_64 0
		.amdhsa_float_denorm_mode_32 3
		.amdhsa_float_denorm_mode_16_64 3
		.amdhsa_dx10_clamp 1
		.amdhsa_ieee_mode 1
		.amdhsa_fp16_overflow 0
		.amdhsa_tg_split 0
		.amdhsa_exception_fp_ieee_invalid_op 0
		.amdhsa_exception_fp_denorm_src 0
		.amdhsa_exception_fp_ieee_div_zero 0
		.amdhsa_exception_fp_ieee_overflow 0
		.amdhsa_exception_fp_ieee_underflow 0
		.amdhsa_exception_fp_ieee_inexact 0
		.amdhsa_exception_int_div_zero 0
	.end_amdhsa_kernel
	.section	.text._ZN5aiter19grouped_topk_kernelIfDv2_fLi2ELb1ELb1ELb0EEEvPT_PKS2_PfPimiiiif,"axG",@progbits,_ZN5aiter19grouped_topk_kernelIfDv2_fLi2ELb1ELb1ELb0EEEvPT_PKS2_PfPimiiiif,comdat
.Lfunc_end148:
	.size	_ZN5aiter19grouped_topk_kernelIfDv2_fLi2ELb1ELb1ELb0EEEvPT_PKS2_PfPimiiiif, .Lfunc_end148-_ZN5aiter19grouped_topk_kernelIfDv2_fLi2ELb1ELb1ELb0EEEvPT_PKS2_PfPimiiiif
                                        ; -- End function
	.section	.AMDGPU.csdata,"",@progbits
; Kernel info:
; codeLenInByte = 2056
; NumSgprs: 34
; NumVgprs: 23
; NumAgprs: 0
; TotalNumVgprs: 23
; ScratchSize: 0
; MemoryBound: 0
; FloatMode: 240
; IeeeMode: 1
; LDSByteSize: 0 bytes/workgroup (compile time only)
; SGPRBlocks: 4
; VGPRBlocks: 2
; NumSGPRsForWavesPerEU: 34
; NumVGPRsForWavesPerEU: 23
; AccumOffset: 24
; Occupancy: 8
; WaveLimiterHint : 0
; COMPUTE_PGM_RSRC2:SCRATCH_EN: 0
; COMPUTE_PGM_RSRC2:USER_SGPR: 6
; COMPUTE_PGM_RSRC2:TRAP_HANDLER: 0
; COMPUTE_PGM_RSRC2:TGID_X_EN: 1
; COMPUTE_PGM_RSRC2:TGID_Y_EN: 0
; COMPUTE_PGM_RSRC2:TGID_Z_EN: 0
; COMPUTE_PGM_RSRC2:TIDIG_COMP_CNT: 0
; COMPUTE_PGM_RSRC3_GFX90A:ACCUM_OFFSET: 5
; COMPUTE_PGM_RSRC3_GFX90A:TG_SPLIT: 0
	.section	.text._ZN5aiter19grouped_topk_kernelIN3c104HalfEDv2_fLi2ELb1ELb1ELb0EEEvPT_PKS4_PfPimiiiif,"axG",@progbits,_ZN5aiter19grouped_topk_kernelIN3c104HalfEDv2_fLi2ELb1ELb1ELb0EEEvPT_PKS4_PfPimiiiif,comdat
	.protected	_ZN5aiter19grouped_topk_kernelIN3c104HalfEDv2_fLi2ELb1ELb1ELb0EEEvPT_PKS4_PfPimiiiif ; -- Begin function _ZN5aiter19grouped_topk_kernelIN3c104HalfEDv2_fLi2ELb1ELb1ELb0EEEvPT_PKS4_PfPimiiiif
	.globl	_ZN5aiter19grouped_topk_kernelIN3c104HalfEDv2_fLi2ELb1ELb1ELb0EEEvPT_PKS4_PfPimiiiif
	.p2align	8
	.type	_ZN5aiter19grouped_topk_kernelIN3c104HalfEDv2_fLi2ELb1ELb1ELb0EEEvPT_PKS4_PfPimiiiif,@function
_ZN5aiter19grouped_topk_kernelIN3c104HalfEDv2_fLi2ELb1ELb1ELb0EEEvPT_PKS4_PfPimiiiif: ; @_ZN5aiter19grouped_topk_kernelIN3c104HalfEDv2_fLi2ELb1ELb1ELb0EEEvPT_PKS4_PfPimiiiif
; %bb.0:
	s_load_dwordx4 s[12:15], s[4:5], 0x28
	s_load_dwordx4 s[16:19], s[4:5], 0x8
	s_load_dwordx2 s[10:11], s[4:5], 0x18
	v_lshl_add_u32 v4, v0, 3, 0
	s_waitcnt lgkmcnt(0)
	s_lshr_b32 s0, s12, 31
	s_add_i32 s0, s12, s0
	s_ashr_i32 s7, s0, 1
	v_cmp_gt_i32_e64 s[0:1], s7, v0
	s_and_saveexec_b64 s[8:9], s[0:1]
	s_cbranch_execz .LBB149_3
; %bb.1:
	s_load_dwordx2 s[2:3], s[4:5], 0x0
	s_load_dword s22, s[4:5], 0x4c
	s_mul_i32 s20, s6, s12
	s_ashr_i32 s21, s20, 31
	s_lshl_b64 s[20:21], s[20:21], 1
	s_waitcnt lgkmcnt(0)
	s_add_u32 s15, s2, s20
	s_addc_u32 s2, s3, s21
	s_and_b32 s22, s22, 0xffff
	s_mov_b32 s3, 0
	v_lshlrev_b32_e32 v2, 2, v0
	v_mov_b32_e32 v1, 0
	s_lshl_b32 s23, s22, 2
	v_lshl_add_u32 v3, v0, 3, 0
	s_lshl_b32 s24, s22, 3
	s_mov_b64 s[20:21], 0
	v_mov_b32_e32 v5, s2
	v_mov_b32_e32 v6, s17
	s_mov_b32 s25, 0x3fb8aa3b
	s_mov_b32 s26, 0x32a5705f
	;; [unrolled: 1-line block ×4, first 2 shown]
	v_mov_b32_e32 v7, 0x7f800000
	v_mov_b32_e32 v8, s3
	;; [unrolled: 1-line block ×3, first 2 shown]
.LBB149_2:                              ; =>This Inner Loop Header: Depth=1
	v_add_co_u32_e32 v10, vcc, s15, v2
	v_addc_co_u32_e32 v11, vcc, v5, v1, vcc
	v_add_co_u32_e32 v12, vcc, s16, v2
	v_addc_co_u32_e32 v13, vcc, v6, v1, vcc
	global_load_dword v14, v[10:11], off
	global_load_dword v15, v[12:13], off
	v_add_co_u32_e32 v2, vcc, s23, v2
	v_add_u32_e32 v9, s22, v9
	v_addc_co_u32_e32 v1, vcc, v1, v8, vcc
	v_cmp_le_i32_e32 vcc, s7, v9
	s_or_b64 s[20:21], vcc, s[20:21]
	s_waitcnt vmcnt(1)
	v_cvt_f32_f16_e64 v12, -v14
	v_cvt_f32_f16_sdwa v13, -v14 dst_sel:DWORD dst_unused:UNUSED_PAD src0_sel:WORD_1
	s_waitcnt vmcnt(0)
	v_cvt_f32_f16_e32 v10, v15
	v_cvt_f32_f16_sdwa v11, v15 dst_sel:DWORD dst_unused:UNUSED_PAD src0_sel:WORD_1
	v_mul_f32_e32 v15, 0x3fb8aa3b, v12
	v_mul_f32_e32 v16, 0x3fb8aa3b, v13
	v_fma_mix_f32 v17, -v14, s25, -v15 op_sel_hi:[1,0,0]
	v_rndne_f32_e32 v18, v15
	v_fma_mix_f32 v19, -v14, s25, -v16 op_sel:[1,0,0] op_sel_hi:[1,0,0]
	v_rndne_f32_e32 v20, v16
	v_fma_mix_f32 v17, -v14, s26, v17 op_sel_hi:[1,0,0]
	v_sub_f32_e32 v15, v15, v18
	v_fma_mix_f32 v14, -v14, s26, v19 op_sel:[1,0,0] op_sel_hi:[1,0,0]
	v_sub_f32_e32 v16, v16, v20
	v_add_f32_e32 v15, v15, v17
	v_add_f32_e32 v14, v16, v14
	v_cvt_i32_f32_e32 v18, v18
	v_cvt_i32_f32_e32 v19, v20
	v_exp_f32_e32 v15, v15
	v_exp_f32_e32 v14, v14
	v_cmp_ngt_f32_e32 vcc, s27, v13
	v_cmp_ngt_f32_e64 s[2:3], s27, v12
	v_ldexp_f32 v15, v15, v18
	v_ldexp_f32 v14, v14, v19
	v_cndmask_b32_e64 v15, 0, v15, s[2:3]
	v_cndmask_b32_e32 v14, 0, v14, vcc
	v_cmp_nlt_f32_e32 vcc, s28, v13
	v_cmp_nlt_f32_e64 s[2:3], s28, v12
	v_cndmask_b32_e64 v12, v7, v15, s[2:3]
	v_cndmask_b32_e32 v13, v7, v14, vcc
	v_pk_add_f32 v[12:13], v[12:13], 1.0 op_sel_hi:[1,0]
	v_div_scale_f32 v14, s[2:3], v13, v13, 1.0
	v_div_scale_f32 v16, s[2:3], v12, v12, 1.0
	v_rcp_f32_e32 v18, v14
	v_rcp_f32_e32 v19, v16
	v_div_scale_f32 v15, vcc, 1.0, v13, 1.0
	v_fma_f32 v20, -v14, v18, 1.0
	v_fma_f32 v21, -v16, v19, 1.0
	v_fmac_f32_e32 v18, v20, v18
	v_div_scale_f32 v17, s[2:3], 1.0, v12, 1.0
	v_fmac_f32_e32 v19, v21, v19
	v_mul_f32_e32 v20, v15, v18
	v_mul_f32_e32 v21, v17, v19
	v_fma_f32 v22, -v14, v20, v15
	v_fma_f32 v23, -v16, v21, v17
	v_fmac_f32_e32 v20, v22, v18
	v_fmac_f32_e32 v21, v23, v19
	v_fma_f32 v14, -v14, v20, v15
	v_fma_f32 v15, -v16, v21, v17
	v_div_fmas_f32 v14, v14, v18, v20
	s_mov_b64 vcc, s[2:3]
	v_div_fixup_f32 v13, v14, v13, 1.0
	v_div_fmas_f32 v14, v15, v19, v21
	v_div_fixup_f32 v12, v14, v12, 1.0
	v_pk_add_f32 v[10:11], v[12:13], v[10:11]
	ds_write_b64 v3, v[10:11]
	v_add_u32_e32 v3, s24, v3
	s_andn2_b64 exec, exec, s[20:21]
	s_cbranch_execnz .LBB149_2
.LBB149_3:
	s_or_b64 exec, exec, s[8:9]
	s_lshl_b32 s2, s12, 2
	s_add_i32 s28, s2, 0
	v_cmp_gt_u32_e32 vcc, 64, v0
	s_waitcnt lgkmcnt(0)
	s_barrier
	s_and_saveexec_b64 s[20:21], vcc
	s_cbranch_execz .LBB149_12
; %bb.4:
	s_load_dword s8, s[4:5], 0x4c
	s_ashr_i32 s2, s12, 31
	v_lshrrev_b32_e32 v2, 5, v0
	s_lshr_b32 s2, s2, 30
	v_and_b32_e32 v1, 31, v0
	s_add_i32 s2, s12, s2
	s_waitcnt lgkmcnt(0)
	s_bfe_u32 s15, s8, 0xb0005
	v_mul_lo_u32 v3, s7, v2
	s_ashr_i32 s12, s2, 2
	v_lshlrev_b32_e32 v3, 2, v3
	v_lshlrev_b32_e32 v5, 3, v1
	s_mul_i32 s8, s7, s15
	v_cmp_gt_i32_e32 vcc, s12, v1
	v_cmp_eq_u32_e64 s[2:3], 0, v1
	v_add3_u32 v3, v3, v5, 0
	s_lshl_b32 s29, s8, 2
	s_mov_b64 s[22:23], 0
	s_branch .LBB149_6
.LBB149_5:                              ;   in Loop: Header=BB149_6 Depth=1
	s_or_b64 exec, exec, s[8:9]
	v_add_u32_e32 v2, s15, v2
	v_cmp_lt_u32_e64 s[8:9], 1, v2
	s_or_b64 s[22:23], s[8:9], s[22:23]
	v_add_u32_e32 v3, s29, v3
	s_andn2_b64 exec, exec, s[22:23]
	s_cbranch_execz .LBB149_12
.LBB149_6:                              ; =>This Loop Header: Depth=1
                                        ;     Child Loop BB149_8 Depth 2
	v_mov_b32_e32 v5, 0xff800000
	v_mov_b32_e32 v8, 0xff800000
	s_and_saveexec_b64 s[24:25], vcc
	s_cbranch_execz .LBB149_10
; %bb.7:                                ;   in Loop: Header=BB149_6 Depth=1
	s_mov_b64 s[26:27], 0
	v_mov_b32_e32 v5, 0xff800000
	v_mov_b32_e32 v6, v3
	;; [unrolled: 1-line block ×4, first 2 shown]
.LBB149_8:                              ;   Parent Loop BB149_6 Depth=1
                                        ; =>  This Inner Loop Header: Depth=2
	ds_read_b64 v[10:11], v6
	v_add_u32_e32 v7, 32, v7
	v_max_f32_e32 v8, v8, v8
	v_cmp_le_i32_e64 s[8:9], s12, v7
	s_or_b64 s[26:27], s[8:9], s[26:27]
	s_waitcnt lgkmcnt(0)
	v_max_f32_e32 v12, v10, v10
	v_max_f32_e32 v8, v12, v8
	v_cmp_gt_f32_e64 s[8:9], v10, v5
	v_max_f32_e32 v9, v5, v5
	v_cndmask_b32_e64 v8, v8, v5, s[8:9]
	v_max_f32_e32 v13, v11, v11
	v_max_f32_e32 v9, v12, v9
	;; [unrolled: 1-line block ×4, first 2 shown]
	v_cmp_gt_f32_e64 s[8:9], v11, v9
	v_add_u32_e32 v6, 0x100, v6
	v_max_f32_e32 v5, v13, v9
	v_cndmask_b32_e64 v8, v8, v9, s[8:9]
	s_andn2_b64 exec, exec, s[26:27]
	s_cbranch_execnz .LBB149_8
; %bb.9:                                ;   in Loop: Header=BB149_6 Depth=1
	s_or_b64 exec, exec, s[26:27]
.LBB149_10:                             ;   in Loop: Header=BB149_6 Depth=1
	s_or_b64 exec, exec, s[24:25]
	s_and_saveexec_b64 s[8:9], s[2:3]
	s_cbranch_execz .LBB149_5
; %bb.11:                               ;   in Loop: Header=BB149_6 Depth=1
	v_lshl_add_u32 v6, v2, 2, s28
	v_add_f32_e32 v5, v8, v5
	ds_write_b32 v6, v5
	s_branch .LBB149_5
.LBB149_12:
	s_or_b64 exec, exec, s[20:21]
	s_cmp_lt_i32 s14, 1
	s_waitcnt lgkmcnt(0)
	s_barrier
	s_cbranch_scc1 .LBB149_15
; %bb.13:
	v_mov_b32_e32 v1, s28
	s_mov_b32 s2, 0xff800000
	v_mov_b32_e32 v2, 0xff800000
.LBB149_14:                             ; =>This Inner Loop Header: Depth=1
	ds_read2_b32 v[6:7], v1 offset1:1
	s_add_i32 s14, s14, -1
	s_cmp_lg_u32 s14, 0
	s_waitcnt lgkmcnt(0)
	v_cmp_nlg_f32_e32 vcc, s2, v6
	v_cndmask_b32_e64 v3, 0, 1, vcc
	v_cmp_lg_f32_e32 vcc, s2, v6
	v_cndmask_b32_e32 v5, v2, v6, vcc
	v_lshlrev_b32_e32 v3, 1, v3
	v_cmp_ngt_f32_e32 vcc, v7, v5
	v_cndmask_b32_e32 v3, 1, v3, vcc
	v_lshlrev_b32_e32 v3, 2, v3
	v_add_u32_e32 v3, s28, v3
	ds_write_b32 v3, v2
	s_cbranch_scc1 .LBB149_14
.LBB149_15:
	v_lshlrev_b32_e32 v5, 1, v0
	s_and_saveexec_b64 s[2:3], s[0:1]
	s_cbranch_execz .LBB149_20
; %bb.16:
	s_abs_i32 s12, s7
	v_cvt_f32_u32_e32 v2, s12
	s_load_dword s14, s[4:5], 0x4c
	s_sub_i32 s15, 0, s12
	s_ashr_i32 s20, s7, 31
	v_rcp_iflag_f32_e32 v2, v2
	v_lshlrev_b32_e32 v1, 1, v0
	s_waitcnt lgkmcnt(0)
	s_and_b32 s21, s14, 0xffff
	v_lshl_add_u32 v6, v0, 3, 0
	v_mul_f32_e32 v2, 0x4f7ffffe, v2
	v_cvt_u32_f32_e32 v2, v2
	s_mov_b64 s[8:9], 0
	s_lshl_b32 s22, s21, 1
	s_lshl_b32 s23, s21, 3
	v_mul_lo_u32 v3, s15, v2
	v_mul_hi_u32 v3, v2, v3
	v_add_u32_e32 v7, v2, v3
	s_mov_b32 s24, 0xff800000
	v_mov_b32_e32 v2, 0xff800000
	v_mov_b32_e32 v8, v0
	s_branch .LBB149_18
.LBB149_17:                             ;   in Loop: Header=BB149_18 Depth=1
	s_or_b64 exec, exec, s[14:15]
	v_add_u32_e32 v8, s21, v8
	v_cmp_le_i32_e32 vcc, s7, v8
	v_add_u32_e32 v1, s22, v1
	s_or_b64 s[8:9], vcc, s[8:9]
	v_add_u32_e32 v6, s23, v6
	s_andn2_b64 exec, exec, s[8:9]
	s_cbranch_execz .LBB149_20
.LBB149_18:                             ; =>This Inner Loop Header: Depth=1
	v_mul_hi_u32 v3, v1, v7
	v_mul_lo_u32 v9, v3, s12
	v_sub_u32_e32 v9, v1, v9
	v_add_u32_e32 v10, 1, v3
	v_cmp_le_u32_e32 vcc, s12, v9
	v_cndmask_b32_e32 v3, v3, v10, vcc
	v_subrev_u32_e32 v10, s12, v9
	v_cndmask_b32_e32 v9, v9, v10, vcc
	v_add_u32_e32 v10, 1, v3
	v_cmp_le_u32_e32 vcc, s12, v9
	v_cndmask_b32_e32 v3, v3, v10, vcc
	v_xor_b32_e32 v3, s20, v3
	v_subrev_u32_e32 v3, s20, v3
	v_lshl_add_u32 v3, v3, 2, s28
	ds_read_b32 v3, v3
	s_waitcnt lgkmcnt(0)
	v_cmp_neq_f32_e32 vcc, s24, v3
	s_and_saveexec_b64 s[14:15], vcc
	s_cbranch_execz .LBB149_17
; %bb.19:                               ;   in Loop: Header=BB149_18 Depth=1
	v_mov_b32_e32 v3, v2
	ds_write_b64 v6, v[2:3]
	s_branch .LBB149_17
.LBB149_20:
	s_or_b64 exec, exec, s[2:3]
	s_cmp_lt_i32 s13, 1
	s_waitcnt lgkmcnt(0)
	s_barrier
	s_cbranch_scc1 .LBB149_27
; %bb.21:
	s_add_u32 s2, s4, 64
	s_addc_u32 s3, s5, 0
	s_mov_b32 s12, 0
	v_mov_b32_e32 v6, 0
	v_mov_b32_e32 v7, 0xff800000
	;; [unrolled: 1-line block ×3, first 2 shown]
                                        ; implicit-def: $vgpr2
                                        ; implicit-def: $vgpr1
	s_branch .LBB149_23
.LBB149_22:                             ;   in Loop: Header=BB149_23 Depth=1
	s_or_b64 exec, exec, s[8:9]
	v_mov_b32_dpp v11, v9 quad_perm:[1,0,3,2] row_mask:0xf bank_mask:0xf
	v_cmp_lt_f32_e32 vcc, v9, v11
	v_cndmask_b32_e32 v9, v9, v11, vcc
	v_mov_b32_dpp v10, v8 quad_perm:[1,0,3,2] row_mask:0xf bank_mask:0xf
	v_cndmask_b32_e32 v8, v8, v10, vcc
	v_mov_b32_dpp v11, v9 quad_perm:[2,3,0,1] row_mask:0xf bank_mask:0xf
	v_cmp_gt_f32_e32 vcc, v11, v9
	v_cndmask_b32_e32 v9, v9, v11, vcc
	v_mov_b32_dpp v10, v8 quad_perm:[2,3,0,1] row_mask:0xf bank_mask:0xf
	v_cndmask_b32_e32 v8, v8, v10, vcc
	v_mov_b32_dpp v11, v9 row_half_mirror row_mask:0xf bank_mask:0xf
	v_cmp_gt_f32_e32 vcc, v11, v9
	v_cndmask_b32_e32 v9, v9, v11, vcc
	v_mov_b32_dpp v10, v8 row_half_mirror row_mask:0xf bank_mask:0xf
	v_cndmask_b32_e32 v8, v8, v10, vcc
	v_mov_b32_dpp v11, v9 row_mirror row_mask:0xf bank_mask:0xf
	v_cmp_gt_f32_e32 vcc, v11, v9
	v_cndmask_b32_e32 v9, v9, v11, vcc
	v_mov_b32_dpp v10, v8 row_mirror row_mask:0xf bank_mask:0xf
	v_cndmask_b32_e32 v8, v8, v10, vcc
	v_mov_b32_dpp v11, v9 row_bcast:15 row_mask:0xf bank_mask:0xf
	v_cmp_gt_f32_e32 vcc, v11, v9
	v_mov_b32_dpp v10, v8 row_bcast:15 row_mask:0xf bank_mask:0xf
	v_cndmask_b32_e32 v9, v9, v11, vcc
	v_cndmask_b32_e32 v8, v8, v10, vcc
	s_nop 0
	v_mov_b32_dpp v11, v9 row_bcast:31 row_mask:0xf bank_mask:0xf
	v_mov_b32_dpp v10, v8 row_bcast:31 row_mask:0xf bank_mask:0xf
	v_cmp_gt_f32_e32 vcc, v11, v9
	v_cndmask_b32_e32 v8, v8, v10, vcc
	v_readlane_b32 s8, v8, 63
	s_ashr_i32 s9, s8, 31
	s_lshl_b64 s[14:15], s[8:9], 1
	s_add_u32 s14, s16, s14
	s_addc_u32 s15, s17, s15
	global_load_ushort v8, v6, s[14:15]
	v_cndmask_b32_e32 v9, v9, v11, vcc
	v_readlane_b32 s9, v9, 63
	v_mov_b32_e32 v9, s8
	s_lshl_b32 s8, s8, 2
	v_cmp_eq_u32_e32 vcc, s12, v0
	s_add_i32 s12, s12, 1
	s_add_i32 s8, s8, 0
	v_cndmask_b32_e32 v1, v1, v9, vcc
	v_mov_b32_e32 v9, s8
	s_cmp_eq_u32 s12, s13
	ds_write_b32 v9, v7
	s_waitcnt vmcnt(0)
	v_cvt_f32_f16_e32 v8, v8
	v_sub_f32_e32 v8, s9, v8
	v_cndmask_b32_e32 v2, v2, v8, vcc
	v_add_f32_e32 v3, v3, v8
	s_cbranch_scc1 .LBB149_28
.LBB149_23:                             ; =>This Loop Header: Depth=1
                                        ;     Child Loop BB149_25 Depth 2
	v_mov_b32_e32 v8, s12
	v_mov_b32_e32 v9, 0xff800000
	s_and_saveexec_b64 s[8:9], s[0:1]
	s_cbranch_execz .LBB149_22
; %bb.24:                               ;   in Loop: Header=BB149_23 Depth=1
	s_load_dword s20, s[2:3], 0xc
	s_mov_b64 s[14:15], 0
	v_mov_b32_e32 v8, s12
	v_mov_b32_e32 v9, 0xff800000
	;; [unrolled: 1-line block ×3, first 2 shown]
	s_waitcnt lgkmcnt(0)
	s_and_b32 s20, s20, 0xffff
	s_lshl_b32 s21, s20, 1
	s_lshl_b32 s22, s20, 3
	v_mov_b32_e32 v11, v5
	v_mov_b32_e32 v12, v0
.LBB149_25:                             ;   Parent Loop BB149_23 Depth=1
                                        ; =>  This Inner Loop Header: Depth=2
	ds_read_b64 v[14:15], v10
	v_add_u32_e32 v12, s20, v12
	v_cmp_le_i32_e32 vcc, s7, v12
	s_or_b64 s[14:15], vcc, s[14:15]
	v_add_u32_e32 v13, 1, v11
	s_waitcnt lgkmcnt(0)
	v_cmp_gt_f32_e32 vcc, v14, v9
	v_cndmask_b32_e32 v9, v9, v14, vcc
	v_cndmask_b32_e32 v8, v8, v11, vcc
	v_cmp_gt_f32_e32 vcc, v15, v9
	v_add_u32_e32 v10, s22, v10
	v_cndmask_b32_e32 v9, v9, v15, vcc
	v_add_u32_e32 v11, s21, v11
	v_cndmask_b32_e32 v8, v8, v13, vcc
	s_andn2_b64 exec, exec, s[14:15]
	s_cbranch_execnz .LBB149_25
; %bb.26:                               ;   in Loop: Header=BB149_23 Depth=1
	s_or_b64 exec, exec, s[14:15]
	s_branch .LBB149_22
.LBB149_27:
	v_mov_b32_e32 v3, 0
                                        ; implicit-def: $vgpr2
                                        ; implicit-def: $vgpr1
.LBB149_28:
	v_cmp_gt_i32_e32 vcc, s13, v0
	s_and_saveexec_b64 s[0:1], vcc
	s_cbranch_execz .LBB149_31
; %bb.29:
	s_load_dword s7, s[4:5], 0x38
	s_load_dwordx2 s[0:1], s[4:5], 0x20
	s_load_dword s8, s[4:5], 0x4c
	s_waitcnt lgkmcnt(0)
	v_div_scale_f32 v4, s[2:3], v3, v3, s7
	v_rcp_f32_e32 v5, v4
	v_div_scale_f32 v6, vcc, s7, v3, s7
	s_ashr_i32 s2, s6, 31
	v_fma_f32 v7, -v4, v5, 1.0
	v_fmac_f32_e32 v5, v7, v5
	v_mul_f32_e32 v7, v6, v5
	v_fma_f32 v8, -v4, v7, v6
	v_fmac_f32_e32 v7, v8, v5
	v_fma_f32 v4, -v4, v7, v6
	s_mul_i32 s1, s6, s1
	s_mul_hi_u32 s3, s6, s0
	v_div_fmas_f32 v4, v4, v5, v7
	s_add_i32 s1, s3, s1
	s_mul_i32 s2, s2, s0
	v_div_fixup_f32 v3, v4, v3, s7
	s_add_i32 s4, s1, s2
	v_mul_f32_e32 v2, v3, v2
	s_mul_i32 s2, s6, s0
	s_and_b32 s3, s8, 0xffff
	s_mov_b64 s[0:1], 0
	v_mov_b32_e32 v3, s4
	v_mov_b32_e32 v4, s19
	;; [unrolled: 1-line block ×3, first 2 shown]
.LBB149_30:                             ; =>This Inner Loop Header: Depth=1
	v_ashrrev_i32_e32 v7, 31, v0
	v_add_co_u32_e32 v6, vcc, s2, v0
	v_addc_co_u32_e32 v7, vcc, v3, v7, vcc
	v_add_u32_e32 v0, s3, v0
	v_cmp_le_i32_e32 vcc, s13, v0
	v_lshlrev_b64 v[6:7], 2, v[6:7]
	s_or_b64 s[0:1], vcc, s[0:1]
	v_add_co_u32_e32 v8, vcc, s18, v6
	v_addc_co_u32_e32 v9, vcc, v4, v7, vcc
	v_add_co_u32_e32 v6, vcc, s10, v6
	v_addc_co_u32_e32 v7, vcc, v5, v7, vcc
	global_store_dword v[8:9], v2, off
	global_store_dword v[6:7], v1, off
	s_andn2_b64 exec, exec, s[0:1]
	s_cbranch_execnz .LBB149_30
.LBB149_31:
	s_endpgm
	.section	.rodata,"a",@progbits
	.p2align	6, 0x0
	.amdhsa_kernel _ZN5aiter19grouped_topk_kernelIN3c104HalfEDv2_fLi2ELb1ELb1ELb0EEEvPT_PKS4_PfPimiiiif
		.amdhsa_group_segment_fixed_size 0
		.amdhsa_private_segment_fixed_size 0
		.amdhsa_kernarg_size 320
		.amdhsa_user_sgpr_count 6
		.amdhsa_user_sgpr_private_segment_buffer 1
		.amdhsa_user_sgpr_dispatch_ptr 0
		.amdhsa_user_sgpr_queue_ptr 0
		.amdhsa_user_sgpr_kernarg_segment_ptr 1
		.amdhsa_user_sgpr_dispatch_id 0
		.amdhsa_user_sgpr_flat_scratch_init 0
		.amdhsa_user_sgpr_kernarg_preload_length 0
		.amdhsa_user_sgpr_kernarg_preload_offset 0
		.amdhsa_user_sgpr_private_segment_size 0
		.amdhsa_uses_dynamic_stack 0
		.amdhsa_system_sgpr_private_segment_wavefront_offset 0
		.amdhsa_system_sgpr_workgroup_id_x 1
		.amdhsa_system_sgpr_workgroup_id_y 0
		.amdhsa_system_sgpr_workgroup_id_z 0
		.amdhsa_system_sgpr_workgroup_info 0
		.amdhsa_system_vgpr_workitem_id 0
		.amdhsa_next_free_vgpr 24
		.amdhsa_next_free_sgpr 30
		.amdhsa_accum_offset 24
		.amdhsa_reserve_vcc 1
		.amdhsa_reserve_flat_scratch 0
		.amdhsa_float_round_mode_32 0
		.amdhsa_float_round_mode_16_64 0
		.amdhsa_float_denorm_mode_32 3
		.amdhsa_float_denorm_mode_16_64 3
		.amdhsa_dx10_clamp 1
		.amdhsa_ieee_mode 1
		.amdhsa_fp16_overflow 0
		.amdhsa_tg_split 0
		.amdhsa_exception_fp_ieee_invalid_op 0
		.amdhsa_exception_fp_denorm_src 0
		.amdhsa_exception_fp_ieee_div_zero 0
		.amdhsa_exception_fp_ieee_overflow 0
		.amdhsa_exception_fp_ieee_underflow 0
		.amdhsa_exception_fp_ieee_inexact 0
		.amdhsa_exception_int_div_zero 0
	.end_amdhsa_kernel
	.section	.text._ZN5aiter19grouped_topk_kernelIN3c104HalfEDv2_fLi2ELb1ELb1ELb0EEEvPT_PKS4_PfPimiiiif,"axG",@progbits,_ZN5aiter19grouped_topk_kernelIN3c104HalfEDv2_fLi2ELb1ELb1ELb0EEEvPT_PKS4_PfPimiiiif,comdat
.Lfunc_end149:
	.size	_ZN5aiter19grouped_topk_kernelIN3c104HalfEDv2_fLi2ELb1ELb1ELb0EEEvPT_PKS4_PfPimiiiif, .Lfunc_end149-_ZN5aiter19grouped_topk_kernelIN3c104HalfEDv2_fLi2ELb1ELb1ELb0EEEvPT_PKS4_PfPimiiiif
                                        ; -- End function
	.section	.AMDGPU.csdata,"",@progbits
; Kernel info:
; codeLenInByte = 2104
; NumSgprs: 34
; NumVgprs: 24
; NumAgprs: 0
; TotalNumVgprs: 24
; ScratchSize: 0
; MemoryBound: 0
; FloatMode: 240
; IeeeMode: 1
; LDSByteSize: 0 bytes/workgroup (compile time only)
; SGPRBlocks: 4
; VGPRBlocks: 2
; NumSGPRsForWavesPerEU: 34
; NumVGPRsForWavesPerEU: 24
; AccumOffset: 24
; Occupancy: 8
; WaveLimiterHint : 0
; COMPUTE_PGM_RSRC2:SCRATCH_EN: 0
; COMPUTE_PGM_RSRC2:USER_SGPR: 6
; COMPUTE_PGM_RSRC2:TRAP_HANDLER: 0
; COMPUTE_PGM_RSRC2:TGID_X_EN: 1
; COMPUTE_PGM_RSRC2:TGID_Y_EN: 0
; COMPUTE_PGM_RSRC2:TGID_Z_EN: 0
; COMPUTE_PGM_RSRC2:TIDIG_COMP_CNT: 0
; COMPUTE_PGM_RSRC3_GFX90A:ACCUM_OFFSET: 5
; COMPUTE_PGM_RSRC3_GFX90A:TG_SPLIT: 0
	.section	.text._ZN5aiter19grouped_topk_kernelIN3c108BFloat16EDv2_fLi2ELb1ELb1ELb0EEEvPT_PKS4_PfPimiiiif,"axG",@progbits,_ZN5aiter19grouped_topk_kernelIN3c108BFloat16EDv2_fLi2ELb1ELb1ELb0EEEvPT_PKS4_PfPimiiiif,comdat
	.protected	_ZN5aiter19grouped_topk_kernelIN3c108BFloat16EDv2_fLi2ELb1ELb1ELb0EEEvPT_PKS4_PfPimiiiif ; -- Begin function _ZN5aiter19grouped_topk_kernelIN3c108BFloat16EDv2_fLi2ELb1ELb1ELb0EEEvPT_PKS4_PfPimiiiif
	.globl	_ZN5aiter19grouped_topk_kernelIN3c108BFloat16EDv2_fLi2ELb1ELb1ELb0EEEvPT_PKS4_PfPimiiiif
	.p2align	8
	.type	_ZN5aiter19grouped_topk_kernelIN3c108BFloat16EDv2_fLi2ELb1ELb1ELb0EEEvPT_PKS4_PfPimiiiif,@function
_ZN5aiter19grouped_topk_kernelIN3c108BFloat16EDv2_fLi2ELb1ELb1ELb0EEEvPT_PKS4_PfPimiiiif: ; @_ZN5aiter19grouped_topk_kernelIN3c108BFloat16EDv2_fLi2ELb1ELb1ELb0EEEvPT_PKS4_PfPimiiiif
; %bb.0:
	s_load_dwordx4 s[12:15], s[4:5], 0x28
	s_load_dwordx4 s[16:19], s[4:5], 0x8
	s_load_dwordx2 s[10:11], s[4:5], 0x18
	v_lshl_add_u32 v4, v0, 3, 0
	s_waitcnt lgkmcnt(0)
	s_lshr_b32 s0, s12, 31
	s_add_i32 s0, s12, s0
	s_ashr_i32 s7, s0, 1
	v_cmp_gt_i32_e64 s[0:1], s7, v0
	s_and_saveexec_b64 s[8:9], s[0:1]
	s_cbranch_execz .LBB150_3
; %bb.1:
	s_load_dwordx2 s[2:3], s[4:5], 0x0
	s_load_dword s22, s[4:5], 0x4c
	s_mul_i32 s20, s6, s12
	s_ashr_i32 s21, s20, 31
	s_lshl_b64 s[20:21], s[20:21], 1
	s_waitcnt lgkmcnt(0)
	s_add_u32 s15, s2, s20
	s_addc_u32 s2, s3, s21
	s_and_b32 s22, s22, 0xffff
	s_mov_b32 s3, 0
	v_lshlrev_b32_e32 v2, 2, v0
	v_mov_b32_e32 v1, 0
	s_lshl_b32 s23, s22, 2
	v_lshl_add_u32 v3, v0, 3, 0
	s_lshl_b32 s24, s22, 3
	s_mov_b64 s[20:21], 0
	v_mov_b32_e32 v5, s2
	v_mov_b32_e32 v6, s17
	s_mov_b32 s25, 0xbfb8aa3b
	s_mov_b32 s26, 0x42ce8ed0
	;; [unrolled: 1-line block ×3, first 2 shown]
	v_mov_b32_e32 v7, 0x7f800000
	v_mov_b32_e32 v8, s3
	;; [unrolled: 1-line block ×3, first 2 shown]
.LBB150_2:                              ; =>This Inner Loop Header: Depth=1
	v_add_co_u32_e32 v10, vcc, s15, v2
	v_addc_co_u32_e32 v11, vcc, v5, v1, vcc
	v_add_co_u32_e32 v12, vcc, s16, v2
	v_addc_co_u32_e32 v13, vcc, v6, v1, vcc
	global_load_dword v14, v[10:11], off
	global_load_dword v15, v[12:13], off
	v_add_co_u32_e32 v2, vcc, s23, v2
	v_add_u32_e32 v9, s22, v9
	v_addc_co_u32_e32 v1, vcc, v1, v8, vcc
	v_cmp_le_i32_e32 vcc, s7, v9
	s_or_b64 s[20:21], vcc, s[20:21]
	s_waitcnt vmcnt(1)
	v_cvt_f32_u32_sdwa v12, v14 dst_sel:DWORD dst_unused:UNUSED_PAD src0_sel:WORD_1
	v_cvt_f32_u32_sdwa v13, v14 dst_sel:DWORD dst_unused:UNUSED_PAD src0_sel:WORD_0
	s_waitcnt vmcnt(0)
	v_cvt_f32_u32_sdwa v11, v15 dst_sel:DWORD dst_unused:UNUSED_PAD src0_sel:WORD_1
	v_cvt_f32_u32_sdwa v10, v15 dst_sel:DWORD dst_unused:UNUSED_PAD src0_sel:WORD_0
	v_mul_f32_e32 v14, 0xbfb8aa3b, v12
	v_mul_f32_e32 v15, 0xbfb8aa3b, v13
	v_fma_f32 v16, v12, s25, -v14
	v_rndne_f32_e32 v17, v14
	v_fma_f32 v18, v13, s25, -v15
	v_rndne_f32_e32 v19, v15
	v_fmac_f32_e32 v16, 0xb2a5705f, v12
	v_sub_f32_e32 v14, v14, v17
	v_fmac_f32_e32 v18, 0xb2a5705f, v13
	v_sub_f32_e32 v15, v15, v19
	v_add_f32_e32 v14, v14, v16
	v_add_f32_e32 v15, v15, v18
	v_cvt_i32_f32_e32 v17, v17
	v_cvt_i32_f32_e32 v19, v19
	v_exp_f32_e32 v14, v14
	v_exp_f32_e32 v15, v15
	v_cmp_nlt_f32_e32 vcc, s26, v13
	v_cmp_nlt_f32_e64 s[2:3], s26, v12
	v_ldexp_f32 v14, v14, v17
	v_ldexp_f32 v15, v15, v19
	v_cndmask_b32_e64 v14, 0, v14, s[2:3]
	v_cndmask_b32_e32 v15, 0, v15, vcc
	v_cmp_ngt_f32_e32 vcc, s27, v13
	v_cmp_ngt_f32_e64 s[2:3], s27, v12
	v_cndmask_b32_e64 v13, v7, v14, s[2:3]
	v_cndmask_b32_e32 v12, v7, v15, vcc
	v_pk_add_f32 v[12:13], v[12:13], 1.0 op_sel_hi:[1,0]
	v_div_scale_f32 v14, s[2:3], v13, v13, 1.0
	v_div_scale_f32 v16, s[2:3], v12, v12, 1.0
	v_rcp_f32_e32 v18, v14
	v_rcp_f32_e32 v19, v16
	v_div_scale_f32 v15, vcc, 1.0, v13, 1.0
	v_fma_f32 v20, -v14, v18, 1.0
	v_fma_f32 v21, -v16, v19, 1.0
	v_fmac_f32_e32 v18, v20, v18
	v_div_scale_f32 v17, s[2:3], 1.0, v12, 1.0
	v_fmac_f32_e32 v19, v21, v19
	v_mul_f32_e32 v20, v15, v18
	v_mul_f32_e32 v21, v17, v19
	v_fma_f32 v22, -v14, v20, v15
	v_fma_f32 v23, -v16, v21, v17
	v_fmac_f32_e32 v20, v22, v18
	v_fmac_f32_e32 v21, v23, v19
	v_fma_f32 v14, -v14, v20, v15
	v_fma_f32 v15, -v16, v21, v17
	v_div_fmas_f32 v14, v14, v18, v20
	s_mov_b64 vcc, s[2:3]
	v_div_fixup_f32 v13, v14, v13, 1.0
	v_div_fmas_f32 v14, v15, v19, v21
	v_div_fixup_f32 v12, v14, v12, 1.0
	v_pk_add_f32 v[10:11], v[12:13], v[10:11]
	ds_write_b64 v3, v[10:11]
	v_add_u32_e32 v3, s24, v3
	s_andn2_b64 exec, exec, s[20:21]
	s_cbranch_execnz .LBB150_2
.LBB150_3:
	s_or_b64 exec, exec, s[8:9]
	s_lshl_b32 s2, s12, 2
	s_add_i32 s28, s2, 0
	v_cmp_gt_u32_e32 vcc, 64, v0
	s_waitcnt lgkmcnt(0)
	s_barrier
	s_and_saveexec_b64 s[20:21], vcc
	s_cbranch_execz .LBB150_12
; %bb.4:
	s_load_dword s8, s[4:5], 0x4c
	s_ashr_i32 s2, s12, 31
	v_lshrrev_b32_e32 v2, 5, v0
	s_lshr_b32 s2, s2, 30
	v_and_b32_e32 v1, 31, v0
	s_add_i32 s2, s12, s2
	s_waitcnt lgkmcnt(0)
	s_bfe_u32 s15, s8, 0xb0005
	v_mul_lo_u32 v3, s7, v2
	s_ashr_i32 s12, s2, 2
	v_lshlrev_b32_e32 v3, 2, v3
	v_lshlrev_b32_e32 v5, 3, v1
	s_mul_i32 s8, s7, s15
	v_cmp_gt_i32_e32 vcc, s12, v1
	v_cmp_eq_u32_e64 s[2:3], 0, v1
	v_add3_u32 v3, v3, v5, 0
	s_lshl_b32 s29, s8, 2
	s_mov_b64 s[22:23], 0
	s_branch .LBB150_6
.LBB150_5:                              ;   in Loop: Header=BB150_6 Depth=1
	s_or_b64 exec, exec, s[8:9]
	v_add_u32_e32 v2, s15, v2
	v_cmp_lt_u32_e64 s[8:9], 1, v2
	s_or_b64 s[22:23], s[8:9], s[22:23]
	v_add_u32_e32 v3, s29, v3
	s_andn2_b64 exec, exec, s[22:23]
	s_cbranch_execz .LBB150_12
.LBB150_6:                              ; =>This Loop Header: Depth=1
                                        ;     Child Loop BB150_8 Depth 2
	v_mov_b32_e32 v5, 0xff800000
	v_mov_b32_e32 v8, 0xff800000
	s_and_saveexec_b64 s[24:25], vcc
	s_cbranch_execz .LBB150_10
; %bb.7:                                ;   in Loop: Header=BB150_6 Depth=1
	s_mov_b64 s[26:27], 0
	v_mov_b32_e32 v5, 0xff800000
	v_mov_b32_e32 v6, v3
	;; [unrolled: 1-line block ×4, first 2 shown]
.LBB150_8:                              ;   Parent Loop BB150_6 Depth=1
                                        ; =>  This Inner Loop Header: Depth=2
	ds_read_b64 v[10:11], v6
	v_add_u32_e32 v7, 32, v7
	v_max_f32_e32 v8, v8, v8
	v_cmp_le_i32_e64 s[8:9], s12, v7
	s_or_b64 s[26:27], s[8:9], s[26:27]
	s_waitcnt lgkmcnt(0)
	v_max_f32_e32 v12, v10, v10
	v_max_f32_e32 v8, v12, v8
	v_cmp_gt_f32_e64 s[8:9], v10, v5
	v_max_f32_e32 v9, v5, v5
	v_cndmask_b32_e64 v8, v8, v5, s[8:9]
	v_max_f32_e32 v13, v11, v11
	v_max_f32_e32 v9, v12, v9
	;; [unrolled: 1-line block ×4, first 2 shown]
	v_cmp_gt_f32_e64 s[8:9], v11, v9
	v_add_u32_e32 v6, 0x100, v6
	v_max_f32_e32 v5, v13, v9
	v_cndmask_b32_e64 v8, v8, v9, s[8:9]
	s_andn2_b64 exec, exec, s[26:27]
	s_cbranch_execnz .LBB150_8
; %bb.9:                                ;   in Loop: Header=BB150_6 Depth=1
	s_or_b64 exec, exec, s[26:27]
.LBB150_10:                             ;   in Loop: Header=BB150_6 Depth=1
	s_or_b64 exec, exec, s[24:25]
	s_and_saveexec_b64 s[8:9], s[2:3]
	s_cbranch_execz .LBB150_5
; %bb.11:                               ;   in Loop: Header=BB150_6 Depth=1
	v_lshl_add_u32 v6, v2, 2, s28
	v_add_f32_e32 v5, v8, v5
	ds_write_b32 v6, v5
	s_branch .LBB150_5
.LBB150_12:
	s_or_b64 exec, exec, s[20:21]
	s_cmp_lt_i32 s14, 1
	s_waitcnt lgkmcnt(0)
	s_barrier
	s_cbranch_scc1 .LBB150_15
; %bb.13:
	v_mov_b32_e32 v1, s28
	s_mov_b32 s2, 0xff800000
	v_mov_b32_e32 v2, 0xff800000
.LBB150_14:                             ; =>This Inner Loop Header: Depth=1
	ds_read2_b32 v[6:7], v1 offset1:1
	s_add_i32 s14, s14, -1
	s_cmp_lg_u32 s14, 0
	s_waitcnt lgkmcnt(0)
	v_cmp_nlg_f32_e32 vcc, s2, v6
	v_cndmask_b32_e64 v3, 0, 1, vcc
	v_cmp_lg_f32_e32 vcc, s2, v6
	v_cndmask_b32_e32 v5, v2, v6, vcc
	v_lshlrev_b32_e32 v3, 1, v3
	v_cmp_ngt_f32_e32 vcc, v7, v5
	v_cndmask_b32_e32 v3, 1, v3, vcc
	v_lshlrev_b32_e32 v3, 2, v3
	v_add_u32_e32 v3, s28, v3
	ds_write_b32 v3, v2
	s_cbranch_scc1 .LBB150_14
.LBB150_15:
	v_lshlrev_b32_e32 v5, 1, v0
	s_and_saveexec_b64 s[2:3], s[0:1]
	s_cbranch_execz .LBB150_20
; %bb.16:
	s_abs_i32 s12, s7
	v_cvt_f32_u32_e32 v2, s12
	s_load_dword s14, s[4:5], 0x4c
	s_sub_i32 s15, 0, s12
	s_ashr_i32 s20, s7, 31
	v_rcp_iflag_f32_e32 v2, v2
	v_lshlrev_b32_e32 v1, 1, v0
	s_waitcnt lgkmcnt(0)
	s_and_b32 s21, s14, 0xffff
	v_lshl_add_u32 v6, v0, 3, 0
	v_mul_f32_e32 v2, 0x4f7ffffe, v2
	v_cvt_u32_f32_e32 v2, v2
	s_mov_b64 s[8:9], 0
	s_lshl_b32 s22, s21, 1
	s_lshl_b32 s23, s21, 3
	v_mul_lo_u32 v3, s15, v2
	v_mul_hi_u32 v3, v2, v3
	v_add_u32_e32 v7, v2, v3
	s_mov_b32 s24, 0xff800000
	v_mov_b32_e32 v2, 0xff800000
	v_mov_b32_e32 v8, v0
	s_branch .LBB150_18
.LBB150_17:                             ;   in Loop: Header=BB150_18 Depth=1
	s_or_b64 exec, exec, s[14:15]
	v_add_u32_e32 v8, s21, v8
	v_cmp_le_i32_e32 vcc, s7, v8
	v_add_u32_e32 v1, s22, v1
	s_or_b64 s[8:9], vcc, s[8:9]
	v_add_u32_e32 v6, s23, v6
	s_andn2_b64 exec, exec, s[8:9]
	s_cbranch_execz .LBB150_20
.LBB150_18:                             ; =>This Inner Loop Header: Depth=1
	v_mul_hi_u32 v3, v1, v7
	v_mul_lo_u32 v9, v3, s12
	v_sub_u32_e32 v9, v1, v9
	v_add_u32_e32 v10, 1, v3
	v_cmp_le_u32_e32 vcc, s12, v9
	v_cndmask_b32_e32 v3, v3, v10, vcc
	v_subrev_u32_e32 v10, s12, v9
	v_cndmask_b32_e32 v9, v9, v10, vcc
	v_add_u32_e32 v10, 1, v3
	v_cmp_le_u32_e32 vcc, s12, v9
	v_cndmask_b32_e32 v3, v3, v10, vcc
	v_xor_b32_e32 v3, s20, v3
	v_subrev_u32_e32 v3, s20, v3
	v_lshl_add_u32 v3, v3, 2, s28
	ds_read_b32 v3, v3
	s_waitcnt lgkmcnt(0)
	v_cmp_neq_f32_e32 vcc, s24, v3
	s_and_saveexec_b64 s[14:15], vcc
	s_cbranch_execz .LBB150_17
; %bb.19:                               ;   in Loop: Header=BB150_18 Depth=1
	v_mov_b32_e32 v3, v2
	ds_write_b64 v6, v[2:3]
	s_branch .LBB150_17
.LBB150_20:
	s_or_b64 exec, exec, s[2:3]
	s_cmp_lt_i32 s13, 1
	s_waitcnt lgkmcnt(0)
	s_barrier
	s_cbranch_scc1 .LBB150_27
; %bb.21:
	s_add_u32 s2, s4, 64
	s_addc_u32 s3, s5, 0
	s_mov_b32 s12, 0
	v_mov_b32_e32 v6, 0
	v_mov_b32_e32 v7, 0xff800000
	;; [unrolled: 1-line block ×3, first 2 shown]
                                        ; implicit-def: $vgpr2
                                        ; implicit-def: $vgpr1
	s_branch .LBB150_23
.LBB150_22:                             ;   in Loop: Header=BB150_23 Depth=1
	s_or_b64 exec, exec, s[8:9]
	v_mov_b32_dpp v11, v9 quad_perm:[1,0,3,2] row_mask:0xf bank_mask:0xf
	v_cmp_lt_f32_e32 vcc, v9, v11
	v_cndmask_b32_e32 v9, v9, v11, vcc
	v_mov_b32_dpp v10, v8 quad_perm:[1,0,3,2] row_mask:0xf bank_mask:0xf
	v_cndmask_b32_e32 v8, v8, v10, vcc
	v_mov_b32_dpp v11, v9 quad_perm:[2,3,0,1] row_mask:0xf bank_mask:0xf
	v_cmp_gt_f32_e32 vcc, v11, v9
	v_cndmask_b32_e32 v9, v9, v11, vcc
	v_mov_b32_dpp v10, v8 quad_perm:[2,3,0,1] row_mask:0xf bank_mask:0xf
	v_cndmask_b32_e32 v8, v8, v10, vcc
	v_mov_b32_dpp v11, v9 row_half_mirror row_mask:0xf bank_mask:0xf
	v_cmp_gt_f32_e32 vcc, v11, v9
	v_cndmask_b32_e32 v9, v9, v11, vcc
	v_mov_b32_dpp v10, v8 row_half_mirror row_mask:0xf bank_mask:0xf
	v_cndmask_b32_e32 v8, v8, v10, vcc
	v_mov_b32_dpp v11, v9 row_mirror row_mask:0xf bank_mask:0xf
	v_cmp_gt_f32_e32 vcc, v11, v9
	v_cndmask_b32_e32 v9, v9, v11, vcc
	v_mov_b32_dpp v10, v8 row_mirror row_mask:0xf bank_mask:0xf
	v_cndmask_b32_e32 v8, v8, v10, vcc
	v_mov_b32_dpp v11, v9 row_bcast:15 row_mask:0xf bank_mask:0xf
	v_cmp_gt_f32_e32 vcc, v11, v9
	v_mov_b32_dpp v10, v8 row_bcast:15 row_mask:0xf bank_mask:0xf
	v_cndmask_b32_e32 v9, v9, v11, vcc
	v_cndmask_b32_e32 v8, v8, v10, vcc
	s_nop 0
	v_mov_b32_dpp v11, v9 row_bcast:31 row_mask:0xf bank_mask:0xf
	v_mov_b32_dpp v10, v8 row_bcast:31 row_mask:0xf bank_mask:0xf
	v_cmp_gt_f32_e32 vcc, v11, v9
	v_cndmask_b32_e32 v8, v8, v10, vcc
	v_readlane_b32 s8, v8, 63
	s_ashr_i32 s9, s8, 31
	s_lshl_b64 s[14:15], s[8:9], 1
	s_add_u32 s14, s16, s14
	s_addc_u32 s15, s17, s15
	global_load_ushort v8, v6, s[14:15]
	v_cndmask_b32_e32 v9, v9, v11, vcc
	v_readlane_b32 s9, v9, 63
	v_mov_b32_e32 v9, s8
	s_lshl_b32 s8, s8, 2
	v_cmp_eq_u32_e32 vcc, s12, v0
	s_add_i32 s8, s8, 0
	v_cndmask_b32_e32 v1, v1, v9, vcc
	v_mov_b32_e32 v9, s8
	ds_write_b32 v9, v7
	s_add_i32 s12, s12, 1
	s_cmp_eq_u32 s12, s13
	s_waitcnt vmcnt(0)
	v_and_b32_e32 v9, 0xff, v8
	v_lshlrev_b32_e32 v8, 16, v8
	v_lshlrev_b32_e32 v9, 16, v9
	v_and_b32_e32 v8, 0xff000000, v8
	v_or_b32_e32 v8, v9, v8
	v_sub_f32_e32 v8, s9, v8
	v_cndmask_b32_e32 v2, v2, v8, vcc
	v_add_f32_e32 v3, v3, v8
	s_cbranch_scc1 .LBB150_28
.LBB150_23:                             ; =>This Loop Header: Depth=1
                                        ;     Child Loop BB150_25 Depth 2
	v_mov_b32_e32 v8, s12
	v_mov_b32_e32 v9, 0xff800000
	s_and_saveexec_b64 s[8:9], s[0:1]
	s_cbranch_execz .LBB150_22
; %bb.24:                               ;   in Loop: Header=BB150_23 Depth=1
	s_load_dword s20, s[2:3], 0xc
	s_mov_b64 s[14:15], 0
	v_mov_b32_e32 v8, s12
	v_mov_b32_e32 v9, 0xff800000
	;; [unrolled: 1-line block ×3, first 2 shown]
	s_waitcnt lgkmcnt(0)
	s_and_b32 s20, s20, 0xffff
	s_lshl_b32 s21, s20, 1
	s_lshl_b32 s22, s20, 3
	v_mov_b32_e32 v11, v5
	v_mov_b32_e32 v12, v0
.LBB150_25:                             ;   Parent Loop BB150_23 Depth=1
                                        ; =>  This Inner Loop Header: Depth=2
	ds_read_b64 v[14:15], v10
	v_add_u32_e32 v12, s20, v12
	v_cmp_le_i32_e32 vcc, s7, v12
	s_or_b64 s[14:15], vcc, s[14:15]
	v_add_u32_e32 v13, 1, v11
	s_waitcnt lgkmcnt(0)
	v_cmp_gt_f32_e32 vcc, v14, v9
	v_cndmask_b32_e32 v9, v9, v14, vcc
	v_cndmask_b32_e32 v8, v8, v11, vcc
	v_cmp_gt_f32_e32 vcc, v15, v9
	v_add_u32_e32 v10, s22, v10
	v_cndmask_b32_e32 v9, v9, v15, vcc
	v_add_u32_e32 v11, s21, v11
	v_cndmask_b32_e32 v8, v8, v13, vcc
	s_andn2_b64 exec, exec, s[14:15]
	s_cbranch_execnz .LBB150_25
; %bb.26:                               ;   in Loop: Header=BB150_23 Depth=1
	s_or_b64 exec, exec, s[14:15]
	s_branch .LBB150_22
.LBB150_27:
	v_mov_b32_e32 v3, 0
                                        ; implicit-def: $vgpr2
                                        ; implicit-def: $vgpr1
.LBB150_28:
	v_cmp_gt_i32_e32 vcc, s13, v0
	s_and_saveexec_b64 s[0:1], vcc
	s_cbranch_execz .LBB150_31
; %bb.29:
	s_load_dword s7, s[4:5], 0x38
	s_load_dwordx2 s[0:1], s[4:5], 0x20
	s_load_dword s8, s[4:5], 0x4c
	s_waitcnt lgkmcnt(0)
	v_div_scale_f32 v4, s[2:3], v3, v3, s7
	v_rcp_f32_e32 v5, v4
	v_div_scale_f32 v6, vcc, s7, v3, s7
	s_ashr_i32 s2, s6, 31
	v_fma_f32 v7, -v4, v5, 1.0
	v_fmac_f32_e32 v5, v7, v5
	v_mul_f32_e32 v7, v6, v5
	v_fma_f32 v8, -v4, v7, v6
	v_fmac_f32_e32 v7, v8, v5
	v_fma_f32 v4, -v4, v7, v6
	s_mul_i32 s1, s6, s1
	s_mul_hi_u32 s3, s6, s0
	v_div_fmas_f32 v4, v4, v5, v7
	s_add_i32 s1, s3, s1
	s_mul_i32 s2, s2, s0
	v_div_fixup_f32 v3, v4, v3, s7
	s_add_i32 s4, s1, s2
	v_mul_f32_e32 v2, v3, v2
	s_mul_i32 s2, s6, s0
	s_and_b32 s3, s8, 0xffff
	s_mov_b64 s[0:1], 0
	v_mov_b32_e32 v3, s4
	v_mov_b32_e32 v4, s19
	;; [unrolled: 1-line block ×3, first 2 shown]
.LBB150_30:                             ; =>This Inner Loop Header: Depth=1
	v_ashrrev_i32_e32 v7, 31, v0
	v_add_co_u32_e32 v6, vcc, s2, v0
	v_addc_co_u32_e32 v7, vcc, v3, v7, vcc
	v_add_u32_e32 v0, s3, v0
	v_cmp_le_i32_e32 vcc, s13, v0
	v_lshlrev_b64 v[6:7], 2, v[6:7]
	s_or_b64 s[0:1], vcc, s[0:1]
	v_add_co_u32_e32 v8, vcc, s18, v6
	v_addc_co_u32_e32 v9, vcc, v4, v7, vcc
	v_add_co_u32_e32 v6, vcc, s10, v6
	v_addc_co_u32_e32 v7, vcc, v5, v7, vcc
	global_store_dword v[8:9], v2, off
	global_store_dword v[6:7], v1, off
	s_andn2_b64 exec, exec, s[0:1]
	s_cbranch_execnz .LBB150_30
.LBB150_31:
	s_endpgm
	.section	.rodata,"a",@progbits
	.p2align	6, 0x0
	.amdhsa_kernel _ZN5aiter19grouped_topk_kernelIN3c108BFloat16EDv2_fLi2ELb1ELb1ELb0EEEvPT_PKS4_PfPimiiiif
		.amdhsa_group_segment_fixed_size 0
		.amdhsa_private_segment_fixed_size 0
		.amdhsa_kernarg_size 320
		.amdhsa_user_sgpr_count 6
		.amdhsa_user_sgpr_private_segment_buffer 1
		.amdhsa_user_sgpr_dispatch_ptr 0
		.amdhsa_user_sgpr_queue_ptr 0
		.amdhsa_user_sgpr_kernarg_segment_ptr 1
		.amdhsa_user_sgpr_dispatch_id 0
		.amdhsa_user_sgpr_flat_scratch_init 0
		.amdhsa_user_sgpr_kernarg_preload_length 0
		.amdhsa_user_sgpr_kernarg_preload_offset 0
		.amdhsa_user_sgpr_private_segment_size 0
		.amdhsa_uses_dynamic_stack 0
		.amdhsa_system_sgpr_private_segment_wavefront_offset 0
		.amdhsa_system_sgpr_workgroup_id_x 1
		.amdhsa_system_sgpr_workgroup_id_y 0
		.amdhsa_system_sgpr_workgroup_id_z 0
		.amdhsa_system_sgpr_workgroup_info 0
		.amdhsa_system_vgpr_workitem_id 0
		.amdhsa_next_free_vgpr 24
		.amdhsa_next_free_sgpr 30
		.amdhsa_accum_offset 24
		.amdhsa_reserve_vcc 1
		.amdhsa_reserve_flat_scratch 0
		.amdhsa_float_round_mode_32 0
		.amdhsa_float_round_mode_16_64 0
		.amdhsa_float_denorm_mode_32 3
		.amdhsa_float_denorm_mode_16_64 3
		.amdhsa_dx10_clamp 1
		.amdhsa_ieee_mode 1
		.amdhsa_fp16_overflow 0
		.amdhsa_tg_split 0
		.amdhsa_exception_fp_ieee_invalid_op 0
		.amdhsa_exception_fp_denorm_src 0
		.amdhsa_exception_fp_ieee_div_zero 0
		.amdhsa_exception_fp_ieee_overflow 0
		.amdhsa_exception_fp_ieee_underflow 0
		.amdhsa_exception_fp_ieee_inexact 0
		.amdhsa_exception_int_div_zero 0
	.end_amdhsa_kernel
	.section	.text._ZN5aiter19grouped_topk_kernelIN3c108BFloat16EDv2_fLi2ELb1ELb1ELb0EEEvPT_PKS4_PfPimiiiif,"axG",@progbits,_ZN5aiter19grouped_topk_kernelIN3c108BFloat16EDv2_fLi2ELb1ELb1ELb0EEEvPT_PKS4_PfPimiiiif,comdat
.Lfunc_end150:
	.size	_ZN5aiter19grouped_topk_kernelIN3c108BFloat16EDv2_fLi2ELb1ELb1ELb0EEEvPT_PKS4_PfPimiiiif, .Lfunc_end150-_ZN5aiter19grouped_topk_kernelIN3c108BFloat16EDv2_fLi2ELb1ELb1ELb0EEEvPT_PKS4_PfPimiiiif
                                        ; -- End function
	.section	.AMDGPU.csdata,"",@progbits
; Kernel info:
; codeLenInByte = 2124
; NumSgprs: 34
; NumVgprs: 24
; NumAgprs: 0
; TotalNumVgprs: 24
; ScratchSize: 0
; MemoryBound: 0
; FloatMode: 240
; IeeeMode: 1
; LDSByteSize: 0 bytes/workgroup (compile time only)
; SGPRBlocks: 4
; VGPRBlocks: 2
; NumSGPRsForWavesPerEU: 34
; NumVGPRsForWavesPerEU: 24
; AccumOffset: 24
; Occupancy: 8
; WaveLimiterHint : 0
; COMPUTE_PGM_RSRC2:SCRATCH_EN: 0
; COMPUTE_PGM_RSRC2:USER_SGPR: 6
; COMPUTE_PGM_RSRC2:TRAP_HANDLER: 0
; COMPUTE_PGM_RSRC2:TGID_X_EN: 1
; COMPUTE_PGM_RSRC2:TGID_Y_EN: 0
; COMPUTE_PGM_RSRC2:TGID_Z_EN: 0
; COMPUTE_PGM_RSRC2:TIDIG_COMP_CNT: 0
; COMPUTE_PGM_RSRC3_GFX90A:ACCUM_OFFSET: 5
; COMPUTE_PGM_RSRC3_GFX90A:TG_SPLIT: 0
	.section	.text._ZN5aiter19grouped_topk_kernelIfDv2_fLi2ELb1ELb0ELb1EEEvPT_PKS2_PfPimiiiif,"axG",@progbits,_ZN5aiter19grouped_topk_kernelIfDv2_fLi2ELb1ELb0ELb1EEEvPT_PKS2_PfPimiiiif,comdat
	.protected	_ZN5aiter19grouped_topk_kernelIfDv2_fLi2ELb1ELb0ELb1EEEvPT_PKS2_PfPimiiiif ; -- Begin function _ZN5aiter19grouped_topk_kernelIfDv2_fLi2ELb1ELb0ELb1EEEvPT_PKS2_PfPimiiiif
	.globl	_ZN5aiter19grouped_topk_kernelIfDv2_fLi2ELb1ELb0ELb1EEEvPT_PKS2_PfPimiiiif
	.p2align	8
	.type	_ZN5aiter19grouped_topk_kernelIfDv2_fLi2ELb1ELb0ELb1EEEvPT_PKS2_PfPimiiiif,@function
_ZN5aiter19grouped_topk_kernelIfDv2_fLi2ELb1ELb0ELb1EEEvPT_PKS2_PfPimiiiif: ; @_ZN5aiter19grouped_topk_kernelIfDv2_fLi2ELb1ELb0ELb1EEEvPT_PKS2_PfPimiiiif
; %bb.0:
	s_load_dwordx4 s[8:11], s[4:5], 0x28
	s_load_dwordx4 s[12:15], s[4:5], 0x10
	v_mov_b32_e32 v1, 0xff800000
	s_waitcnt lgkmcnt(0)
	v_cmp_gt_i32_e32 vcc, s8, v0
	s_and_saveexec_b64 s[2:3], vcc
	s_cbranch_execz .LBB151_4
; %bb.1:
	s_load_dword s0, s[4:5], 0x4c
	s_load_dwordx2 s[16:17], s[4:5], 0x0
	s_mul_i32 s7, s6, s8
	v_lshl_add_u32 v2, v0, 2, 0
	s_mov_b64 s[18:19], 0
	s_waitcnt lgkmcnt(0)
	s_and_b32 s11, s0, 0xffff
	s_lshl_b32 s20, s11, 2
	v_mov_b32_e32 v1, 0xff800000
	v_mov_b32_e32 v3, s17
	;; [unrolled: 1-line block ×3, first 2 shown]
.LBB151_2:                              ; =>This Inner Loop Header: Depth=1
	v_add_u32_e32 v6, s7, v4
	v_ashrrev_i32_e32 v7, 31, v6
	v_lshlrev_b64 v[6:7], 2, v[6:7]
	v_add_co_u32_e64 v6, s[0:1], s16, v6
	v_addc_co_u32_e64 v7, s[0:1], v3, v7, s[0:1]
	global_load_dword v5, v[6:7], off
	v_add_u32_e32 v4, s11, v4
	v_cmp_le_i32_e64 s[0:1], s8, v4
	s_or_b64 s[18:19], s[0:1], s[18:19]
	s_waitcnt vmcnt(0)
	v_cmp_gt_f32_e64 s[0:1], v5, v1
	ds_write_b32 v2, v5
	v_cndmask_b32_e64 v1, v1, v5, s[0:1]
	v_add_u32_e32 v2, s20, v2
	s_andn2_b64 exec, exec, s[18:19]
	s_cbranch_execnz .LBB151_2
; %bb.3:
	s_or_b64 exec, exec, s[18:19]
.LBB151_4:
	s_or_b64 exec, exec, s[2:3]
	v_mov_b32_dpp v2, v1 quad_perm:[1,0,3,2] row_mask:0xf bank_mask:0xf
	v_cmp_lt_f32_e64 s[0:1], v1, v2
	v_cndmask_b32_e64 v1, v1, v2, s[0:1]
	v_bfrev_b32_e32 v3, 0.5
	s_waitcnt lgkmcnt(0)
	v_mov_b32_dpp v2, v1 quad_perm:[2,3,0,1] row_mask:0xf bank_mask:0xf
	v_cmp_lt_f32_e64 s[0:1], v1, v2
	v_cndmask_b32_e64 v1, v1, v2, s[0:1]
	s_barrier
	s_nop 0
	v_mov_b32_dpp v2, v1 row_half_mirror row_mask:0xf bank_mask:0xf
	v_cmp_lt_f32_e64 s[0:1], v1, v2
	v_cndmask_b32_e64 v1, v1, v2, s[0:1]
	s_nop 1
	v_mov_b32_dpp v2, v1 row_mirror row_mask:0xf bank_mask:0xf
	v_cmp_lt_f32_e64 s[0:1], v1, v2
	v_cndmask_b32_e64 v1, v1, v2, s[0:1]
	s_nop 1
	v_mov_b32_dpp v2, v1 row_bcast:15 row_mask:0xf bank_mask:0xf
	v_cmp_lt_f32_e64 s[0:1], v1, v2
	v_cndmask_b32_e64 v1, v1, v2, s[0:1]
	s_nop 1
	v_mov_b32_dpp v2, v1 row_bcast:31 row_mask:0xf bank_mask:0xf
	v_cmp_lt_f32_e64 s[0:1], v1, v2
	v_cndmask_b32_e64 v2, v1, v2, s[0:1]
	v_mbcnt_lo_u32_b32 v1, -1, 0
	v_mbcnt_hi_u32_b32 v1, -1, v1
	v_lshl_or_b32 v1, v1, 2, v3
	ds_bpermute_b32 v3, v1, v2
	v_mov_b32_e32 v2, 0
	s_and_saveexec_b64 s[2:3], vcc
	s_cbranch_execz .LBB151_8
; %bb.5:
	s_load_dword s0, s[4:5], 0x4c
	v_lshl_add_u32 v4, v0, 2, 0
	s_mov_b64 s[16:17], 0
	v_mov_b32_e32 v2, 0
	s_mov_b32 s7, 0x3fb8aa3b
	s_waitcnt lgkmcnt(0)
	s_and_b32 s11, s0, 0xffff
	s_lshl_b32 s18, s11, 2
	s_mov_b32 s19, 0xc2ce8ed0
	s_mov_b32 s20, 0x42b17218
	v_mov_b32_e32 v5, 0x7f800000
	v_mov_b32_e32 v6, v0
.LBB151_6:                              ; =>This Inner Loop Header: Depth=1
	ds_read_b32 v7, v4
	v_add_u32_e32 v6, s11, v6
	s_waitcnt lgkmcnt(0)
	v_sub_f32_e32 v7, v7, v3
	v_mul_f32_e32 v8, 0x3fb8aa3b, v7
	v_fma_f32 v9, v7, s7, -v8
	v_rndne_f32_e32 v10, v8
	v_fmac_f32_e32 v9, 0x32a5705f, v7
	v_sub_f32_e32 v8, v8, v10
	v_add_f32_e32 v8, v8, v9
	v_cvt_i32_f32_e32 v10, v10
	v_exp_f32_e32 v8, v8
	v_cmp_ngt_f32_e64 s[0:1], s19, v7
	v_ldexp_f32 v8, v8, v10
	v_cndmask_b32_e64 v8, 0, v8, s[0:1]
	v_cmp_nlt_f32_e64 s[0:1], s20, v7
	v_cndmask_b32_e64 v7, v5, v8, s[0:1]
	v_cmp_le_i32_e64 s[0:1], s8, v6
	ds_write_b32 v4, v7
	v_add_f32_e32 v2, v2, v7
	s_or_b64 s[16:17], s[0:1], s[16:17]
	v_add_u32_e32 v4, s18, v4
	s_andn2_b64 exec, exec, s[16:17]
	s_cbranch_execnz .LBB151_6
; %bb.7:
	s_or_b64 exec, exec, s[16:17]
.LBB151_8:
	s_or_b64 exec, exec, s[2:3]
	s_waitcnt lgkmcnt(0)
	v_mov_b32_dpp v3, v2 quad_perm:[1,0,3,2] row_mask:0xf bank_mask:0xf
	v_add_f32_e32 v2, v2, v3
	s_barrier
	s_nop 0
	v_mov_b32_dpp v3, v2 quad_perm:[2,3,0,1] row_mask:0xf bank_mask:0xf
	v_add_f32_e32 v2, v2, v3
	s_nop 1
	v_mov_b32_dpp v3, v2 row_half_mirror row_mask:0xf bank_mask:0xf
	v_add_f32_e32 v2, v2, v3
	s_nop 1
	v_mov_b32_dpp v3, v2 row_mirror row_mask:0xf bank_mask:0xf
	v_add_f32_e32 v2, v2, v3
	s_nop 1
	v_mov_b32_dpp v3, v2 row_bcast:15 row_mask:0xf bank_mask:0xf
	v_add_f32_e32 v2, v2, v3
	s_nop 1
	v_mov_b32_dpp v3, v2 row_bcast:31 row_mask:0xf bank_mask:0xf
	v_add_f32_e32 v2, v2, v3
	ds_bpermute_b32 v1, v1, v2
	s_and_saveexec_b64 s[0:1], vcc
	s_cbranch_execz .LBB151_11
; %bb.9:
	s_load_dword s7, s[4:5], 0x4c
	v_lshl_add_u32 v2, v0, 2, 0
	s_mov_b64 s[2:3], 0
	v_mov_b32_e32 v3, v0
	s_waitcnt lgkmcnt(0)
	s_and_b32 s7, s7, 0xffff
	s_lshl_b32 s11, s7, 2
.LBB151_10:                             ; =>This Inner Loop Header: Depth=1
	ds_read_b32 v4, v2
	v_add_u32_e32 v3, s7, v3
	v_cmp_le_i32_e32 vcc, s8, v3
	s_or_b64 s[2:3], vcc, s[2:3]
	s_waitcnt lgkmcnt(0)
	v_div_scale_f32 v5, s[16:17], v1, v1, v4
	v_rcp_f32_e32 v6, v5
	v_div_scale_f32 v7, vcc, v4, v1, v4
	v_fma_f32 v8, -v5, v6, 1.0
	v_fmac_f32_e32 v6, v8, v6
	v_mul_f32_e32 v8, v7, v6
	v_fma_f32 v9, -v5, v8, v7
	v_fmac_f32_e32 v8, v9, v6
	v_fma_f32 v5, -v5, v8, v7
	v_div_fmas_f32 v5, v5, v6, v8
	v_div_fixup_f32 v4, v5, v1, v4
	ds_write_b32 v2, v4
	v_add_u32_e32 v2, s11, v2
	s_andn2_b64 exec, exec, s[2:3]
	s_cbranch_execnz .LBB151_10
.LBB151_11:
	s_or_b64 exec, exec, s[0:1]
	s_lshr_b32 s0, s8, 31
	s_add_i32 s0, s8, s0
	s_ashr_i32 s7, s0, 1
	s_lshl_b32 s0, s8, 2
	s_add_i32 s20, s0, 0
	v_cmp_gt_u32_e32 vcc, 2, v0
	s_waitcnt lgkmcnt(0)
	s_barrier
	s_and_saveexec_b64 s[2:3], vcc
	s_cbranch_execz .LBB151_18
; %bb.12:
	s_load_dword s0, s[4:5], 0x4c
	v_mul_lo_u32 v1, v0, s7
	v_lshl_add_u32 v1, v1, 2, 0
	s_mov_b64 s[16:17], 0
	s_waitcnt lgkmcnt(0)
	s_and_b32 s11, s0, 0xffff
	s_cmp_gt_i32 s8, 1
	s_cselect_b64 s[0:1], -1, 0
	s_mul_i32 s8, s7, s11
	v_cndmask_b32_e64 v2, 0, 1, s[0:1]
	s_lshl_b32 s8, s8, 2
	v_cmp_ne_u32_e64 s[0:1], 1, v2
	v_mov_b32_e32 v2, v0
	s_branch .LBB151_14
.LBB151_13:                             ;   in Loop: Header=BB151_14 Depth=1
	v_lshl_add_u32 v4, v2, 2, s20
	v_add_u32_e32 v2, s11, v2
	v_cmp_lt_u32_e32 vcc, 1, v2
	s_or_b64 s[16:17], vcc, s[16:17]
	v_add_u32_e32 v1, s8, v1
	ds_write_b32 v4, v3
	s_andn2_b64 exec, exec, s[16:17]
	s_cbranch_execz .LBB151_18
.LBB151_14:                             ; =>This Loop Header: Depth=1
                                        ;     Child Loop BB151_16 Depth 2
	s_and_b64 vcc, exec, s[0:1]
	v_mov_b32_e32 v3, 0xff800000
	s_cbranch_vccnz .LBB151_13
; %bb.15:                               ;   in Loop: Header=BB151_14 Depth=1
	v_mul_lo_u32 v4, v2, s7
	v_add_u32_e32 v5, s7, v4
	s_mov_b64 s[18:19], 0
	v_mov_b32_e32 v3, 0xff800000
	v_mov_b32_e32 v6, v1
.LBB151_16:                             ;   Parent Loop BB151_14 Depth=1
                                        ; =>  This Inner Loop Header: Depth=2
	ds_read_b32 v7, v6
	v_add_u32_e32 v4, 1, v4
	v_cmp_ge_i32_e32 vcc, v4, v5
	s_or_b64 s[18:19], vcc, s[18:19]
	v_add_u32_e32 v6, 4, v6
	s_waitcnt lgkmcnt(0)
	v_cmp_gt_f32_e32 vcc, v7, v3
	v_cndmask_b32_e32 v3, v3, v7, vcc
	s_andn2_b64 exec, exec, s[18:19]
	s_cbranch_execnz .LBB151_16
; %bb.17:                               ;   in Loop: Header=BB151_14 Depth=1
	s_or_b64 exec, exec, s[18:19]
	s_branch .LBB151_13
.LBB151_18:
	s_or_b64 exec, exec, s[2:3]
	s_cmp_lt_i32 s10, 1
	s_waitcnt lgkmcnt(0)
	s_barrier
	s_cbranch_scc1 .LBB151_21
; %bb.19:
	v_mov_b32_e32 v1, s20
	s_mov_b32 s0, 0xff800000
	v_mov_b32_e32 v2, 0xff800000
.LBB151_20:                             ; =>This Inner Loop Header: Depth=1
	ds_read2_b32 v[4:5], v1 offset1:1
	s_add_i32 s10, s10, -1
	s_cmp_lg_u32 s10, 0
	s_waitcnt lgkmcnt(0)
	v_cmp_nlg_f32_e32 vcc, s0, v4
	v_cndmask_b32_e64 v3, 0, 1, vcc
	v_cmp_lg_f32_e32 vcc, s0, v4
	v_cndmask_b32_e32 v4, v2, v4, vcc
	v_lshlrev_b32_e32 v3, 1, v3
	v_cmp_ngt_f32_e32 vcc, v5, v4
	v_cndmask_b32_e32 v3, 1, v3, vcc
	v_lshlrev_b32_e32 v3, 2, v3
	v_add_u32_e32 v3, s20, v3
	ds_write_b32 v3, v2
	s_cbranch_scc1 .LBB151_20
.LBB151_21:
	v_cmp_gt_i32_e32 vcc, s7, v0
	v_lshlrev_b32_e32 v4, 1, v0
	v_lshl_add_u32 v5, v0, 3, 0
	s_and_saveexec_b64 s[2:3], vcc
	s_cbranch_execz .LBB151_26
; %bb.22:
	s_abs_i32 s8, s7
	v_cvt_f32_u32_e32 v2, s8
	s_load_dword s0, s[4:5], 0x4c
	s_sub_i32 s1, 0, s8
	s_ashr_i32 s18, s7, 31
	v_rcp_iflag_f32_e32 v2, v2
	v_lshlrev_b32_e32 v1, 1, v0
	s_waitcnt lgkmcnt(0)
	s_and_b32 s19, s0, 0xffff
	v_lshl_add_u32 v6, v0, 3, 0
	v_mul_f32_e32 v2, 0x4f7ffffe, v2
	v_cvt_u32_f32_e32 v2, v2
	s_mov_b64 s[10:11], 0
	s_lshl_b32 s21, s19, 1
	s_lshl_b32 s22, s19, 3
	v_mul_lo_u32 v3, s1, v2
	v_mul_hi_u32 v3, v2, v3
	v_add_u32_e32 v7, v2, v3
	s_mov_b32 s23, 0xff800000
	v_mov_b32_e32 v2, 0xff800000
	v_mov_b32_e32 v8, v0
	s_branch .LBB151_24
.LBB151_23:                             ;   in Loop: Header=BB151_24 Depth=1
	s_or_b64 exec, exec, s[16:17]
	v_add_u32_e32 v8, s19, v8
	v_cmp_le_i32_e64 s[0:1], s7, v8
	v_add_u32_e32 v1, s21, v1
	s_or_b64 s[10:11], s[0:1], s[10:11]
	v_add_u32_e32 v6, s22, v6
	s_andn2_b64 exec, exec, s[10:11]
	s_cbranch_execz .LBB151_26
.LBB151_24:                             ; =>This Inner Loop Header: Depth=1
	v_mul_hi_u32 v3, v1, v7
	v_mul_lo_u32 v9, v3, s8
	v_sub_u32_e32 v9, v1, v9
	v_add_u32_e32 v10, 1, v3
	v_cmp_le_u32_e64 s[0:1], s8, v9
	v_cndmask_b32_e64 v3, v3, v10, s[0:1]
	v_subrev_u32_e32 v10, s8, v9
	v_cndmask_b32_e64 v9, v9, v10, s[0:1]
	v_add_u32_e32 v10, 1, v3
	v_cmp_le_u32_e64 s[0:1], s8, v9
	v_cndmask_b32_e64 v3, v3, v10, s[0:1]
	v_xor_b32_e32 v3, s18, v3
	v_subrev_u32_e32 v3, s18, v3
	v_lshl_add_u32 v3, v3, 2, s20
	ds_read_b32 v3, v3
	s_waitcnt lgkmcnt(0)
	v_cmp_neq_f32_e64 s[0:1], s23, v3
	s_and_saveexec_b64 s[16:17], s[0:1]
	s_cbranch_execz .LBB151_23
; %bb.25:                               ;   in Loop: Header=BB151_24 Depth=1
	v_mov_b32_e32 v3, v2
	ds_write_b64 v6, v[2:3]
	s_branch .LBB151_23
.LBB151_26:
	s_or_b64 exec, exec, s[2:3]
	s_cmp_lt_i32 s9, 1
	s_waitcnt lgkmcnt(0)
	s_barrier
	s_cbranch_scc1 .LBB151_33
; %bb.27:
	s_add_u32 s2, s4, 64
	s_addc_u32 s3, s5, 0
	s_mov_b32 s8, 0
	v_mov_b32_e32 v2, 0
	v_mov_b32_e32 v6, 0xff800000
                                        ; implicit-def: $vgpr3
                                        ; implicit-def: $vgpr1
	s_branch .LBB151_29
.LBB151_28:                             ;   in Loop: Header=BB151_29 Depth=1
	s_or_b64 exec, exec, s[10:11]
	v_mov_b32_dpp v10, v8 quad_perm:[1,0,3,2] row_mask:0xf bank_mask:0xf
	v_cmp_lt_f32_e64 s[0:1], v8, v10
	v_cndmask_b32_e64 v8, v8, v10, s[0:1]
	v_mov_b32_dpp v9, v7 quad_perm:[1,0,3,2] row_mask:0xf bank_mask:0xf
	v_cndmask_b32_e64 v7, v7, v9, s[0:1]
	v_mov_b32_dpp v10, v8 quad_perm:[2,3,0,1] row_mask:0xf bank_mask:0xf
	v_cmp_gt_f32_e64 s[0:1], v10, v8
	v_cndmask_b32_e64 v8, v8, v10, s[0:1]
	v_mov_b32_dpp v9, v7 quad_perm:[2,3,0,1] row_mask:0xf bank_mask:0xf
	v_cndmask_b32_e64 v7, v7, v9, s[0:1]
	v_mov_b32_dpp v10, v8 row_half_mirror row_mask:0xf bank_mask:0xf
	v_cmp_gt_f32_e64 s[0:1], v10, v8
	v_cndmask_b32_e64 v8, v8, v10, s[0:1]
	v_mov_b32_dpp v9, v7 row_half_mirror row_mask:0xf bank_mask:0xf
	v_cndmask_b32_e64 v7, v7, v9, s[0:1]
	v_mov_b32_dpp v10, v8 row_mirror row_mask:0xf bank_mask:0xf
	v_cmp_gt_f32_e64 s[0:1], v10, v8
	v_cndmask_b32_e64 v8, v8, v10, s[0:1]
	v_mov_b32_dpp v9, v7 row_mirror row_mask:0xf bank_mask:0xf
	v_cndmask_b32_e64 v7, v7, v9, s[0:1]
	v_mov_b32_dpp v10, v8 row_bcast:15 row_mask:0xf bank_mask:0xf
	v_cmp_gt_f32_e64 s[0:1], v10, v8
	v_mov_b32_dpp v9, v7 row_bcast:15 row_mask:0xf bank_mask:0xf
	v_cndmask_b32_e64 v8, v8, v10, s[0:1]
	v_cndmask_b32_e64 v7, v7, v9, s[0:1]
	s_nop 0
	v_mov_b32_dpp v10, v8 row_bcast:31 row_mask:0xf bank_mask:0xf
	v_mov_b32_dpp v9, v7 row_bcast:31 row_mask:0xf bank_mask:0xf
	v_cmp_gt_f32_e64 s[0:1], v10, v8
	v_cndmask_b32_e64 v7, v7, v9, s[0:1]
	v_cndmask_b32_e64 v8, v8, v10, s[0:1]
	v_readlane_b32 s0, v7, 63
	s_lshl_b32 s1, s0, 2
	s_add_i32 s1, s1, 0
	v_mov_b32_e32 v7, s1
	v_readlane_b32 s10, v8, 63
	ds_write_b32 v7, v6
	v_mov_b32_e32 v7, s0
	v_cmp_eq_u32_e64 s[0:1], s8, v0
	v_cndmask_b32_e64 v1, v1, v7, s[0:1]
	v_mov_b32_e32 v7, s10
	s_add_i32 s8, s8, 1
	v_cndmask_b32_e64 v3, v3, v7, s[0:1]
	s_cmp_eq_u32 s8, s9
	v_add_f32_e32 v2, s10, v2
	s_cbranch_scc1 .LBB151_34
.LBB151_29:                             ; =>This Loop Header: Depth=1
                                        ;     Child Loop BB151_31 Depth 2
	v_mov_b32_e32 v7, s8
	v_mov_b32_e32 v8, 0xff800000
	s_and_saveexec_b64 s[10:11], vcc
	s_cbranch_execz .LBB151_28
; %bb.30:                               ;   in Loop: Header=BB151_29 Depth=1
	s_load_dword s0, s[2:3], 0xc
	s_mov_b64 s[16:17], 0
	v_mov_b32_e32 v7, s8
	v_mov_b32_e32 v8, 0xff800000
	;; [unrolled: 1-line block ×3, first 2 shown]
	s_waitcnt lgkmcnt(0)
	s_and_b32 s18, s0, 0xffff
	s_lshl_b32 s19, s18, 1
	s_lshl_b32 s20, s18, 3
	v_mov_b32_e32 v10, v4
	v_mov_b32_e32 v11, v0
.LBB151_31:                             ;   Parent Loop BB151_29 Depth=1
                                        ; =>  This Inner Loop Header: Depth=2
	ds_read_b64 v[12:13], v9
	v_add_u32_e32 v11, s18, v11
	v_cmp_le_i32_e64 s[0:1], s7, v11
	s_or_b64 s[16:17], s[0:1], s[16:17]
	v_add_u32_e32 v14, 1, v10
	s_waitcnt lgkmcnt(0)
	v_cmp_gt_f32_e64 s[0:1], v12, v8
	v_cndmask_b32_e64 v8, v8, v12, s[0:1]
	v_cndmask_b32_e64 v7, v7, v10, s[0:1]
	v_cmp_gt_f32_e64 s[0:1], v13, v8
	v_add_u32_e32 v9, s20, v9
	v_cndmask_b32_e64 v8, v8, v13, s[0:1]
	v_add_u32_e32 v10, s19, v10
	v_cndmask_b32_e64 v7, v7, v14, s[0:1]
	s_andn2_b64 exec, exec, s[16:17]
	s_cbranch_execnz .LBB151_31
; %bb.32:                               ;   in Loop: Header=BB151_29 Depth=1
	s_or_b64 exec, exec, s[16:17]
	s_branch .LBB151_28
.LBB151_33:
	v_mov_b32_e32 v2, 0
                                        ; implicit-def: $vgpr3
                                        ; implicit-def: $vgpr1
.LBB151_34:
	v_cmp_gt_i32_e32 vcc, s9, v0
	s_and_saveexec_b64 s[0:1], vcc
	s_cbranch_execz .LBB151_37
; %bb.35:
	s_load_dword s7, s[4:5], 0x38
	s_load_dwordx2 s[0:1], s[4:5], 0x20
	s_load_dword s8, s[4:5], 0x4c
	s_waitcnt lgkmcnt(0)
	v_div_scale_f32 v4, s[2:3], v2, v2, s7
	v_rcp_f32_e32 v5, v4
	v_div_scale_f32 v6, vcc, s7, v2, s7
	s_ashr_i32 s2, s6, 31
	v_fma_f32 v7, -v4, v5, 1.0
	v_fmac_f32_e32 v5, v7, v5
	v_mul_f32_e32 v7, v6, v5
	v_fma_f32 v8, -v4, v7, v6
	v_fmac_f32_e32 v7, v8, v5
	v_fma_f32 v4, -v4, v7, v6
	s_mul_i32 s1, s6, s1
	s_mul_hi_u32 s3, s6, s0
	v_div_fmas_f32 v4, v4, v5, v7
	s_add_i32 s1, s3, s1
	s_mul_i32 s2, s2, s0
	v_div_fixup_f32 v2, v4, v2, s7
	s_add_i32 s4, s1, s2
	v_mul_f32_e32 v2, v2, v3
	s_mul_i32 s2, s6, s0
	s_and_b32 s3, s8, 0xffff
	s_mov_b64 s[0:1], 0
	v_mov_b32_e32 v3, s4
	v_mov_b32_e32 v4, s13
	;; [unrolled: 1-line block ×3, first 2 shown]
.LBB151_36:                             ; =>This Inner Loop Header: Depth=1
	v_ashrrev_i32_e32 v7, 31, v0
	v_add_co_u32_e32 v6, vcc, s2, v0
	v_addc_co_u32_e32 v7, vcc, v3, v7, vcc
	v_add_u32_e32 v0, s3, v0
	v_cmp_le_i32_e32 vcc, s9, v0
	v_lshlrev_b64 v[6:7], 2, v[6:7]
	s_or_b64 s[0:1], vcc, s[0:1]
	v_add_co_u32_e32 v8, vcc, s12, v6
	v_addc_co_u32_e32 v9, vcc, v4, v7, vcc
	v_add_co_u32_e32 v6, vcc, s14, v6
	v_addc_co_u32_e32 v7, vcc, v5, v7, vcc
	global_store_dword v[8:9], v2, off
	global_store_dword v[6:7], v1, off
	s_andn2_b64 exec, exec, s[0:1]
	s_cbranch_execnz .LBB151_36
.LBB151_37:
	s_endpgm
	.section	.rodata,"a",@progbits
	.p2align	6, 0x0
	.amdhsa_kernel _ZN5aiter19grouped_topk_kernelIfDv2_fLi2ELb1ELb0ELb1EEEvPT_PKS2_PfPimiiiif
		.amdhsa_group_segment_fixed_size 0
		.amdhsa_private_segment_fixed_size 0
		.amdhsa_kernarg_size 320
		.amdhsa_user_sgpr_count 6
		.amdhsa_user_sgpr_private_segment_buffer 1
		.amdhsa_user_sgpr_dispatch_ptr 0
		.amdhsa_user_sgpr_queue_ptr 0
		.amdhsa_user_sgpr_kernarg_segment_ptr 1
		.amdhsa_user_sgpr_dispatch_id 0
		.amdhsa_user_sgpr_flat_scratch_init 0
		.amdhsa_user_sgpr_kernarg_preload_length 0
		.amdhsa_user_sgpr_kernarg_preload_offset 0
		.amdhsa_user_sgpr_private_segment_size 0
		.amdhsa_uses_dynamic_stack 0
		.amdhsa_system_sgpr_private_segment_wavefront_offset 0
		.amdhsa_system_sgpr_workgroup_id_x 1
		.amdhsa_system_sgpr_workgroup_id_y 0
		.amdhsa_system_sgpr_workgroup_id_z 0
		.amdhsa_system_sgpr_workgroup_info 0
		.amdhsa_system_vgpr_workitem_id 0
		.amdhsa_next_free_vgpr 15
		.amdhsa_next_free_sgpr 24
		.amdhsa_accum_offset 16
		.amdhsa_reserve_vcc 1
		.amdhsa_reserve_flat_scratch 0
		.amdhsa_float_round_mode_32 0
		.amdhsa_float_round_mode_16_64 0
		.amdhsa_float_denorm_mode_32 3
		.amdhsa_float_denorm_mode_16_64 3
		.amdhsa_dx10_clamp 1
		.amdhsa_ieee_mode 1
		.amdhsa_fp16_overflow 0
		.amdhsa_tg_split 0
		.amdhsa_exception_fp_ieee_invalid_op 0
		.amdhsa_exception_fp_denorm_src 0
		.amdhsa_exception_fp_ieee_div_zero 0
		.amdhsa_exception_fp_ieee_overflow 0
		.amdhsa_exception_fp_ieee_underflow 0
		.amdhsa_exception_fp_ieee_inexact 0
		.amdhsa_exception_int_div_zero 0
	.end_amdhsa_kernel
	.section	.text._ZN5aiter19grouped_topk_kernelIfDv2_fLi2ELb1ELb0ELb1EEEvPT_PKS2_PfPimiiiif,"axG",@progbits,_ZN5aiter19grouped_topk_kernelIfDv2_fLi2ELb1ELb0ELb1EEEvPT_PKS2_PfPimiiiif,comdat
.Lfunc_end151:
	.size	_ZN5aiter19grouped_topk_kernelIfDv2_fLi2ELb1ELb0ELb1EEEvPT_PKS2_PfPimiiiif, .Lfunc_end151-_ZN5aiter19grouped_topk_kernelIfDv2_fLi2ELb1ELb0ELb1EEEvPT_PKS2_PfPimiiiif
                                        ; -- End function
	.section	.AMDGPU.csdata,"",@progbits
; Kernel info:
; codeLenInByte = 2412
; NumSgprs: 28
; NumVgprs: 15
; NumAgprs: 0
; TotalNumVgprs: 15
; ScratchSize: 0
; MemoryBound: 0
; FloatMode: 240
; IeeeMode: 1
; LDSByteSize: 0 bytes/workgroup (compile time only)
; SGPRBlocks: 3
; VGPRBlocks: 1
; NumSGPRsForWavesPerEU: 28
; NumVGPRsForWavesPerEU: 15
; AccumOffset: 16
; Occupancy: 8
; WaveLimiterHint : 0
; COMPUTE_PGM_RSRC2:SCRATCH_EN: 0
; COMPUTE_PGM_RSRC2:USER_SGPR: 6
; COMPUTE_PGM_RSRC2:TRAP_HANDLER: 0
; COMPUTE_PGM_RSRC2:TGID_X_EN: 1
; COMPUTE_PGM_RSRC2:TGID_Y_EN: 0
; COMPUTE_PGM_RSRC2:TGID_Z_EN: 0
; COMPUTE_PGM_RSRC2:TIDIG_COMP_CNT: 0
; COMPUTE_PGM_RSRC3_GFX90A:ACCUM_OFFSET: 3
; COMPUTE_PGM_RSRC3_GFX90A:TG_SPLIT: 0
	.section	.text._ZN5aiter19grouped_topk_kernelIN3c104HalfEDv2_fLi2ELb1ELb0ELb1EEEvPT_PKS4_PfPimiiiif,"axG",@progbits,_ZN5aiter19grouped_topk_kernelIN3c104HalfEDv2_fLi2ELb1ELb0ELb1EEEvPT_PKS4_PfPimiiiif,comdat
	.protected	_ZN5aiter19grouped_topk_kernelIN3c104HalfEDv2_fLi2ELb1ELb0ELb1EEEvPT_PKS4_PfPimiiiif ; -- Begin function _ZN5aiter19grouped_topk_kernelIN3c104HalfEDv2_fLi2ELb1ELb0ELb1EEEvPT_PKS4_PfPimiiiif
	.globl	_ZN5aiter19grouped_topk_kernelIN3c104HalfEDv2_fLi2ELb1ELb0ELb1EEEvPT_PKS4_PfPimiiiif
	.p2align	8
	.type	_ZN5aiter19grouped_topk_kernelIN3c104HalfEDv2_fLi2ELb1ELb0ELb1EEEvPT_PKS4_PfPimiiiif,@function
_ZN5aiter19grouped_topk_kernelIN3c104HalfEDv2_fLi2ELb1ELb0ELb1EEEvPT_PKS4_PfPimiiiif: ; @_ZN5aiter19grouped_topk_kernelIN3c104HalfEDv2_fLi2ELb1ELb0ELb1EEEvPT_PKS4_PfPimiiiif
; %bb.0:
	s_load_dwordx4 s[8:11], s[4:5], 0x28
	s_load_dwordx4 s[12:15], s[4:5], 0x10
	v_mov_b32_e32 v1, 0xff800000
	s_waitcnt lgkmcnt(0)
	v_cmp_gt_i32_e32 vcc, s8, v0
	s_and_saveexec_b64 s[2:3], vcc
	s_cbranch_execz .LBB152_4
; %bb.1:
	s_load_dword s0, s[4:5], 0x4c
	s_load_dwordx2 s[16:17], s[4:5], 0x0
	s_mul_i32 s7, s6, s8
	v_lshl_add_u32 v2, v0, 2, 0
	s_mov_b64 s[18:19], 0
	s_waitcnt lgkmcnt(0)
	s_and_b32 s11, s0, 0xffff
	s_lshl_b32 s20, s11, 2
	v_mov_b32_e32 v1, 0xff800000
	v_mov_b32_e32 v3, s17
	;; [unrolled: 1-line block ×3, first 2 shown]
.LBB152_2:                              ; =>This Inner Loop Header: Depth=1
	v_add_u32_e32 v6, s7, v4
	v_ashrrev_i32_e32 v7, 31, v6
	v_lshlrev_b64 v[6:7], 1, v[6:7]
	v_add_co_u32_e64 v6, s[0:1], s16, v6
	v_addc_co_u32_e64 v7, s[0:1], v3, v7, s[0:1]
	global_load_ushort v5, v[6:7], off
	v_add_u32_e32 v4, s11, v4
	v_cmp_le_i32_e64 s[0:1], s8, v4
	s_or_b64 s[18:19], s[0:1], s[18:19]
	s_waitcnt vmcnt(0)
	v_cvt_f32_f16_e32 v5, v5
	v_cmp_lt_f32_e64 s[0:1], v1, v5
	ds_write_b32 v2, v5
	v_cndmask_b32_e64 v1, v1, v5, s[0:1]
	v_add_u32_e32 v2, s20, v2
	s_andn2_b64 exec, exec, s[18:19]
	s_cbranch_execnz .LBB152_2
; %bb.3:
	s_or_b64 exec, exec, s[18:19]
.LBB152_4:
	s_or_b64 exec, exec, s[2:3]
	v_mov_b32_dpp v2, v1 quad_perm:[1,0,3,2] row_mask:0xf bank_mask:0xf
	v_cmp_lt_f32_e64 s[0:1], v1, v2
	v_cndmask_b32_e64 v1, v1, v2, s[0:1]
	v_bfrev_b32_e32 v3, 0.5
	s_waitcnt lgkmcnt(0)
	v_mov_b32_dpp v2, v1 quad_perm:[2,3,0,1] row_mask:0xf bank_mask:0xf
	v_cmp_lt_f32_e64 s[0:1], v1, v2
	v_cndmask_b32_e64 v1, v1, v2, s[0:1]
	s_barrier
	s_nop 0
	v_mov_b32_dpp v2, v1 row_half_mirror row_mask:0xf bank_mask:0xf
	v_cmp_lt_f32_e64 s[0:1], v1, v2
	v_cndmask_b32_e64 v1, v1, v2, s[0:1]
	s_nop 1
	v_mov_b32_dpp v2, v1 row_mirror row_mask:0xf bank_mask:0xf
	v_cmp_lt_f32_e64 s[0:1], v1, v2
	v_cndmask_b32_e64 v1, v1, v2, s[0:1]
	s_nop 1
	v_mov_b32_dpp v2, v1 row_bcast:15 row_mask:0xf bank_mask:0xf
	v_cmp_lt_f32_e64 s[0:1], v1, v2
	v_cndmask_b32_e64 v1, v1, v2, s[0:1]
	s_nop 1
	v_mov_b32_dpp v2, v1 row_bcast:31 row_mask:0xf bank_mask:0xf
	v_cmp_lt_f32_e64 s[0:1], v1, v2
	v_cndmask_b32_e64 v2, v1, v2, s[0:1]
	v_mbcnt_lo_u32_b32 v1, -1, 0
	v_mbcnt_hi_u32_b32 v1, -1, v1
	v_lshl_or_b32 v1, v1, 2, v3
	ds_bpermute_b32 v3, v1, v2
	v_mov_b32_e32 v2, 0
	s_and_saveexec_b64 s[2:3], vcc
	s_cbranch_execz .LBB152_8
; %bb.5:
	s_load_dword s0, s[4:5], 0x4c
	v_lshl_add_u32 v4, v0, 2, 0
	s_mov_b64 s[16:17], 0
	v_mov_b32_e32 v2, 0
	s_mov_b32 s7, 0x3fb8aa3b
	s_waitcnt lgkmcnt(0)
	s_and_b32 s11, s0, 0xffff
	s_lshl_b32 s18, s11, 2
	s_mov_b32 s19, 0xc2ce8ed0
	s_mov_b32 s20, 0x42b17218
	v_mov_b32_e32 v5, 0x7f800000
	v_mov_b32_e32 v6, v0
.LBB152_6:                              ; =>This Inner Loop Header: Depth=1
	ds_read_b32 v7, v4
	v_add_u32_e32 v6, s11, v6
	s_waitcnt lgkmcnt(0)
	v_sub_f32_e32 v7, v7, v3
	v_mul_f32_e32 v8, 0x3fb8aa3b, v7
	v_fma_f32 v9, v7, s7, -v8
	v_rndne_f32_e32 v10, v8
	v_fmac_f32_e32 v9, 0x32a5705f, v7
	v_sub_f32_e32 v8, v8, v10
	v_add_f32_e32 v8, v8, v9
	v_cvt_i32_f32_e32 v10, v10
	v_exp_f32_e32 v8, v8
	v_cmp_ngt_f32_e64 s[0:1], s19, v7
	v_ldexp_f32 v8, v8, v10
	v_cndmask_b32_e64 v8, 0, v8, s[0:1]
	v_cmp_nlt_f32_e64 s[0:1], s20, v7
	v_cndmask_b32_e64 v7, v5, v8, s[0:1]
	v_cmp_le_i32_e64 s[0:1], s8, v6
	ds_write_b32 v4, v7
	v_add_f32_e32 v2, v2, v7
	s_or_b64 s[16:17], s[0:1], s[16:17]
	v_add_u32_e32 v4, s18, v4
	s_andn2_b64 exec, exec, s[16:17]
	s_cbranch_execnz .LBB152_6
; %bb.7:
	s_or_b64 exec, exec, s[16:17]
.LBB152_8:
	s_or_b64 exec, exec, s[2:3]
	s_waitcnt lgkmcnt(0)
	v_mov_b32_dpp v3, v2 quad_perm:[1,0,3,2] row_mask:0xf bank_mask:0xf
	v_add_f32_e32 v2, v2, v3
	s_barrier
	s_nop 0
	v_mov_b32_dpp v3, v2 quad_perm:[2,3,0,1] row_mask:0xf bank_mask:0xf
	v_add_f32_e32 v2, v2, v3
	s_nop 1
	v_mov_b32_dpp v3, v2 row_half_mirror row_mask:0xf bank_mask:0xf
	v_add_f32_e32 v2, v2, v3
	s_nop 1
	v_mov_b32_dpp v3, v2 row_mirror row_mask:0xf bank_mask:0xf
	v_add_f32_e32 v2, v2, v3
	s_nop 1
	v_mov_b32_dpp v3, v2 row_bcast:15 row_mask:0xf bank_mask:0xf
	v_add_f32_e32 v2, v2, v3
	s_nop 1
	v_mov_b32_dpp v3, v2 row_bcast:31 row_mask:0xf bank_mask:0xf
	v_add_f32_e32 v2, v2, v3
	ds_bpermute_b32 v1, v1, v2
	s_and_saveexec_b64 s[0:1], vcc
	s_cbranch_execz .LBB152_11
; %bb.9:
	s_load_dword s7, s[4:5], 0x4c
	v_lshl_add_u32 v2, v0, 2, 0
	s_mov_b64 s[2:3], 0
	v_mov_b32_e32 v3, v0
	s_waitcnt lgkmcnt(0)
	s_and_b32 s7, s7, 0xffff
	s_lshl_b32 s11, s7, 2
.LBB152_10:                             ; =>This Inner Loop Header: Depth=1
	ds_read_b32 v4, v2
	v_add_u32_e32 v3, s7, v3
	v_cmp_le_i32_e32 vcc, s8, v3
	s_or_b64 s[2:3], vcc, s[2:3]
	s_waitcnt lgkmcnt(0)
	v_div_scale_f32 v5, s[16:17], v1, v1, v4
	v_rcp_f32_e32 v6, v5
	v_div_scale_f32 v7, vcc, v4, v1, v4
	v_fma_f32 v8, -v5, v6, 1.0
	v_fmac_f32_e32 v6, v8, v6
	v_mul_f32_e32 v8, v7, v6
	v_fma_f32 v9, -v5, v8, v7
	v_fmac_f32_e32 v8, v9, v6
	v_fma_f32 v5, -v5, v8, v7
	v_div_fmas_f32 v5, v5, v6, v8
	v_div_fixup_f32 v4, v5, v1, v4
	ds_write_b32 v2, v4
	v_add_u32_e32 v2, s11, v2
	s_andn2_b64 exec, exec, s[2:3]
	s_cbranch_execnz .LBB152_10
.LBB152_11:
	s_or_b64 exec, exec, s[0:1]
	s_lshr_b32 s0, s8, 31
	s_add_i32 s0, s8, s0
	s_ashr_i32 s7, s0, 1
	s_lshl_b32 s0, s8, 2
	s_add_i32 s20, s0, 0
	v_cmp_gt_u32_e32 vcc, 2, v0
	s_waitcnt lgkmcnt(0)
	s_barrier
	s_and_saveexec_b64 s[2:3], vcc
	s_cbranch_execz .LBB152_18
; %bb.12:
	s_load_dword s0, s[4:5], 0x4c
	v_mul_lo_u32 v1, v0, s7
	v_lshl_add_u32 v1, v1, 2, 0
	s_mov_b64 s[16:17], 0
	s_waitcnt lgkmcnt(0)
	s_and_b32 s11, s0, 0xffff
	s_cmp_gt_i32 s8, 1
	s_cselect_b64 s[0:1], -1, 0
	s_mul_i32 s8, s7, s11
	v_cndmask_b32_e64 v2, 0, 1, s[0:1]
	s_lshl_b32 s8, s8, 2
	v_cmp_ne_u32_e64 s[0:1], 1, v2
	v_mov_b32_e32 v2, v0
	s_branch .LBB152_14
.LBB152_13:                             ;   in Loop: Header=BB152_14 Depth=1
	v_lshl_add_u32 v4, v2, 2, s20
	v_add_u32_e32 v2, s11, v2
	v_cmp_lt_u32_e32 vcc, 1, v2
	s_or_b64 s[16:17], vcc, s[16:17]
	v_add_u32_e32 v1, s8, v1
	ds_write_b32 v4, v3
	s_andn2_b64 exec, exec, s[16:17]
	s_cbranch_execz .LBB152_18
.LBB152_14:                             ; =>This Loop Header: Depth=1
                                        ;     Child Loop BB152_16 Depth 2
	s_and_b64 vcc, exec, s[0:1]
	v_mov_b32_e32 v3, 0xff800000
	s_cbranch_vccnz .LBB152_13
; %bb.15:                               ;   in Loop: Header=BB152_14 Depth=1
	v_mul_lo_u32 v4, v2, s7
	v_add_u32_e32 v5, s7, v4
	s_mov_b64 s[18:19], 0
	v_mov_b32_e32 v3, 0xff800000
	v_mov_b32_e32 v6, v1
.LBB152_16:                             ;   Parent Loop BB152_14 Depth=1
                                        ; =>  This Inner Loop Header: Depth=2
	ds_read_b32 v7, v6
	v_add_u32_e32 v4, 1, v4
	v_cmp_ge_i32_e32 vcc, v4, v5
	s_or_b64 s[18:19], vcc, s[18:19]
	v_add_u32_e32 v6, 4, v6
	s_waitcnt lgkmcnt(0)
	v_cmp_gt_f32_e32 vcc, v7, v3
	v_cndmask_b32_e32 v3, v3, v7, vcc
	s_andn2_b64 exec, exec, s[18:19]
	s_cbranch_execnz .LBB152_16
; %bb.17:                               ;   in Loop: Header=BB152_14 Depth=1
	s_or_b64 exec, exec, s[18:19]
	s_branch .LBB152_13
.LBB152_18:
	s_or_b64 exec, exec, s[2:3]
	s_cmp_lt_i32 s10, 1
	s_waitcnt lgkmcnt(0)
	s_barrier
	s_cbranch_scc1 .LBB152_21
; %bb.19:
	v_mov_b32_e32 v1, s20
	s_mov_b32 s0, 0xff800000
	v_mov_b32_e32 v2, 0xff800000
.LBB152_20:                             ; =>This Inner Loop Header: Depth=1
	ds_read2_b32 v[4:5], v1 offset1:1
	s_add_i32 s10, s10, -1
	s_cmp_lg_u32 s10, 0
	s_waitcnt lgkmcnt(0)
	v_cmp_nlg_f32_e32 vcc, s0, v4
	v_cndmask_b32_e64 v3, 0, 1, vcc
	v_cmp_lg_f32_e32 vcc, s0, v4
	v_cndmask_b32_e32 v4, v2, v4, vcc
	v_lshlrev_b32_e32 v3, 1, v3
	v_cmp_ngt_f32_e32 vcc, v5, v4
	v_cndmask_b32_e32 v3, 1, v3, vcc
	v_lshlrev_b32_e32 v3, 2, v3
	v_add_u32_e32 v3, s20, v3
	ds_write_b32 v3, v2
	s_cbranch_scc1 .LBB152_20
.LBB152_21:
	v_cmp_gt_i32_e32 vcc, s7, v0
	v_lshlrev_b32_e32 v4, 1, v0
	v_lshl_add_u32 v5, v0, 3, 0
	s_and_saveexec_b64 s[2:3], vcc
	s_cbranch_execz .LBB152_26
; %bb.22:
	s_abs_i32 s8, s7
	v_cvt_f32_u32_e32 v2, s8
	s_load_dword s0, s[4:5], 0x4c
	s_sub_i32 s1, 0, s8
	s_ashr_i32 s18, s7, 31
	v_rcp_iflag_f32_e32 v2, v2
	v_lshlrev_b32_e32 v1, 1, v0
	s_waitcnt lgkmcnt(0)
	s_and_b32 s19, s0, 0xffff
	v_lshl_add_u32 v6, v0, 3, 0
	v_mul_f32_e32 v2, 0x4f7ffffe, v2
	v_cvt_u32_f32_e32 v2, v2
	s_mov_b64 s[10:11], 0
	s_lshl_b32 s21, s19, 1
	s_lshl_b32 s22, s19, 3
	v_mul_lo_u32 v3, s1, v2
	v_mul_hi_u32 v3, v2, v3
	v_add_u32_e32 v7, v2, v3
	s_mov_b32 s23, 0xff800000
	v_mov_b32_e32 v2, 0xff800000
	v_mov_b32_e32 v8, v0
	s_branch .LBB152_24
.LBB152_23:                             ;   in Loop: Header=BB152_24 Depth=1
	s_or_b64 exec, exec, s[16:17]
	v_add_u32_e32 v8, s19, v8
	v_cmp_le_i32_e64 s[0:1], s7, v8
	v_add_u32_e32 v1, s21, v1
	s_or_b64 s[10:11], s[0:1], s[10:11]
	v_add_u32_e32 v6, s22, v6
	s_andn2_b64 exec, exec, s[10:11]
	s_cbranch_execz .LBB152_26
.LBB152_24:                             ; =>This Inner Loop Header: Depth=1
	v_mul_hi_u32 v3, v1, v7
	v_mul_lo_u32 v9, v3, s8
	v_sub_u32_e32 v9, v1, v9
	v_add_u32_e32 v10, 1, v3
	v_cmp_le_u32_e64 s[0:1], s8, v9
	v_cndmask_b32_e64 v3, v3, v10, s[0:1]
	v_subrev_u32_e32 v10, s8, v9
	v_cndmask_b32_e64 v9, v9, v10, s[0:1]
	v_add_u32_e32 v10, 1, v3
	v_cmp_le_u32_e64 s[0:1], s8, v9
	v_cndmask_b32_e64 v3, v3, v10, s[0:1]
	v_xor_b32_e32 v3, s18, v3
	v_subrev_u32_e32 v3, s18, v3
	v_lshl_add_u32 v3, v3, 2, s20
	ds_read_b32 v3, v3
	s_waitcnt lgkmcnt(0)
	v_cmp_neq_f32_e64 s[0:1], s23, v3
	s_and_saveexec_b64 s[16:17], s[0:1]
	s_cbranch_execz .LBB152_23
; %bb.25:                               ;   in Loop: Header=BB152_24 Depth=1
	v_mov_b32_e32 v3, v2
	ds_write_b64 v6, v[2:3]
	s_branch .LBB152_23
.LBB152_26:
	s_or_b64 exec, exec, s[2:3]
	s_cmp_lt_i32 s9, 1
	s_waitcnt lgkmcnt(0)
	s_barrier
	s_cbranch_scc1 .LBB152_33
; %bb.27:
	s_add_u32 s2, s4, 64
	s_addc_u32 s3, s5, 0
	s_mov_b32 s8, 0
	v_mov_b32_e32 v2, 0
	v_mov_b32_e32 v6, 0xff800000
                                        ; implicit-def: $vgpr3
                                        ; implicit-def: $vgpr1
	s_branch .LBB152_29
.LBB152_28:                             ;   in Loop: Header=BB152_29 Depth=1
	s_or_b64 exec, exec, s[10:11]
	v_mov_b32_dpp v10, v8 quad_perm:[1,0,3,2] row_mask:0xf bank_mask:0xf
	v_cmp_lt_f32_e64 s[0:1], v8, v10
	v_cndmask_b32_e64 v8, v8, v10, s[0:1]
	v_mov_b32_dpp v9, v7 quad_perm:[1,0,3,2] row_mask:0xf bank_mask:0xf
	v_cndmask_b32_e64 v7, v7, v9, s[0:1]
	v_mov_b32_dpp v10, v8 quad_perm:[2,3,0,1] row_mask:0xf bank_mask:0xf
	v_cmp_gt_f32_e64 s[0:1], v10, v8
	v_cndmask_b32_e64 v8, v8, v10, s[0:1]
	v_mov_b32_dpp v9, v7 quad_perm:[2,3,0,1] row_mask:0xf bank_mask:0xf
	v_cndmask_b32_e64 v7, v7, v9, s[0:1]
	v_mov_b32_dpp v10, v8 row_half_mirror row_mask:0xf bank_mask:0xf
	v_cmp_gt_f32_e64 s[0:1], v10, v8
	v_cndmask_b32_e64 v8, v8, v10, s[0:1]
	v_mov_b32_dpp v9, v7 row_half_mirror row_mask:0xf bank_mask:0xf
	v_cndmask_b32_e64 v7, v7, v9, s[0:1]
	v_mov_b32_dpp v10, v8 row_mirror row_mask:0xf bank_mask:0xf
	v_cmp_gt_f32_e64 s[0:1], v10, v8
	v_cndmask_b32_e64 v8, v8, v10, s[0:1]
	v_mov_b32_dpp v9, v7 row_mirror row_mask:0xf bank_mask:0xf
	v_cndmask_b32_e64 v7, v7, v9, s[0:1]
	v_mov_b32_dpp v10, v8 row_bcast:15 row_mask:0xf bank_mask:0xf
	v_cmp_gt_f32_e64 s[0:1], v10, v8
	v_mov_b32_dpp v9, v7 row_bcast:15 row_mask:0xf bank_mask:0xf
	v_cndmask_b32_e64 v8, v8, v10, s[0:1]
	v_cndmask_b32_e64 v7, v7, v9, s[0:1]
	s_nop 0
	v_mov_b32_dpp v10, v8 row_bcast:31 row_mask:0xf bank_mask:0xf
	v_mov_b32_dpp v9, v7 row_bcast:31 row_mask:0xf bank_mask:0xf
	v_cmp_gt_f32_e64 s[0:1], v10, v8
	v_cndmask_b32_e64 v7, v7, v9, s[0:1]
	v_cndmask_b32_e64 v8, v8, v10, s[0:1]
	v_readlane_b32 s0, v7, 63
	s_lshl_b32 s1, s0, 2
	s_add_i32 s1, s1, 0
	v_mov_b32_e32 v7, s1
	v_readlane_b32 s10, v8, 63
	ds_write_b32 v7, v6
	v_mov_b32_e32 v7, s0
	v_cmp_eq_u32_e64 s[0:1], s8, v0
	v_cndmask_b32_e64 v1, v1, v7, s[0:1]
	v_mov_b32_e32 v7, s10
	s_add_i32 s8, s8, 1
	v_cndmask_b32_e64 v3, v3, v7, s[0:1]
	s_cmp_eq_u32 s8, s9
	v_add_f32_e32 v2, s10, v2
	s_cbranch_scc1 .LBB152_34
.LBB152_29:                             ; =>This Loop Header: Depth=1
                                        ;     Child Loop BB152_31 Depth 2
	v_mov_b32_e32 v7, s8
	v_mov_b32_e32 v8, 0xff800000
	s_and_saveexec_b64 s[10:11], vcc
	s_cbranch_execz .LBB152_28
; %bb.30:                               ;   in Loop: Header=BB152_29 Depth=1
	s_load_dword s0, s[2:3], 0xc
	s_mov_b64 s[16:17], 0
	v_mov_b32_e32 v7, s8
	v_mov_b32_e32 v8, 0xff800000
	;; [unrolled: 1-line block ×3, first 2 shown]
	s_waitcnt lgkmcnt(0)
	s_and_b32 s18, s0, 0xffff
	s_lshl_b32 s19, s18, 1
	s_lshl_b32 s20, s18, 3
	v_mov_b32_e32 v10, v4
	v_mov_b32_e32 v11, v0
.LBB152_31:                             ;   Parent Loop BB152_29 Depth=1
                                        ; =>  This Inner Loop Header: Depth=2
	ds_read_b64 v[12:13], v9
	v_add_u32_e32 v11, s18, v11
	v_cmp_le_i32_e64 s[0:1], s7, v11
	s_or_b64 s[16:17], s[0:1], s[16:17]
	v_add_u32_e32 v14, 1, v10
	s_waitcnt lgkmcnt(0)
	v_cmp_gt_f32_e64 s[0:1], v12, v8
	v_cndmask_b32_e64 v8, v8, v12, s[0:1]
	v_cndmask_b32_e64 v7, v7, v10, s[0:1]
	v_cmp_gt_f32_e64 s[0:1], v13, v8
	v_add_u32_e32 v9, s20, v9
	v_cndmask_b32_e64 v8, v8, v13, s[0:1]
	v_add_u32_e32 v10, s19, v10
	v_cndmask_b32_e64 v7, v7, v14, s[0:1]
	s_andn2_b64 exec, exec, s[16:17]
	s_cbranch_execnz .LBB152_31
; %bb.32:                               ;   in Loop: Header=BB152_29 Depth=1
	s_or_b64 exec, exec, s[16:17]
	s_branch .LBB152_28
.LBB152_33:
	v_mov_b32_e32 v2, 0
                                        ; implicit-def: $vgpr3
                                        ; implicit-def: $vgpr1
.LBB152_34:
	v_cmp_gt_i32_e32 vcc, s9, v0
	s_and_saveexec_b64 s[0:1], vcc
	s_cbranch_execz .LBB152_37
; %bb.35:
	s_load_dword s7, s[4:5], 0x38
	s_load_dwordx2 s[0:1], s[4:5], 0x20
	s_load_dword s8, s[4:5], 0x4c
	s_waitcnt lgkmcnt(0)
	v_div_scale_f32 v4, s[2:3], v2, v2, s7
	v_rcp_f32_e32 v5, v4
	v_div_scale_f32 v6, vcc, s7, v2, s7
	s_ashr_i32 s2, s6, 31
	v_fma_f32 v7, -v4, v5, 1.0
	v_fmac_f32_e32 v5, v7, v5
	v_mul_f32_e32 v7, v6, v5
	v_fma_f32 v8, -v4, v7, v6
	v_fmac_f32_e32 v7, v8, v5
	v_fma_f32 v4, -v4, v7, v6
	s_mul_i32 s1, s6, s1
	s_mul_hi_u32 s3, s6, s0
	v_div_fmas_f32 v4, v4, v5, v7
	s_add_i32 s1, s3, s1
	s_mul_i32 s2, s2, s0
	v_div_fixup_f32 v2, v4, v2, s7
	s_add_i32 s4, s1, s2
	v_mul_f32_e32 v2, v2, v3
	s_mul_i32 s2, s6, s0
	s_and_b32 s3, s8, 0xffff
	s_mov_b64 s[0:1], 0
	v_mov_b32_e32 v3, s4
	v_mov_b32_e32 v4, s13
	;; [unrolled: 1-line block ×3, first 2 shown]
.LBB152_36:                             ; =>This Inner Loop Header: Depth=1
	v_ashrrev_i32_e32 v7, 31, v0
	v_add_co_u32_e32 v6, vcc, s2, v0
	v_addc_co_u32_e32 v7, vcc, v3, v7, vcc
	v_add_u32_e32 v0, s3, v0
	v_cmp_le_i32_e32 vcc, s9, v0
	v_lshlrev_b64 v[6:7], 2, v[6:7]
	s_or_b64 s[0:1], vcc, s[0:1]
	v_add_co_u32_e32 v8, vcc, s12, v6
	v_addc_co_u32_e32 v9, vcc, v4, v7, vcc
	v_add_co_u32_e32 v6, vcc, s14, v6
	v_addc_co_u32_e32 v7, vcc, v5, v7, vcc
	global_store_dword v[8:9], v2, off
	global_store_dword v[6:7], v1, off
	s_andn2_b64 exec, exec, s[0:1]
	s_cbranch_execnz .LBB152_36
.LBB152_37:
	s_endpgm
	.section	.rodata,"a",@progbits
	.p2align	6, 0x0
	.amdhsa_kernel _ZN5aiter19grouped_topk_kernelIN3c104HalfEDv2_fLi2ELb1ELb0ELb1EEEvPT_PKS4_PfPimiiiif
		.amdhsa_group_segment_fixed_size 0
		.amdhsa_private_segment_fixed_size 0
		.amdhsa_kernarg_size 320
		.amdhsa_user_sgpr_count 6
		.amdhsa_user_sgpr_private_segment_buffer 1
		.amdhsa_user_sgpr_dispatch_ptr 0
		.amdhsa_user_sgpr_queue_ptr 0
		.amdhsa_user_sgpr_kernarg_segment_ptr 1
		.amdhsa_user_sgpr_dispatch_id 0
		.amdhsa_user_sgpr_flat_scratch_init 0
		.amdhsa_user_sgpr_kernarg_preload_length 0
		.amdhsa_user_sgpr_kernarg_preload_offset 0
		.amdhsa_user_sgpr_private_segment_size 0
		.amdhsa_uses_dynamic_stack 0
		.amdhsa_system_sgpr_private_segment_wavefront_offset 0
		.amdhsa_system_sgpr_workgroup_id_x 1
		.amdhsa_system_sgpr_workgroup_id_y 0
		.amdhsa_system_sgpr_workgroup_id_z 0
		.amdhsa_system_sgpr_workgroup_info 0
		.amdhsa_system_vgpr_workitem_id 0
		.amdhsa_next_free_vgpr 15
		.amdhsa_next_free_sgpr 24
		.amdhsa_accum_offset 16
		.amdhsa_reserve_vcc 1
		.amdhsa_reserve_flat_scratch 0
		.amdhsa_float_round_mode_32 0
		.amdhsa_float_round_mode_16_64 0
		.amdhsa_float_denorm_mode_32 3
		.amdhsa_float_denorm_mode_16_64 3
		.amdhsa_dx10_clamp 1
		.amdhsa_ieee_mode 1
		.amdhsa_fp16_overflow 0
		.amdhsa_tg_split 0
		.amdhsa_exception_fp_ieee_invalid_op 0
		.amdhsa_exception_fp_denorm_src 0
		.amdhsa_exception_fp_ieee_div_zero 0
		.amdhsa_exception_fp_ieee_overflow 0
		.amdhsa_exception_fp_ieee_underflow 0
		.amdhsa_exception_fp_ieee_inexact 0
		.amdhsa_exception_int_div_zero 0
	.end_amdhsa_kernel
	.section	.text._ZN5aiter19grouped_topk_kernelIN3c104HalfEDv2_fLi2ELb1ELb0ELb1EEEvPT_PKS4_PfPimiiiif,"axG",@progbits,_ZN5aiter19grouped_topk_kernelIN3c104HalfEDv2_fLi2ELb1ELb0ELb1EEEvPT_PKS4_PfPimiiiif,comdat
.Lfunc_end152:
	.size	_ZN5aiter19grouped_topk_kernelIN3c104HalfEDv2_fLi2ELb1ELb0ELb1EEEvPT_PKS4_PfPimiiiif, .Lfunc_end152-_ZN5aiter19grouped_topk_kernelIN3c104HalfEDv2_fLi2ELb1ELb0ELb1EEEvPT_PKS4_PfPimiiiif
                                        ; -- End function
	.section	.AMDGPU.csdata,"",@progbits
; Kernel info:
; codeLenInByte = 2416
; NumSgprs: 28
; NumVgprs: 15
; NumAgprs: 0
; TotalNumVgprs: 15
; ScratchSize: 0
; MemoryBound: 0
; FloatMode: 240
; IeeeMode: 1
; LDSByteSize: 0 bytes/workgroup (compile time only)
; SGPRBlocks: 3
; VGPRBlocks: 1
; NumSGPRsForWavesPerEU: 28
; NumVGPRsForWavesPerEU: 15
; AccumOffset: 16
; Occupancy: 8
; WaveLimiterHint : 0
; COMPUTE_PGM_RSRC2:SCRATCH_EN: 0
; COMPUTE_PGM_RSRC2:USER_SGPR: 6
; COMPUTE_PGM_RSRC2:TRAP_HANDLER: 0
; COMPUTE_PGM_RSRC2:TGID_X_EN: 1
; COMPUTE_PGM_RSRC2:TGID_Y_EN: 0
; COMPUTE_PGM_RSRC2:TGID_Z_EN: 0
; COMPUTE_PGM_RSRC2:TIDIG_COMP_CNT: 0
; COMPUTE_PGM_RSRC3_GFX90A:ACCUM_OFFSET: 3
; COMPUTE_PGM_RSRC3_GFX90A:TG_SPLIT: 0
	.section	.text._ZN5aiter19grouped_topk_kernelIN3c108BFloat16EDv2_fLi2ELb1ELb0ELb1EEEvPT_PKS4_PfPimiiiif,"axG",@progbits,_ZN5aiter19grouped_topk_kernelIN3c108BFloat16EDv2_fLi2ELb1ELb0ELb1EEEvPT_PKS4_PfPimiiiif,comdat
	.protected	_ZN5aiter19grouped_topk_kernelIN3c108BFloat16EDv2_fLi2ELb1ELb0ELb1EEEvPT_PKS4_PfPimiiiif ; -- Begin function _ZN5aiter19grouped_topk_kernelIN3c108BFloat16EDv2_fLi2ELb1ELb0ELb1EEEvPT_PKS4_PfPimiiiif
	.globl	_ZN5aiter19grouped_topk_kernelIN3c108BFloat16EDv2_fLi2ELb1ELb0ELb1EEEvPT_PKS4_PfPimiiiif
	.p2align	8
	.type	_ZN5aiter19grouped_topk_kernelIN3c108BFloat16EDv2_fLi2ELb1ELb0ELb1EEEvPT_PKS4_PfPimiiiif,@function
_ZN5aiter19grouped_topk_kernelIN3c108BFloat16EDv2_fLi2ELb1ELb0ELb1EEEvPT_PKS4_PfPimiiiif: ; @_ZN5aiter19grouped_topk_kernelIN3c108BFloat16EDv2_fLi2ELb1ELb0ELb1EEEvPT_PKS4_PfPimiiiif
; %bb.0:
	s_load_dwordx4 s[8:11], s[4:5], 0x28
	s_load_dwordx4 s[12:15], s[4:5], 0x10
	v_mov_b32_e32 v1, 0xff800000
	s_waitcnt lgkmcnt(0)
	v_cmp_gt_i32_e32 vcc, s8, v0
	s_and_saveexec_b64 s[2:3], vcc
	s_cbranch_execz .LBB153_4
; %bb.1:
	s_load_dword s0, s[4:5], 0x4c
	s_load_dwordx2 s[16:17], s[4:5], 0x0
	s_mul_i32 s7, s6, s8
	v_lshl_add_u32 v2, v0, 2, 0
	s_mov_b64 s[18:19], 0
	s_waitcnt lgkmcnt(0)
	s_and_b32 s11, s0, 0xffff
	s_lshl_b32 s20, s11, 2
	v_mov_b32_e32 v1, 0xff800000
	v_mov_b32_e32 v3, s17
	;; [unrolled: 1-line block ×3, first 2 shown]
.LBB153_2:                              ; =>This Inner Loop Header: Depth=1
	v_add_u32_e32 v6, s7, v4
	v_ashrrev_i32_e32 v7, 31, v6
	v_lshlrev_b64 v[6:7], 1, v[6:7]
	v_add_co_u32_e64 v6, s[0:1], s16, v6
	v_addc_co_u32_e64 v7, s[0:1], v3, v7, s[0:1]
	global_load_ushort v5, v[6:7], off
	v_add_u32_e32 v4, s11, v4
	v_cmp_le_i32_e64 s[0:1], s8, v4
	s_or_b64 s[18:19], s[0:1], s[18:19]
	s_waitcnt vmcnt(0)
	v_lshrrev_b16_e32 v6, 8, v5
	v_and_b32_e32 v5, 0xff, v5
	v_lshlrev_b32_e32 v5, 16, v5
	v_lshl_or_b32 v5, v6, 24, v5
	v_cmp_lt_f32_e64 s[0:1], v1, v5
	ds_write_b32 v2, v5
	v_cndmask_b32_e64 v1, v1, v5, s[0:1]
	v_add_u32_e32 v2, s20, v2
	s_andn2_b64 exec, exec, s[18:19]
	s_cbranch_execnz .LBB153_2
; %bb.3:
	s_or_b64 exec, exec, s[18:19]
.LBB153_4:
	s_or_b64 exec, exec, s[2:3]
	v_mov_b32_dpp v2, v1 quad_perm:[1,0,3,2] row_mask:0xf bank_mask:0xf
	v_cmp_lt_f32_e64 s[0:1], v1, v2
	v_cndmask_b32_e64 v1, v1, v2, s[0:1]
	v_bfrev_b32_e32 v3, 0.5
	s_waitcnt lgkmcnt(0)
	v_mov_b32_dpp v2, v1 quad_perm:[2,3,0,1] row_mask:0xf bank_mask:0xf
	v_cmp_lt_f32_e64 s[0:1], v1, v2
	v_cndmask_b32_e64 v1, v1, v2, s[0:1]
	s_barrier
	s_nop 0
	v_mov_b32_dpp v2, v1 row_half_mirror row_mask:0xf bank_mask:0xf
	v_cmp_lt_f32_e64 s[0:1], v1, v2
	v_cndmask_b32_e64 v1, v1, v2, s[0:1]
	s_nop 1
	v_mov_b32_dpp v2, v1 row_mirror row_mask:0xf bank_mask:0xf
	v_cmp_lt_f32_e64 s[0:1], v1, v2
	v_cndmask_b32_e64 v1, v1, v2, s[0:1]
	s_nop 1
	v_mov_b32_dpp v2, v1 row_bcast:15 row_mask:0xf bank_mask:0xf
	v_cmp_lt_f32_e64 s[0:1], v1, v2
	v_cndmask_b32_e64 v1, v1, v2, s[0:1]
	s_nop 1
	v_mov_b32_dpp v2, v1 row_bcast:31 row_mask:0xf bank_mask:0xf
	v_cmp_lt_f32_e64 s[0:1], v1, v2
	v_cndmask_b32_e64 v2, v1, v2, s[0:1]
	v_mbcnt_lo_u32_b32 v1, -1, 0
	v_mbcnt_hi_u32_b32 v1, -1, v1
	v_lshl_or_b32 v1, v1, 2, v3
	ds_bpermute_b32 v3, v1, v2
	v_mov_b32_e32 v2, 0
	s_and_saveexec_b64 s[2:3], vcc
	s_cbranch_execz .LBB153_8
; %bb.5:
	s_load_dword s0, s[4:5], 0x4c
	v_lshl_add_u32 v4, v0, 2, 0
	s_mov_b64 s[16:17], 0
	v_mov_b32_e32 v2, 0
	s_mov_b32 s7, 0x3fb8aa3b
	s_waitcnt lgkmcnt(0)
	s_and_b32 s11, s0, 0xffff
	s_lshl_b32 s18, s11, 2
	s_mov_b32 s19, 0xc2ce8ed0
	s_mov_b32 s20, 0x42b17218
	v_mov_b32_e32 v5, 0x7f800000
	v_mov_b32_e32 v6, v0
.LBB153_6:                              ; =>This Inner Loop Header: Depth=1
	ds_read_b32 v7, v4
	v_add_u32_e32 v6, s11, v6
	s_waitcnt lgkmcnt(0)
	v_sub_f32_e32 v7, v7, v3
	v_mul_f32_e32 v8, 0x3fb8aa3b, v7
	v_fma_f32 v9, v7, s7, -v8
	v_rndne_f32_e32 v10, v8
	v_fmac_f32_e32 v9, 0x32a5705f, v7
	v_sub_f32_e32 v8, v8, v10
	v_add_f32_e32 v8, v8, v9
	v_cvt_i32_f32_e32 v10, v10
	v_exp_f32_e32 v8, v8
	v_cmp_ngt_f32_e64 s[0:1], s19, v7
	v_ldexp_f32 v8, v8, v10
	v_cndmask_b32_e64 v8, 0, v8, s[0:1]
	v_cmp_nlt_f32_e64 s[0:1], s20, v7
	v_cndmask_b32_e64 v7, v5, v8, s[0:1]
	v_cmp_le_i32_e64 s[0:1], s8, v6
	ds_write_b32 v4, v7
	v_add_f32_e32 v2, v2, v7
	s_or_b64 s[16:17], s[0:1], s[16:17]
	v_add_u32_e32 v4, s18, v4
	s_andn2_b64 exec, exec, s[16:17]
	s_cbranch_execnz .LBB153_6
; %bb.7:
	s_or_b64 exec, exec, s[16:17]
.LBB153_8:
	s_or_b64 exec, exec, s[2:3]
	s_waitcnt lgkmcnt(0)
	v_mov_b32_dpp v3, v2 quad_perm:[1,0,3,2] row_mask:0xf bank_mask:0xf
	v_add_f32_e32 v2, v2, v3
	s_barrier
	s_nop 0
	v_mov_b32_dpp v3, v2 quad_perm:[2,3,0,1] row_mask:0xf bank_mask:0xf
	v_add_f32_e32 v2, v2, v3
	s_nop 1
	v_mov_b32_dpp v3, v2 row_half_mirror row_mask:0xf bank_mask:0xf
	v_add_f32_e32 v2, v2, v3
	s_nop 1
	v_mov_b32_dpp v3, v2 row_mirror row_mask:0xf bank_mask:0xf
	v_add_f32_e32 v2, v2, v3
	s_nop 1
	v_mov_b32_dpp v3, v2 row_bcast:15 row_mask:0xf bank_mask:0xf
	v_add_f32_e32 v2, v2, v3
	s_nop 1
	v_mov_b32_dpp v3, v2 row_bcast:31 row_mask:0xf bank_mask:0xf
	v_add_f32_e32 v2, v2, v3
	ds_bpermute_b32 v1, v1, v2
	s_and_saveexec_b64 s[0:1], vcc
	s_cbranch_execz .LBB153_11
; %bb.9:
	s_load_dword s7, s[4:5], 0x4c
	v_lshl_add_u32 v2, v0, 2, 0
	s_mov_b64 s[2:3], 0
	v_mov_b32_e32 v3, v0
	s_waitcnt lgkmcnt(0)
	s_and_b32 s7, s7, 0xffff
	s_lshl_b32 s11, s7, 2
.LBB153_10:                             ; =>This Inner Loop Header: Depth=1
	ds_read_b32 v4, v2
	v_add_u32_e32 v3, s7, v3
	v_cmp_le_i32_e32 vcc, s8, v3
	s_or_b64 s[2:3], vcc, s[2:3]
	s_waitcnt lgkmcnt(0)
	v_div_scale_f32 v5, s[16:17], v1, v1, v4
	v_rcp_f32_e32 v6, v5
	v_div_scale_f32 v7, vcc, v4, v1, v4
	v_fma_f32 v8, -v5, v6, 1.0
	v_fmac_f32_e32 v6, v8, v6
	v_mul_f32_e32 v8, v7, v6
	v_fma_f32 v9, -v5, v8, v7
	v_fmac_f32_e32 v8, v9, v6
	v_fma_f32 v5, -v5, v8, v7
	v_div_fmas_f32 v5, v5, v6, v8
	v_div_fixup_f32 v4, v5, v1, v4
	ds_write_b32 v2, v4
	v_add_u32_e32 v2, s11, v2
	s_andn2_b64 exec, exec, s[2:3]
	s_cbranch_execnz .LBB153_10
.LBB153_11:
	s_or_b64 exec, exec, s[0:1]
	s_lshr_b32 s0, s8, 31
	s_add_i32 s0, s8, s0
	s_ashr_i32 s7, s0, 1
	s_lshl_b32 s0, s8, 2
	s_add_i32 s20, s0, 0
	v_cmp_gt_u32_e32 vcc, 2, v0
	s_waitcnt lgkmcnt(0)
	s_barrier
	s_and_saveexec_b64 s[2:3], vcc
	s_cbranch_execz .LBB153_18
; %bb.12:
	s_load_dword s0, s[4:5], 0x4c
	v_mul_lo_u32 v1, v0, s7
	v_lshl_add_u32 v1, v1, 2, 0
	s_mov_b64 s[16:17], 0
	s_waitcnt lgkmcnt(0)
	s_and_b32 s11, s0, 0xffff
	s_cmp_gt_i32 s8, 1
	s_cselect_b64 s[0:1], -1, 0
	s_mul_i32 s8, s7, s11
	v_cndmask_b32_e64 v2, 0, 1, s[0:1]
	s_lshl_b32 s8, s8, 2
	v_cmp_ne_u32_e64 s[0:1], 1, v2
	v_mov_b32_e32 v2, v0
	s_branch .LBB153_14
.LBB153_13:                             ;   in Loop: Header=BB153_14 Depth=1
	v_lshl_add_u32 v4, v2, 2, s20
	v_add_u32_e32 v2, s11, v2
	v_cmp_lt_u32_e32 vcc, 1, v2
	s_or_b64 s[16:17], vcc, s[16:17]
	v_add_u32_e32 v1, s8, v1
	ds_write_b32 v4, v3
	s_andn2_b64 exec, exec, s[16:17]
	s_cbranch_execz .LBB153_18
.LBB153_14:                             ; =>This Loop Header: Depth=1
                                        ;     Child Loop BB153_16 Depth 2
	s_and_b64 vcc, exec, s[0:1]
	v_mov_b32_e32 v3, 0xff800000
	s_cbranch_vccnz .LBB153_13
; %bb.15:                               ;   in Loop: Header=BB153_14 Depth=1
	v_mul_lo_u32 v4, v2, s7
	v_add_u32_e32 v5, s7, v4
	s_mov_b64 s[18:19], 0
	v_mov_b32_e32 v3, 0xff800000
	v_mov_b32_e32 v6, v1
.LBB153_16:                             ;   Parent Loop BB153_14 Depth=1
                                        ; =>  This Inner Loop Header: Depth=2
	ds_read_b32 v7, v6
	v_add_u32_e32 v4, 1, v4
	v_cmp_ge_i32_e32 vcc, v4, v5
	s_or_b64 s[18:19], vcc, s[18:19]
	v_add_u32_e32 v6, 4, v6
	s_waitcnt lgkmcnt(0)
	v_cmp_gt_f32_e32 vcc, v7, v3
	v_cndmask_b32_e32 v3, v3, v7, vcc
	s_andn2_b64 exec, exec, s[18:19]
	s_cbranch_execnz .LBB153_16
; %bb.17:                               ;   in Loop: Header=BB153_14 Depth=1
	s_or_b64 exec, exec, s[18:19]
	s_branch .LBB153_13
.LBB153_18:
	s_or_b64 exec, exec, s[2:3]
	s_cmp_lt_i32 s10, 1
	s_waitcnt lgkmcnt(0)
	s_barrier
	s_cbranch_scc1 .LBB153_21
; %bb.19:
	v_mov_b32_e32 v1, s20
	s_mov_b32 s0, 0xff800000
	v_mov_b32_e32 v2, 0xff800000
.LBB153_20:                             ; =>This Inner Loop Header: Depth=1
	ds_read2_b32 v[4:5], v1 offset1:1
	s_add_i32 s10, s10, -1
	s_cmp_lg_u32 s10, 0
	s_waitcnt lgkmcnt(0)
	v_cmp_nlg_f32_e32 vcc, s0, v4
	v_cndmask_b32_e64 v3, 0, 1, vcc
	v_cmp_lg_f32_e32 vcc, s0, v4
	v_cndmask_b32_e32 v4, v2, v4, vcc
	v_lshlrev_b32_e32 v3, 1, v3
	v_cmp_ngt_f32_e32 vcc, v5, v4
	v_cndmask_b32_e32 v3, 1, v3, vcc
	v_lshlrev_b32_e32 v3, 2, v3
	v_add_u32_e32 v3, s20, v3
	ds_write_b32 v3, v2
	s_cbranch_scc1 .LBB153_20
.LBB153_21:
	v_cmp_gt_i32_e32 vcc, s7, v0
	v_lshlrev_b32_e32 v4, 1, v0
	v_lshl_add_u32 v5, v0, 3, 0
	s_and_saveexec_b64 s[2:3], vcc
	s_cbranch_execz .LBB153_26
; %bb.22:
	s_abs_i32 s8, s7
	v_cvt_f32_u32_e32 v2, s8
	s_load_dword s0, s[4:5], 0x4c
	s_sub_i32 s1, 0, s8
	s_ashr_i32 s18, s7, 31
	v_rcp_iflag_f32_e32 v2, v2
	v_lshlrev_b32_e32 v1, 1, v0
	s_waitcnt lgkmcnt(0)
	s_and_b32 s19, s0, 0xffff
	v_lshl_add_u32 v6, v0, 3, 0
	v_mul_f32_e32 v2, 0x4f7ffffe, v2
	v_cvt_u32_f32_e32 v2, v2
	s_mov_b64 s[10:11], 0
	s_lshl_b32 s21, s19, 1
	s_lshl_b32 s22, s19, 3
	v_mul_lo_u32 v3, s1, v2
	v_mul_hi_u32 v3, v2, v3
	v_add_u32_e32 v7, v2, v3
	s_mov_b32 s23, 0xff800000
	v_mov_b32_e32 v2, 0xff800000
	v_mov_b32_e32 v8, v0
	s_branch .LBB153_24
.LBB153_23:                             ;   in Loop: Header=BB153_24 Depth=1
	s_or_b64 exec, exec, s[16:17]
	v_add_u32_e32 v8, s19, v8
	v_cmp_le_i32_e64 s[0:1], s7, v8
	v_add_u32_e32 v1, s21, v1
	s_or_b64 s[10:11], s[0:1], s[10:11]
	v_add_u32_e32 v6, s22, v6
	s_andn2_b64 exec, exec, s[10:11]
	s_cbranch_execz .LBB153_26
.LBB153_24:                             ; =>This Inner Loop Header: Depth=1
	v_mul_hi_u32 v3, v1, v7
	v_mul_lo_u32 v9, v3, s8
	v_sub_u32_e32 v9, v1, v9
	v_add_u32_e32 v10, 1, v3
	v_cmp_le_u32_e64 s[0:1], s8, v9
	v_cndmask_b32_e64 v3, v3, v10, s[0:1]
	v_subrev_u32_e32 v10, s8, v9
	v_cndmask_b32_e64 v9, v9, v10, s[0:1]
	v_add_u32_e32 v10, 1, v3
	v_cmp_le_u32_e64 s[0:1], s8, v9
	v_cndmask_b32_e64 v3, v3, v10, s[0:1]
	v_xor_b32_e32 v3, s18, v3
	v_subrev_u32_e32 v3, s18, v3
	v_lshl_add_u32 v3, v3, 2, s20
	ds_read_b32 v3, v3
	s_waitcnt lgkmcnt(0)
	v_cmp_neq_f32_e64 s[0:1], s23, v3
	s_and_saveexec_b64 s[16:17], s[0:1]
	s_cbranch_execz .LBB153_23
; %bb.25:                               ;   in Loop: Header=BB153_24 Depth=1
	v_mov_b32_e32 v3, v2
	ds_write_b64 v6, v[2:3]
	s_branch .LBB153_23
.LBB153_26:
	s_or_b64 exec, exec, s[2:3]
	s_cmp_lt_i32 s9, 1
	s_waitcnt lgkmcnt(0)
	s_barrier
	s_cbranch_scc1 .LBB153_33
; %bb.27:
	s_add_u32 s2, s4, 64
	s_addc_u32 s3, s5, 0
	s_mov_b32 s8, 0
	v_mov_b32_e32 v2, 0
	v_mov_b32_e32 v6, 0xff800000
                                        ; implicit-def: $vgpr3
                                        ; implicit-def: $vgpr1
	s_branch .LBB153_29
.LBB153_28:                             ;   in Loop: Header=BB153_29 Depth=1
	s_or_b64 exec, exec, s[10:11]
	v_mov_b32_dpp v10, v8 quad_perm:[1,0,3,2] row_mask:0xf bank_mask:0xf
	v_cmp_lt_f32_e64 s[0:1], v8, v10
	v_cndmask_b32_e64 v8, v8, v10, s[0:1]
	v_mov_b32_dpp v9, v7 quad_perm:[1,0,3,2] row_mask:0xf bank_mask:0xf
	v_cndmask_b32_e64 v7, v7, v9, s[0:1]
	v_mov_b32_dpp v10, v8 quad_perm:[2,3,0,1] row_mask:0xf bank_mask:0xf
	v_cmp_gt_f32_e64 s[0:1], v10, v8
	v_cndmask_b32_e64 v8, v8, v10, s[0:1]
	v_mov_b32_dpp v9, v7 quad_perm:[2,3,0,1] row_mask:0xf bank_mask:0xf
	v_cndmask_b32_e64 v7, v7, v9, s[0:1]
	v_mov_b32_dpp v10, v8 row_half_mirror row_mask:0xf bank_mask:0xf
	v_cmp_gt_f32_e64 s[0:1], v10, v8
	v_cndmask_b32_e64 v8, v8, v10, s[0:1]
	v_mov_b32_dpp v9, v7 row_half_mirror row_mask:0xf bank_mask:0xf
	v_cndmask_b32_e64 v7, v7, v9, s[0:1]
	v_mov_b32_dpp v10, v8 row_mirror row_mask:0xf bank_mask:0xf
	v_cmp_gt_f32_e64 s[0:1], v10, v8
	v_cndmask_b32_e64 v8, v8, v10, s[0:1]
	v_mov_b32_dpp v9, v7 row_mirror row_mask:0xf bank_mask:0xf
	v_cndmask_b32_e64 v7, v7, v9, s[0:1]
	v_mov_b32_dpp v10, v8 row_bcast:15 row_mask:0xf bank_mask:0xf
	v_cmp_gt_f32_e64 s[0:1], v10, v8
	v_mov_b32_dpp v9, v7 row_bcast:15 row_mask:0xf bank_mask:0xf
	v_cndmask_b32_e64 v8, v8, v10, s[0:1]
	v_cndmask_b32_e64 v7, v7, v9, s[0:1]
	s_nop 0
	v_mov_b32_dpp v10, v8 row_bcast:31 row_mask:0xf bank_mask:0xf
	v_mov_b32_dpp v9, v7 row_bcast:31 row_mask:0xf bank_mask:0xf
	v_cmp_gt_f32_e64 s[0:1], v10, v8
	v_cndmask_b32_e64 v7, v7, v9, s[0:1]
	v_cndmask_b32_e64 v8, v8, v10, s[0:1]
	v_readlane_b32 s0, v7, 63
	s_lshl_b32 s1, s0, 2
	s_add_i32 s1, s1, 0
	v_mov_b32_e32 v7, s1
	v_readlane_b32 s10, v8, 63
	ds_write_b32 v7, v6
	v_mov_b32_e32 v7, s0
	v_cmp_eq_u32_e64 s[0:1], s8, v0
	v_cndmask_b32_e64 v1, v1, v7, s[0:1]
	v_mov_b32_e32 v7, s10
	s_add_i32 s8, s8, 1
	v_cndmask_b32_e64 v3, v3, v7, s[0:1]
	s_cmp_eq_u32 s8, s9
	v_add_f32_e32 v2, s10, v2
	s_cbranch_scc1 .LBB153_34
.LBB153_29:                             ; =>This Loop Header: Depth=1
                                        ;     Child Loop BB153_31 Depth 2
	v_mov_b32_e32 v7, s8
	v_mov_b32_e32 v8, 0xff800000
	s_and_saveexec_b64 s[10:11], vcc
	s_cbranch_execz .LBB153_28
; %bb.30:                               ;   in Loop: Header=BB153_29 Depth=1
	s_load_dword s0, s[2:3], 0xc
	s_mov_b64 s[16:17], 0
	v_mov_b32_e32 v7, s8
	v_mov_b32_e32 v8, 0xff800000
	v_mov_b32_e32 v9, v5
	s_waitcnt lgkmcnt(0)
	s_and_b32 s18, s0, 0xffff
	s_lshl_b32 s19, s18, 1
	s_lshl_b32 s20, s18, 3
	v_mov_b32_e32 v10, v4
	v_mov_b32_e32 v11, v0
.LBB153_31:                             ;   Parent Loop BB153_29 Depth=1
                                        ; =>  This Inner Loop Header: Depth=2
	ds_read_b64 v[12:13], v9
	v_add_u32_e32 v11, s18, v11
	v_cmp_le_i32_e64 s[0:1], s7, v11
	s_or_b64 s[16:17], s[0:1], s[16:17]
	v_add_u32_e32 v14, 1, v10
	s_waitcnt lgkmcnt(0)
	v_cmp_gt_f32_e64 s[0:1], v12, v8
	v_cndmask_b32_e64 v8, v8, v12, s[0:1]
	v_cndmask_b32_e64 v7, v7, v10, s[0:1]
	v_cmp_gt_f32_e64 s[0:1], v13, v8
	v_add_u32_e32 v9, s20, v9
	v_cndmask_b32_e64 v8, v8, v13, s[0:1]
	v_add_u32_e32 v10, s19, v10
	v_cndmask_b32_e64 v7, v7, v14, s[0:1]
	s_andn2_b64 exec, exec, s[16:17]
	s_cbranch_execnz .LBB153_31
; %bb.32:                               ;   in Loop: Header=BB153_29 Depth=1
	s_or_b64 exec, exec, s[16:17]
	s_branch .LBB153_28
.LBB153_33:
	v_mov_b32_e32 v2, 0
                                        ; implicit-def: $vgpr3
                                        ; implicit-def: $vgpr1
.LBB153_34:
	v_cmp_gt_i32_e32 vcc, s9, v0
	s_and_saveexec_b64 s[0:1], vcc
	s_cbranch_execz .LBB153_37
; %bb.35:
	s_load_dword s7, s[4:5], 0x38
	s_load_dwordx2 s[0:1], s[4:5], 0x20
	s_load_dword s8, s[4:5], 0x4c
	s_waitcnt lgkmcnt(0)
	v_div_scale_f32 v4, s[2:3], v2, v2, s7
	v_rcp_f32_e32 v5, v4
	v_div_scale_f32 v6, vcc, s7, v2, s7
	s_ashr_i32 s2, s6, 31
	v_fma_f32 v7, -v4, v5, 1.0
	v_fmac_f32_e32 v5, v7, v5
	v_mul_f32_e32 v7, v6, v5
	v_fma_f32 v8, -v4, v7, v6
	v_fmac_f32_e32 v7, v8, v5
	v_fma_f32 v4, -v4, v7, v6
	s_mul_i32 s1, s6, s1
	s_mul_hi_u32 s3, s6, s0
	v_div_fmas_f32 v4, v4, v5, v7
	s_add_i32 s1, s3, s1
	s_mul_i32 s2, s2, s0
	v_div_fixup_f32 v2, v4, v2, s7
	s_add_i32 s4, s1, s2
	v_mul_f32_e32 v2, v2, v3
	s_mul_i32 s2, s6, s0
	s_and_b32 s3, s8, 0xffff
	s_mov_b64 s[0:1], 0
	v_mov_b32_e32 v3, s4
	v_mov_b32_e32 v4, s13
	;; [unrolled: 1-line block ×3, first 2 shown]
.LBB153_36:                             ; =>This Inner Loop Header: Depth=1
	v_ashrrev_i32_e32 v7, 31, v0
	v_add_co_u32_e32 v6, vcc, s2, v0
	v_addc_co_u32_e32 v7, vcc, v3, v7, vcc
	v_add_u32_e32 v0, s3, v0
	v_cmp_le_i32_e32 vcc, s9, v0
	v_lshlrev_b64 v[6:7], 2, v[6:7]
	s_or_b64 s[0:1], vcc, s[0:1]
	v_add_co_u32_e32 v8, vcc, s12, v6
	v_addc_co_u32_e32 v9, vcc, v4, v7, vcc
	v_add_co_u32_e32 v6, vcc, s14, v6
	v_addc_co_u32_e32 v7, vcc, v5, v7, vcc
	global_store_dword v[8:9], v2, off
	global_store_dword v[6:7], v1, off
	s_andn2_b64 exec, exec, s[0:1]
	s_cbranch_execnz .LBB153_36
.LBB153_37:
	s_endpgm
	.section	.rodata,"a",@progbits
	.p2align	6, 0x0
	.amdhsa_kernel _ZN5aiter19grouped_topk_kernelIN3c108BFloat16EDv2_fLi2ELb1ELb0ELb1EEEvPT_PKS4_PfPimiiiif
		.amdhsa_group_segment_fixed_size 0
		.amdhsa_private_segment_fixed_size 0
		.amdhsa_kernarg_size 320
		.amdhsa_user_sgpr_count 6
		.amdhsa_user_sgpr_private_segment_buffer 1
		.amdhsa_user_sgpr_dispatch_ptr 0
		.amdhsa_user_sgpr_queue_ptr 0
		.amdhsa_user_sgpr_kernarg_segment_ptr 1
		.amdhsa_user_sgpr_dispatch_id 0
		.amdhsa_user_sgpr_flat_scratch_init 0
		.amdhsa_user_sgpr_kernarg_preload_length 0
		.amdhsa_user_sgpr_kernarg_preload_offset 0
		.amdhsa_user_sgpr_private_segment_size 0
		.amdhsa_uses_dynamic_stack 0
		.amdhsa_system_sgpr_private_segment_wavefront_offset 0
		.amdhsa_system_sgpr_workgroup_id_x 1
		.amdhsa_system_sgpr_workgroup_id_y 0
		.amdhsa_system_sgpr_workgroup_id_z 0
		.amdhsa_system_sgpr_workgroup_info 0
		.amdhsa_system_vgpr_workitem_id 0
		.amdhsa_next_free_vgpr 15
		.amdhsa_next_free_sgpr 24
		.amdhsa_accum_offset 16
		.amdhsa_reserve_vcc 1
		.amdhsa_reserve_flat_scratch 0
		.amdhsa_float_round_mode_32 0
		.amdhsa_float_round_mode_16_64 0
		.amdhsa_float_denorm_mode_32 3
		.amdhsa_float_denorm_mode_16_64 3
		.amdhsa_dx10_clamp 1
		.amdhsa_ieee_mode 1
		.amdhsa_fp16_overflow 0
		.amdhsa_tg_split 0
		.amdhsa_exception_fp_ieee_invalid_op 0
		.amdhsa_exception_fp_denorm_src 0
		.amdhsa_exception_fp_ieee_div_zero 0
		.amdhsa_exception_fp_ieee_overflow 0
		.amdhsa_exception_fp_ieee_underflow 0
		.amdhsa_exception_fp_ieee_inexact 0
		.amdhsa_exception_int_div_zero 0
	.end_amdhsa_kernel
	.section	.text._ZN5aiter19grouped_topk_kernelIN3c108BFloat16EDv2_fLi2ELb1ELb0ELb1EEEvPT_PKS4_PfPimiiiif,"axG",@progbits,_ZN5aiter19grouped_topk_kernelIN3c108BFloat16EDv2_fLi2ELb1ELb0ELb1EEEvPT_PKS4_PfPimiiiif,comdat
.Lfunc_end153:
	.size	_ZN5aiter19grouped_topk_kernelIN3c108BFloat16EDv2_fLi2ELb1ELb0ELb1EEEvPT_PKS4_PfPimiiiif, .Lfunc_end153-_ZN5aiter19grouped_topk_kernelIN3c108BFloat16EDv2_fLi2ELb1ELb0ELb1EEEvPT_PKS4_PfPimiiiif
                                        ; -- End function
	.section	.AMDGPU.csdata,"",@progbits
; Kernel info:
; codeLenInByte = 2436
; NumSgprs: 28
; NumVgprs: 15
; NumAgprs: 0
; TotalNumVgprs: 15
; ScratchSize: 0
; MemoryBound: 0
; FloatMode: 240
; IeeeMode: 1
; LDSByteSize: 0 bytes/workgroup (compile time only)
; SGPRBlocks: 3
; VGPRBlocks: 1
; NumSGPRsForWavesPerEU: 28
; NumVGPRsForWavesPerEU: 15
; AccumOffset: 16
; Occupancy: 8
; WaveLimiterHint : 0
; COMPUTE_PGM_RSRC2:SCRATCH_EN: 0
; COMPUTE_PGM_RSRC2:USER_SGPR: 6
; COMPUTE_PGM_RSRC2:TRAP_HANDLER: 0
; COMPUTE_PGM_RSRC2:TGID_X_EN: 1
; COMPUTE_PGM_RSRC2:TGID_Y_EN: 0
; COMPUTE_PGM_RSRC2:TGID_Z_EN: 0
; COMPUTE_PGM_RSRC2:TIDIG_COMP_CNT: 0
; COMPUTE_PGM_RSRC3_GFX90A:ACCUM_OFFSET: 3
; COMPUTE_PGM_RSRC3_GFX90A:TG_SPLIT: 0
	.section	.text._ZN5aiter19grouped_topk_kernelIfDv2_fLi2ELb1ELb0ELb0EEEvPT_PKS2_PfPimiiiif,"axG",@progbits,_ZN5aiter19grouped_topk_kernelIfDv2_fLi2ELb1ELb0ELb0EEEvPT_PKS2_PfPimiiiif,comdat
	.protected	_ZN5aiter19grouped_topk_kernelIfDv2_fLi2ELb1ELb0ELb0EEEvPT_PKS2_PfPimiiiif ; -- Begin function _ZN5aiter19grouped_topk_kernelIfDv2_fLi2ELb1ELb0ELb0EEEvPT_PKS2_PfPimiiiif
	.globl	_ZN5aiter19grouped_topk_kernelIfDv2_fLi2ELb1ELb0ELb0EEEvPT_PKS2_PfPimiiiif
	.p2align	8
	.type	_ZN5aiter19grouped_topk_kernelIfDv2_fLi2ELb1ELb0ELb0EEEvPT_PKS2_PfPimiiiif,@function
_ZN5aiter19grouped_topk_kernelIfDv2_fLi2ELb1ELb0ELb0EEEvPT_PKS2_PfPimiiiif: ; @_ZN5aiter19grouped_topk_kernelIfDv2_fLi2ELb1ELb0ELb0EEEvPT_PKS2_PfPimiiiif
; %bb.0:
	s_load_dwordx4 s[8:11], s[4:5], 0x28
	s_load_dwordx4 s[12:15], s[4:5], 0x10
	s_waitcnt lgkmcnt(0)
	s_lshr_b32 s0, s8, 31
	s_add_i32 s0, s8, s0
	s_ashr_i32 s7, s0, 1
	v_cmp_gt_i32_e64 s[0:1], s7, v0
	s_and_saveexec_b64 s[16:17], s[0:1]
	s_cbranch_execz .LBB154_3
; %bb.1:
	s_load_dword s11, s[4:5], 0x4c
	s_load_dwordx2 s[2:3], s[4:5], 0x0
	s_mul_i32 s18, s6, s8
	s_ashr_i32 s19, s18, 31
	s_lshl_b64 s[18:19], s[18:19], 2
	s_waitcnt lgkmcnt(0)
	s_and_b32 s11, s11, 0xffff
	s_add_u32 s2, s2, s18
	v_lshlrev_b32_e32 v1, 3, v0
	s_addc_u32 s3, s3, s19
	s_mov_b32 s24, 0
	v_mov_b32_e32 v3, s3
	v_add_co_u32_e32 v2, vcc, s2, v1
	v_addc_co_u32_e32 v3, vcc, 0, v3, vcc
	s_lshl_b32 s20, s11, 3
	v_add_u32_e32 v1, 0, v1
	s_mov_b64 s[18:19], 0
	s_mov_b32 s21, 0xbfb8aa3b
	s_mov_b32 s22, 0x42ce8ed0
	;; [unrolled: 1-line block ×3, first 2 shown]
	v_mov_b32_e32 v4, 0x7f800000
	v_mov_b32_e32 v5, s24
	;; [unrolled: 1-line block ×3, first 2 shown]
.LBB154_2:                              ; =>This Inner Loop Header: Depth=1
	global_load_dwordx2 v[8:9], v[2:3], off
	v_add_co_u32_e32 v2, vcc, s20, v2
	v_add_u32_e32 v6, s11, v6
	v_addc_co_u32_e32 v3, vcc, v3, v5, vcc
	v_cmp_le_i32_e32 vcc, s7, v6
	s_or_b64 s[18:19], vcc, s[18:19]
	s_waitcnt vmcnt(0)
	v_mul_f32_e32 v7, 0xbfb8aa3b, v9
	v_mul_f32_e32 v10, 0xbfb8aa3b, v8
	v_rndne_f32_e32 v11, v7
	v_fma_f32 v12, v9, s21, -v7
	v_rndne_f32_e32 v13, v10
	v_fma_f32 v14, v8, s21, -v10
	v_sub_f32_e32 v7, v7, v11
	v_fmac_f32_e32 v12, 0xb2a5705f, v9
	v_sub_f32_e32 v10, v10, v13
	v_fmac_f32_e32 v14, 0xb2a5705f, v8
	v_add_f32_e32 v7, v7, v12
	v_add_f32_e32 v10, v10, v14
	v_cvt_i32_f32_e32 v11, v11
	v_cvt_i32_f32_e32 v13, v13
	v_exp_f32_e32 v7, v7
	v_exp_f32_e32 v10, v10
	v_cmp_nlt_f32_e32 vcc, s22, v8
	v_cmp_nlt_f32_e64 s[2:3], s22, v9
	v_ldexp_f32 v7, v7, v11
	v_ldexp_f32 v10, v10, v13
	v_cndmask_b32_e64 v7, 0, v7, s[2:3]
	v_cndmask_b32_e32 v10, 0, v10, vcc
	v_cmp_ngt_f32_e32 vcc, s23, v8
	v_cmp_ngt_f32_e64 s[2:3], s23, v9
	v_cndmask_b32_e64 v9, v4, v7, s[2:3]
	v_cndmask_b32_e32 v8, v4, v10, vcc
	v_pk_add_f32 v[8:9], v[8:9], 1.0 op_sel_hi:[1,0]
	v_div_scale_f32 v7, s[2:3], v9, v9, 1.0
	v_div_scale_f32 v11, s[2:3], v8, v8, 1.0
	v_rcp_f32_e32 v13, v7
	v_rcp_f32_e32 v14, v11
	v_div_scale_f32 v10, vcc, 1.0, v9, 1.0
	v_fma_f32 v15, -v7, v13, 1.0
	v_fma_f32 v16, -v11, v14, 1.0
	v_fmac_f32_e32 v13, v15, v13
	v_div_scale_f32 v12, s[2:3], 1.0, v8, 1.0
	v_fmac_f32_e32 v14, v16, v14
	v_mul_f32_e32 v15, v10, v13
	v_mul_f32_e32 v16, v12, v14
	v_fma_f32 v17, -v7, v15, v10
	v_fma_f32 v18, -v11, v16, v12
	v_fmac_f32_e32 v15, v17, v13
	v_fmac_f32_e32 v16, v18, v14
	v_fma_f32 v7, -v7, v15, v10
	v_fma_f32 v10, -v11, v16, v12
	v_div_fmas_f32 v7, v7, v13, v15
	s_mov_b64 vcc, s[2:3]
	v_div_fixup_f32 v9, v7, v9, 1.0
	v_div_fmas_f32 v7, v10, v14, v16
	v_div_fixup_f32 v8, v7, v8, 1.0
	ds_write_b64 v1, v[8:9]
	v_add_u32_e32 v1, s20, v1
	s_andn2_b64 exec, exec, s[18:19]
	s_cbranch_execnz .LBB154_2
.LBB154_3:
	s_or_b64 exec, exec, s[16:17]
	s_lshl_b32 s2, s8, 2
	s_add_i32 s22, s2, 0
	v_cmp_gt_u32_e32 vcc, 2, v0
	s_waitcnt lgkmcnt(0)
	s_barrier
	s_and_saveexec_b64 s[16:17], vcc
	s_cbranch_execz .LBB154_10
; %bb.4:
	s_load_dword s2, s[4:5], 0x4c
	v_mul_lo_u32 v1, v0, s7
	v_lshl_add_u32 v1, v1, 2, 0
	s_mov_b64 s[18:19], 0
	s_waitcnt lgkmcnt(0)
	s_and_b32 s11, s2, 0xffff
	s_cmp_gt_i32 s8, 1
	s_cselect_b64 s[2:3], -1, 0
	s_mul_i32 s8, s7, s11
	v_cndmask_b32_e64 v2, 0, 1, s[2:3]
	s_lshl_b32 s8, s8, 2
	v_cmp_ne_u32_e64 s[2:3], 1, v2
	v_mov_b32_e32 v2, v0
	s_branch .LBB154_6
.LBB154_5:                              ;   in Loop: Header=BB154_6 Depth=1
	v_lshl_add_u32 v4, v2, 2, s22
	v_add_u32_e32 v2, s11, v2
	v_cmp_lt_u32_e32 vcc, 1, v2
	s_or_b64 s[18:19], vcc, s[18:19]
	v_add_u32_e32 v1, s8, v1
	ds_write_b32 v4, v3
	s_andn2_b64 exec, exec, s[18:19]
	s_cbranch_execz .LBB154_10
.LBB154_6:                              ; =>This Loop Header: Depth=1
                                        ;     Child Loop BB154_8 Depth 2
	s_and_b64 vcc, exec, s[2:3]
	v_mov_b32_e32 v3, 0xff800000
	s_cbranch_vccnz .LBB154_5
; %bb.7:                                ;   in Loop: Header=BB154_6 Depth=1
	v_mul_lo_u32 v4, v2, s7
	v_add_u32_e32 v5, s7, v4
	s_mov_b64 s[20:21], 0
	v_mov_b32_e32 v3, 0xff800000
	v_mov_b32_e32 v6, v1
.LBB154_8:                              ;   Parent Loop BB154_6 Depth=1
                                        ; =>  This Inner Loop Header: Depth=2
	ds_read_b32 v7, v6
	v_add_u32_e32 v4, 1, v4
	v_cmp_ge_i32_e32 vcc, v4, v5
	s_or_b64 s[20:21], vcc, s[20:21]
	v_add_u32_e32 v6, 4, v6
	s_waitcnt lgkmcnt(0)
	v_cmp_gt_f32_e32 vcc, v7, v3
	v_cndmask_b32_e32 v3, v3, v7, vcc
	s_andn2_b64 exec, exec, s[20:21]
	s_cbranch_execnz .LBB154_8
; %bb.9:                                ;   in Loop: Header=BB154_6 Depth=1
	s_or_b64 exec, exec, s[20:21]
	s_branch .LBB154_5
.LBB154_10:
	s_or_b64 exec, exec, s[16:17]
	s_cmp_lt_i32 s10, 1
	s_waitcnt lgkmcnt(0)
	s_barrier
	s_cbranch_scc1 .LBB154_13
; %bb.11:
	v_mov_b32_e32 v1, s22
	s_mov_b32 s2, 0xff800000
	v_mov_b32_e32 v2, 0xff800000
.LBB154_12:                             ; =>This Inner Loop Header: Depth=1
	ds_read2_b32 v[4:5], v1 offset1:1
	s_add_i32 s10, s10, -1
	s_cmp_lg_u32 s10, 0
	s_waitcnt lgkmcnt(0)
	v_cmp_nlg_f32_e32 vcc, s2, v4
	v_cndmask_b32_e64 v3, 0, 1, vcc
	v_cmp_lg_f32_e32 vcc, s2, v4
	v_cndmask_b32_e32 v4, v2, v4, vcc
	v_lshlrev_b32_e32 v3, 1, v3
	v_cmp_ngt_f32_e32 vcc, v5, v4
	v_cndmask_b32_e32 v3, 1, v3, vcc
	v_lshlrev_b32_e32 v3, 2, v3
	v_add_u32_e32 v3, s22, v3
	ds_write_b32 v3, v2
	s_cbranch_scc1 .LBB154_12
.LBB154_13:
	v_lshlrev_b32_e32 v4, 1, v0
	v_lshl_add_u32 v5, v0, 3, 0
	s_and_saveexec_b64 s[2:3], s[0:1]
	s_cbranch_execz .LBB154_18
; %bb.14:
	s_abs_i32 s8, s7
	v_cvt_f32_u32_e32 v2, s8
	s_load_dword s16, s[4:5], 0x4c
	s_sub_i32 s17, 0, s8
	s_ashr_i32 s18, s7, 31
	v_rcp_iflag_f32_e32 v2, v2
	v_lshlrev_b32_e32 v1, 1, v0
	s_waitcnt lgkmcnt(0)
	s_and_b32 s19, s16, 0xffff
	v_lshl_add_u32 v6, v0, 3, 0
	v_mul_f32_e32 v2, 0x4f7ffffe, v2
	v_cvt_u32_f32_e32 v2, v2
	s_mov_b64 s[10:11], 0
	s_lshl_b32 s20, s19, 1
	s_lshl_b32 s21, s19, 3
	v_mul_lo_u32 v3, s17, v2
	v_mul_hi_u32 v3, v2, v3
	v_add_u32_e32 v7, v2, v3
	s_mov_b32 s23, 0xff800000
	v_mov_b32_e32 v2, 0xff800000
	v_mov_b32_e32 v8, v0
	s_branch .LBB154_16
.LBB154_15:                             ;   in Loop: Header=BB154_16 Depth=1
	s_or_b64 exec, exec, s[16:17]
	v_add_u32_e32 v8, s19, v8
	v_cmp_le_i32_e32 vcc, s7, v8
	v_add_u32_e32 v1, s20, v1
	s_or_b64 s[10:11], vcc, s[10:11]
	v_add_u32_e32 v6, s21, v6
	s_andn2_b64 exec, exec, s[10:11]
	s_cbranch_execz .LBB154_18
.LBB154_16:                             ; =>This Inner Loop Header: Depth=1
	v_mul_hi_u32 v3, v1, v7
	v_mul_lo_u32 v9, v3, s8
	v_sub_u32_e32 v9, v1, v9
	v_add_u32_e32 v10, 1, v3
	v_cmp_le_u32_e32 vcc, s8, v9
	v_cndmask_b32_e32 v3, v3, v10, vcc
	v_subrev_u32_e32 v10, s8, v9
	v_cndmask_b32_e32 v9, v9, v10, vcc
	v_add_u32_e32 v10, 1, v3
	v_cmp_le_u32_e32 vcc, s8, v9
	v_cndmask_b32_e32 v3, v3, v10, vcc
	v_xor_b32_e32 v3, s18, v3
	v_subrev_u32_e32 v3, s18, v3
	v_lshl_add_u32 v3, v3, 2, s22
	ds_read_b32 v3, v3
	s_waitcnt lgkmcnt(0)
	v_cmp_neq_f32_e32 vcc, s23, v3
	s_and_saveexec_b64 s[16:17], vcc
	s_cbranch_execz .LBB154_15
; %bb.17:                               ;   in Loop: Header=BB154_16 Depth=1
	v_mov_b32_e32 v3, v2
	ds_write_b64 v6, v[2:3]
	s_branch .LBB154_15
.LBB154_18:
	s_or_b64 exec, exec, s[2:3]
	s_cmp_lt_i32 s9, 1
	s_waitcnt lgkmcnt(0)
	s_barrier
	s_cbranch_scc1 .LBB154_25
; %bb.19:
	s_add_u32 s2, s4, 64
	s_addc_u32 s3, s5, 0
	s_mov_b32 s8, 0
	v_mov_b32_e32 v2, 0
	v_mov_b32_e32 v6, 0xff800000
                                        ; implicit-def: $vgpr3
                                        ; implicit-def: $vgpr1
	s_branch .LBB154_21
.LBB154_20:                             ;   in Loop: Header=BB154_21 Depth=1
	s_or_b64 exec, exec, s[10:11]
	v_mov_b32_dpp v10, v8 quad_perm:[1,0,3,2] row_mask:0xf bank_mask:0xf
	v_cmp_lt_f32_e32 vcc, v8, v10
	v_cndmask_b32_e32 v8, v8, v10, vcc
	v_mov_b32_dpp v9, v7 quad_perm:[1,0,3,2] row_mask:0xf bank_mask:0xf
	v_cndmask_b32_e32 v7, v7, v9, vcc
	v_mov_b32_dpp v10, v8 quad_perm:[2,3,0,1] row_mask:0xf bank_mask:0xf
	v_cmp_gt_f32_e32 vcc, v10, v8
	v_cndmask_b32_e32 v8, v8, v10, vcc
	v_mov_b32_dpp v9, v7 quad_perm:[2,3,0,1] row_mask:0xf bank_mask:0xf
	v_cndmask_b32_e32 v7, v7, v9, vcc
	v_mov_b32_dpp v10, v8 row_half_mirror row_mask:0xf bank_mask:0xf
	v_cmp_gt_f32_e32 vcc, v10, v8
	v_cndmask_b32_e32 v8, v8, v10, vcc
	v_mov_b32_dpp v9, v7 row_half_mirror row_mask:0xf bank_mask:0xf
	v_cndmask_b32_e32 v7, v7, v9, vcc
	v_mov_b32_dpp v10, v8 row_mirror row_mask:0xf bank_mask:0xf
	v_cmp_gt_f32_e32 vcc, v10, v8
	v_cndmask_b32_e32 v8, v8, v10, vcc
	v_mov_b32_dpp v9, v7 row_mirror row_mask:0xf bank_mask:0xf
	v_cndmask_b32_e32 v7, v7, v9, vcc
	v_mov_b32_dpp v10, v8 row_bcast:15 row_mask:0xf bank_mask:0xf
	v_cmp_gt_f32_e32 vcc, v10, v8
	v_mov_b32_dpp v9, v7 row_bcast:15 row_mask:0xf bank_mask:0xf
	v_cndmask_b32_e32 v8, v8, v10, vcc
	v_cndmask_b32_e32 v7, v7, v9, vcc
	s_nop 0
	v_mov_b32_dpp v10, v8 row_bcast:31 row_mask:0xf bank_mask:0xf
	v_mov_b32_dpp v9, v7 row_bcast:31 row_mask:0xf bank_mask:0xf
	v_cmp_gt_f32_e32 vcc, v10, v8
	v_cndmask_b32_e32 v7, v7, v9, vcc
	v_readlane_b32 s11, v7, 63
	s_lshl_b32 s16, s11, 2
	s_add_i32 s16, s16, 0
	v_cndmask_b32_e32 v8, v8, v10, vcc
	v_mov_b32_e32 v7, s16
	v_readlane_b32 s10, v8, 63
	ds_write_b32 v7, v6
	v_mov_b32_e32 v7, s11
	v_cmp_eq_u32_e32 vcc, s8, v0
	v_cndmask_b32_e32 v1, v1, v7, vcc
	v_mov_b32_e32 v7, s10
	s_add_i32 s8, s8, 1
	v_cndmask_b32_e32 v3, v3, v7, vcc
	s_cmp_eq_u32 s8, s9
	v_add_f32_e32 v2, s10, v2
	s_cbranch_scc1 .LBB154_26
.LBB154_21:                             ; =>This Loop Header: Depth=1
                                        ;     Child Loop BB154_23 Depth 2
	v_mov_b32_e32 v7, s8
	v_mov_b32_e32 v8, 0xff800000
	s_and_saveexec_b64 s[10:11], s[0:1]
	s_cbranch_execz .LBB154_20
; %bb.22:                               ;   in Loop: Header=BB154_21 Depth=1
	s_load_dword s18, s[2:3], 0xc
	s_mov_b64 s[16:17], 0
	v_mov_b32_e32 v7, s8
	v_mov_b32_e32 v8, 0xff800000
	;; [unrolled: 1-line block ×3, first 2 shown]
	s_waitcnt lgkmcnt(0)
	s_and_b32 s18, s18, 0xffff
	s_lshl_b32 s19, s18, 1
	s_lshl_b32 s20, s18, 3
	v_mov_b32_e32 v10, v4
	v_mov_b32_e32 v11, v0
.LBB154_23:                             ;   Parent Loop BB154_21 Depth=1
                                        ; =>  This Inner Loop Header: Depth=2
	ds_read_b64 v[12:13], v9
	v_add_u32_e32 v11, s18, v11
	v_cmp_le_i32_e32 vcc, s7, v11
	s_or_b64 s[16:17], vcc, s[16:17]
	v_add_u32_e32 v14, 1, v10
	s_waitcnt lgkmcnt(0)
	v_cmp_gt_f32_e32 vcc, v12, v8
	v_cndmask_b32_e32 v8, v8, v12, vcc
	v_cndmask_b32_e32 v7, v7, v10, vcc
	v_cmp_gt_f32_e32 vcc, v13, v8
	v_add_u32_e32 v9, s20, v9
	v_cndmask_b32_e32 v8, v8, v13, vcc
	v_add_u32_e32 v10, s19, v10
	v_cndmask_b32_e32 v7, v7, v14, vcc
	s_andn2_b64 exec, exec, s[16:17]
	s_cbranch_execnz .LBB154_23
; %bb.24:                               ;   in Loop: Header=BB154_21 Depth=1
	s_or_b64 exec, exec, s[16:17]
	s_branch .LBB154_20
.LBB154_25:
	v_mov_b32_e32 v2, 0
                                        ; implicit-def: $vgpr3
                                        ; implicit-def: $vgpr1
.LBB154_26:
	v_cmp_gt_i32_e32 vcc, s9, v0
	s_and_saveexec_b64 s[0:1], vcc
	s_cbranch_execz .LBB154_29
; %bb.27:
	s_load_dword s7, s[4:5], 0x38
	s_load_dwordx2 s[0:1], s[4:5], 0x20
	s_load_dword s8, s[4:5], 0x4c
	s_waitcnt lgkmcnt(0)
	v_div_scale_f32 v4, s[2:3], v2, v2, s7
	v_rcp_f32_e32 v5, v4
	v_div_scale_f32 v6, vcc, s7, v2, s7
	s_ashr_i32 s2, s6, 31
	v_fma_f32 v7, -v4, v5, 1.0
	v_fmac_f32_e32 v5, v7, v5
	v_mul_f32_e32 v7, v6, v5
	v_fma_f32 v8, -v4, v7, v6
	v_fmac_f32_e32 v7, v8, v5
	v_fma_f32 v4, -v4, v7, v6
	s_mul_i32 s1, s6, s1
	s_mul_hi_u32 s3, s6, s0
	v_div_fmas_f32 v4, v4, v5, v7
	s_add_i32 s1, s3, s1
	s_mul_i32 s2, s2, s0
	v_div_fixup_f32 v2, v4, v2, s7
	s_add_i32 s4, s1, s2
	v_mul_f32_e32 v2, v2, v3
	s_mul_i32 s2, s6, s0
	s_and_b32 s3, s8, 0xffff
	s_mov_b64 s[0:1], 0
	v_mov_b32_e32 v3, s4
	v_mov_b32_e32 v4, s13
	;; [unrolled: 1-line block ×3, first 2 shown]
.LBB154_28:                             ; =>This Inner Loop Header: Depth=1
	v_ashrrev_i32_e32 v7, 31, v0
	v_add_co_u32_e32 v6, vcc, s2, v0
	v_addc_co_u32_e32 v7, vcc, v3, v7, vcc
	v_add_u32_e32 v0, s3, v0
	v_cmp_le_i32_e32 vcc, s9, v0
	v_lshlrev_b64 v[6:7], 2, v[6:7]
	s_or_b64 s[0:1], vcc, s[0:1]
	v_add_co_u32_e32 v8, vcc, s12, v6
	v_addc_co_u32_e32 v9, vcc, v4, v7, vcc
	v_add_co_u32_e32 v6, vcc, s14, v6
	v_addc_co_u32_e32 v7, vcc, v5, v7, vcc
	global_store_dword v[8:9], v2, off
	global_store_dword v[6:7], v1, off
	s_andn2_b64 exec, exec, s[0:1]
	s_cbranch_execnz .LBB154_28
.LBB154_29:
	s_endpgm
	.section	.rodata,"a",@progbits
	.p2align	6, 0x0
	.amdhsa_kernel _ZN5aiter19grouped_topk_kernelIfDv2_fLi2ELb1ELb0ELb0EEEvPT_PKS2_PfPimiiiif
		.amdhsa_group_segment_fixed_size 0
		.amdhsa_private_segment_fixed_size 0
		.amdhsa_kernarg_size 320
		.amdhsa_user_sgpr_count 6
		.amdhsa_user_sgpr_private_segment_buffer 1
		.amdhsa_user_sgpr_dispatch_ptr 0
		.amdhsa_user_sgpr_queue_ptr 0
		.amdhsa_user_sgpr_kernarg_segment_ptr 1
		.amdhsa_user_sgpr_dispatch_id 0
		.amdhsa_user_sgpr_flat_scratch_init 0
		.amdhsa_user_sgpr_kernarg_preload_length 0
		.amdhsa_user_sgpr_kernarg_preload_offset 0
		.amdhsa_user_sgpr_private_segment_size 0
		.amdhsa_uses_dynamic_stack 0
		.amdhsa_system_sgpr_private_segment_wavefront_offset 0
		.amdhsa_system_sgpr_workgroup_id_x 1
		.amdhsa_system_sgpr_workgroup_id_y 0
		.amdhsa_system_sgpr_workgroup_id_z 0
		.amdhsa_system_sgpr_workgroup_info 0
		.amdhsa_system_vgpr_workitem_id 0
		.amdhsa_next_free_vgpr 19
		.amdhsa_next_free_sgpr 25
		.amdhsa_accum_offset 20
		.amdhsa_reserve_vcc 1
		.amdhsa_reserve_flat_scratch 0
		.amdhsa_float_round_mode_32 0
		.amdhsa_float_round_mode_16_64 0
		.amdhsa_float_denorm_mode_32 3
		.amdhsa_float_denorm_mode_16_64 3
		.amdhsa_dx10_clamp 1
		.amdhsa_ieee_mode 1
		.amdhsa_fp16_overflow 0
		.amdhsa_tg_split 0
		.amdhsa_exception_fp_ieee_invalid_op 0
		.amdhsa_exception_fp_denorm_src 0
		.amdhsa_exception_fp_ieee_div_zero 0
		.amdhsa_exception_fp_ieee_overflow 0
		.amdhsa_exception_fp_ieee_underflow 0
		.amdhsa_exception_fp_ieee_inexact 0
		.amdhsa_exception_int_div_zero 0
	.end_amdhsa_kernel
	.section	.text._ZN5aiter19grouped_topk_kernelIfDv2_fLi2ELb1ELb0ELb0EEEvPT_PKS2_PfPimiiiif,"axG",@progbits,_ZN5aiter19grouped_topk_kernelIfDv2_fLi2ELb1ELb0ELb0EEEvPT_PKS2_PfPimiiiif,comdat
.Lfunc_end154:
	.size	_ZN5aiter19grouped_topk_kernelIfDv2_fLi2ELb1ELb0ELb0EEEvPT_PKS2_PfPimiiiif, .Lfunc_end154-_ZN5aiter19grouped_topk_kernelIfDv2_fLi2ELb1ELb0ELb0EEEvPT_PKS2_PfPimiiiif
                                        ; -- End function
	.section	.AMDGPU.csdata,"",@progbits
; Kernel info:
; codeLenInByte = 1864
; NumSgprs: 29
; NumVgprs: 19
; NumAgprs: 0
; TotalNumVgprs: 19
; ScratchSize: 0
; MemoryBound: 0
; FloatMode: 240
; IeeeMode: 1
; LDSByteSize: 0 bytes/workgroup (compile time only)
; SGPRBlocks: 3
; VGPRBlocks: 2
; NumSGPRsForWavesPerEU: 29
; NumVGPRsForWavesPerEU: 19
; AccumOffset: 20
; Occupancy: 8
; WaveLimiterHint : 0
; COMPUTE_PGM_RSRC2:SCRATCH_EN: 0
; COMPUTE_PGM_RSRC2:USER_SGPR: 6
; COMPUTE_PGM_RSRC2:TRAP_HANDLER: 0
; COMPUTE_PGM_RSRC2:TGID_X_EN: 1
; COMPUTE_PGM_RSRC2:TGID_Y_EN: 0
; COMPUTE_PGM_RSRC2:TGID_Z_EN: 0
; COMPUTE_PGM_RSRC2:TIDIG_COMP_CNT: 0
; COMPUTE_PGM_RSRC3_GFX90A:ACCUM_OFFSET: 4
; COMPUTE_PGM_RSRC3_GFX90A:TG_SPLIT: 0
	.section	.text._ZN5aiter19grouped_topk_kernelIN3c104HalfEDv2_fLi2ELb1ELb0ELb0EEEvPT_PKS4_PfPimiiiif,"axG",@progbits,_ZN5aiter19grouped_topk_kernelIN3c104HalfEDv2_fLi2ELb1ELb0ELb0EEEvPT_PKS4_PfPimiiiif,comdat
	.protected	_ZN5aiter19grouped_topk_kernelIN3c104HalfEDv2_fLi2ELb1ELb0ELb0EEEvPT_PKS4_PfPimiiiif ; -- Begin function _ZN5aiter19grouped_topk_kernelIN3c104HalfEDv2_fLi2ELb1ELb0ELb0EEEvPT_PKS4_PfPimiiiif
	.globl	_ZN5aiter19grouped_topk_kernelIN3c104HalfEDv2_fLi2ELb1ELb0ELb0EEEvPT_PKS4_PfPimiiiif
	.p2align	8
	.type	_ZN5aiter19grouped_topk_kernelIN3c104HalfEDv2_fLi2ELb1ELb0ELb0EEEvPT_PKS4_PfPimiiiif,@function
_ZN5aiter19grouped_topk_kernelIN3c104HalfEDv2_fLi2ELb1ELb0ELb0EEEvPT_PKS4_PfPimiiiif: ; @_ZN5aiter19grouped_topk_kernelIN3c104HalfEDv2_fLi2ELb1ELb0ELb0EEEvPT_PKS4_PfPimiiiif
; %bb.0:
	s_load_dwordx4 s[8:11], s[4:5], 0x28
	s_load_dwordx4 s[12:15], s[4:5], 0x10
	v_lshl_add_u32 v1, v0, 3, 0
	s_waitcnt lgkmcnt(0)
	s_lshr_b32 s0, s8, 31
	s_add_i32 s0, s8, s0
	s_ashr_i32 s7, s0, 1
	v_cmp_gt_i32_e64 s[0:1], s7, v0
	s_and_saveexec_b64 s[16:17], s[0:1]
	s_cbranch_execz .LBB155_3
; %bb.1:
	s_load_dword s11, s[4:5], 0x4c
	s_load_dwordx2 s[2:3], s[4:5], 0x0
	s_mul_i32 s18, s6, s8
	s_ashr_i32 s19, s18, 31
	s_lshl_b64 s[18:19], s[18:19], 1
	s_waitcnt lgkmcnt(0)
	s_and_b32 s11, s11, 0xffff
	s_add_u32 s2, s2, s18
	v_lshlrev_b32_e32 v2, 2, v0
	s_addc_u32 s3, s3, s19
	s_mov_b32 s26, 0
	v_mov_b32_e32 v3, s3
	v_add_co_u32_e32 v2, vcc, s2, v2
	v_addc_co_u32_e32 v3, vcc, 0, v3, vcc
	s_lshl_b32 s20, s11, 2
	v_lshl_add_u32 v4, v0, 3, 0
	s_lshl_b32 s21, s11, 3
	s_mov_b64 s[18:19], 0
	s_mov_b32 s22, 0x3fb8aa3b
	s_mov_b32 s23, 0x32a5705f
	;; [unrolled: 1-line block ×4, first 2 shown]
	v_mov_b32_e32 v5, 0x7f800000
	v_mov_b32_e32 v6, s26
	;; [unrolled: 1-line block ×3, first 2 shown]
.LBB155_2:                              ; =>This Inner Loop Header: Depth=1
	global_load_dword v8, v[2:3], off
	v_add_co_u32_e32 v2, vcc, s20, v2
	v_add_u32_e32 v7, s11, v7
	v_addc_co_u32_e32 v3, vcc, v3, v6, vcc
	v_cmp_le_i32_e32 vcc, s7, v7
	s_or_b64 s[18:19], vcc, s[18:19]
	s_waitcnt vmcnt(0)
	v_cvt_f32_f16_e64 v9, -v8
	v_cvt_f32_f16_sdwa v10, -v8 dst_sel:DWORD dst_unused:UNUSED_PAD src0_sel:WORD_1
	v_mul_f32_e32 v11, 0x3fb8aa3b, v9
	v_mul_f32_e32 v12, 0x3fb8aa3b, v10
	v_rndne_f32_e32 v13, v11
	v_fma_mix_f32 v14, -v8, s22, -v11 op_sel_hi:[1,0,0]
	v_rndne_f32_e32 v15, v12
	v_fma_mix_f32 v16, -v8, s22, -v12 op_sel:[1,0,0] op_sel_hi:[1,0,0]
	v_sub_f32_e32 v11, v11, v13
	v_fma_mix_f32 v14, -v8, s23, v14 op_sel_hi:[1,0,0]
	v_sub_f32_e32 v12, v12, v15
	v_fma_mix_f32 v8, -v8, s23, v16 op_sel:[1,0,0] op_sel_hi:[1,0,0]
	v_add_f32_e32 v11, v11, v14
	v_add_f32_e32 v8, v12, v8
	v_cvt_i32_f32_e32 v13, v13
	v_cvt_i32_f32_e32 v15, v15
	v_exp_f32_e32 v11, v11
	v_exp_f32_e32 v8, v8
	v_cmp_ngt_f32_e32 vcc, s24, v10
	v_cmp_ngt_f32_e64 s[2:3], s24, v9
	v_ldexp_f32 v11, v11, v13
	v_ldexp_f32 v8, v8, v15
	v_cndmask_b32_e64 v11, 0, v11, s[2:3]
	v_cndmask_b32_e32 v12, 0, v8, vcc
	v_cmp_nlt_f32_e32 vcc, s25, v10
	v_cmp_nlt_f32_e64 s[2:3], s25, v9
	v_cndmask_b32_e64 v8, v5, v11, s[2:3]
	v_cndmask_b32_e32 v9, v5, v12, vcc
	v_pk_add_f32 v[8:9], v[8:9], 1.0 op_sel_hi:[1,0]
	v_div_scale_f32 v10, s[2:3], v9, v9, 1.0
	v_div_scale_f32 v12, s[2:3], v8, v8, 1.0
	v_rcp_f32_e32 v14, v10
	v_rcp_f32_e32 v15, v12
	v_div_scale_f32 v11, vcc, 1.0, v9, 1.0
	v_fma_f32 v16, -v10, v14, 1.0
	v_fma_f32 v17, -v12, v15, 1.0
	v_fmac_f32_e32 v14, v16, v14
	v_div_scale_f32 v13, s[2:3], 1.0, v8, 1.0
	v_fmac_f32_e32 v15, v17, v15
	v_mul_f32_e32 v16, v11, v14
	v_mul_f32_e32 v17, v13, v15
	v_fma_f32 v18, -v10, v16, v11
	v_fma_f32 v19, -v12, v17, v13
	v_fmac_f32_e32 v16, v18, v14
	v_fmac_f32_e32 v17, v19, v15
	v_fma_f32 v10, -v10, v16, v11
	v_fma_f32 v11, -v12, v17, v13
	v_div_fmas_f32 v10, v10, v14, v16
	s_mov_b64 vcc, s[2:3]
	v_div_fixup_f32 v9, v10, v9, 1.0
	v_div_fmas_f32 v10, v11, v15, v17
	v_div_fixup_f32 v8, v10, v8, 1.0
	ds_write_b64 v4, v[8:9]
	v_add_u32_e32 v4, s21, v4
	s_andn2_b64 exec, exec, s[18:19]
	s_cbranch_execnz .LBB155_2
.LBB155_3:
	s_or_b64 exec, exec, s[16:17]
	s_lshl_b32 s2, s8, 2
	s_add_i32 s22, s2, 0
	v_cmp_gt_u32_e32 vcc, 2, v0
	s_waitcnt lgkmcnt(0)
	s_barrier
	s_and_saveexec_b64 s[16:17], vcc
	s_cbranch_execz .LBB155_10
; %bb.4:
	s_load_dword s2, s[4:5], 0x4c
	v_mul_lo_u32 v2, v0, s7
	v_lshl_add_u32 v2, v2, 2, 0
	s_mov_b64 s[18:19], 0
	s_waitcnt lgkmcnt(0)
	s_and_b32 s11, s2, 0xffff
	s_cmp_gt_i32 s8, 1
	s_cselect_b64 s[2:3], -1, 0
	s_mul_i32 s8, s7, s11
	v_cndmask_b32_e64 v3, 0, 1, s[2:3]
	s_lshl_b32 s8, s8, 2
	v_cmp_ne_u32_e64 s[2:3], 1, v3
	v_mov_b32_e32 v3, v0
	s_branch .LBB155_6
.LBB155_5:                              ;   in Loop: Header=BB155_6 Depth=1
	v_lshl_add_u32 v5, v3, 2, s22
	v_add_u32_e32 v3, s11, v3
	v_cmp_lt_u32_e32 vcc, 1, v3
	s_or_b64 s[18:19], vcc, s[18:19]
	v_add_u32_e32 v2, s8, v2
	ds_write_b32 v5, v4
	s_andn2_b64 exec, exec, s[18:19]
	s_cbranch_execz .LBB155_10
.LBB155_6:                              ; =>This Loop Header: Depth=1
                                        ;     Child Loop BB155_8 Depth 2
	s_and_b64 vcc, exec, s[2:3]
	v_mov_b32_e32 v4, 0xff800000
	s_cbranch_vccnz .LBB155_5
; %bb.7:                                ;   in Loop: Header=BB155_6 Depth=1
	v_mul_lo_u32 v5, v3, s7
	v_add_u32_e32 v6, s7, v5
	s_mov_b64 s[20:21], 0
	v_mov_b32_e32 v4, 0xff800000
	v_mov_b32_e32 v7, v2
.LBB155_8:                              ;   Parent Loop BB155_6 Depth=1
                                        ; =>  This Inner Loop Header: Depth=2
	ds_read_b32 v8, v7
	v_add_u32_e32 v5, 1, v5
	v_cmp_ge_i32_e32 vcc, v5, v6
	s_or_b64 s[20:21], vcc, s[20:21]
	v_add_u32_e32 v7, 4, v7
	s_waitcnt lgkmcnt(0)
	v_cmp_gt_f32_e32 vcc, v8, v4
	v_cndmask_b32_e32 v4, v4, v8, vcc
	s_andn2_b64 exec, exec, s[20:21]
	s_cbranch_execnz .LBB155_8
; %bb.9:                                ;   in Loop: Header=BB155_6 Depth=1
	s_or_b64 exec, exec, s[20:21]
	s_branch .LBB155_5
.LBB155_10:
	s_or_b64 exec, exec, s[16:17]
	s_cmp_lt_i32 s10, 1
	s_waitcnt lgkmcnt(0)
	s_barrier
	s_cbranch_scc1 .LBB155_13
; %bb.11:
	v_mov_b32_e32 v2, s22
	s_mov_b32 s2, 0xff800000
	v_mov_b32_e32 v3, 0xff800000
.LBB155_12:                             ; =>This Inner Loop Header: Depth=1
	ds_read2_b32 v[4:5], v2 offset1:1
	s_add_i32 s10, s10, -1
	s_cmp_lg_u32 s10, 0
	s_waitcnt lgkmcnt(0)
	v_cmp_nlg_f32_e32 vcc, s2, v4
	v_cndmask_b32_e64 v6, 0, 1, vcc
	v_cmp_lg_f32_e32 vcc, s2, v4
	v_cndmask_b32_e32 v4, v3, v4, vcc
	v_lshlrev_b32_e32 v6, 1, v6
	v_cmp_ngt_f32_e32 vcc, v5, v4
	v_cndmask_b32_e32 v4, 1, v6, vcc
	v_lshlrev_b32_e32 v4, 2, v4
	v_add_u32_e32 v4, s22, v4
	ds_write_b32 v4, v3
	s_cbranch_scc1 .LBB155_12
.LBB155_13:
	v_lshlrev_b32_e32 v4, 1, v0
	s_and_saveexec_b64 s[2:3], s[0:1]
	s_cbranch_execz .LBB155_18
; %bb.14:
	s_abs_i32 s8, s7
	v_cvt_f32_u32_e32 v2, s8
	s_load_dword s16, s[4:5], 0x4c
	s_sub_i32 s17, 0, s8
	s_ashr_i32 s18, s7, 31
	v_rcp_iflag_f32_e32 v2, v2
	v_lshlrev_b32_e32 v5, 1, v0
	s_waitcnt lgkmcnt(0)
	s_and_b32 s19, s16, 0xffff
	v_lshl_add_u32 v6, v0, 3, 0
	v_mul_f32_e32 v2, 0x4f7ffffe, v2
	v_cvt_u32_f32_e32 v2, v2
	s_mov_b64 s[10:11], 0
	s_lshl_b32 s20, s19, 1
	s_lshl_b32 s21, s19, 3
	v_mul_lo_u32 v3, s17, v2
	v_mul_hi_u32 v3, v2, v3
	v_add_u32_e32 v7, v2, v3
	s_mov_b32 s23, 0xff800000
	v_mov_b32_e32 v2, 0xff800000
	v_mov_b32_e32 v8, v0
	s_branch .LBB155_16
.LBB155_15:                             ;   in Loop: Header=BB155_16 Depth=1
	s_or_b64 exec, exec, s[16:17]
	v_add_u32_e32 v8, s19, v8
	v_cmp_le_i32_e32 vcc, s7, v8
	v_add_u32_e32 v5, s20, v5
	s_or_b64 s[10:11], vcc, s[10:11]
	v_add_u32_e32 v6, s21, v6
	s_andn2_b64 exec, exec, s[10:11]
	s_cbranch_execz .LBB155_18
.LBB155_16:                             ; =>This Inner Loop Header: Depth=1
	v_mul_hi_u32 v3, v5, v7
	v_mul_lo_u32 v9, v3, s8
	v_sub_u32_e32 v9, v5, v9
	v_add_u32_e32 v10, 1, v3
	v_cmp_le_u32_e32 vcc, s8, v9
	v_cndmask_b32_e32 v3, v3, v10, vcc
	v_subrev_u32_e32 v10, s8, v9
	v_cndmask_b32_e32 v9, v9, v10, vcc
	v_add_u32_e32 v10, 1, v3
	v_cmp_le_u32_e32 vcc, s8, v9
	v_cndmask_b32_e32 v3, v3, v10, vcc
	v_xor_b32_e32 v3, s18, v3
	v_subrev_u32_e32 v3, s18, v3
	v_lshl_add_u32 v3, v3, 2, s22
	ds_read_b32 v3, v3
	s_waitcnt lgkmcnt(0)
	v_cmp_neq_f32_e32 vcc, s23, v3
	s_and_saveexec_b64 s[16:17], vcc
	s_cbranch_execz .LBB155_15
; %bb.17:                               ;   in Loop: Header=BB155_16 Depth=1
	v_mov_b32_e32 v3, v2
	ds_write_b64 v6, v[2:3]
	s_branch .LBB155_15
.LBB155_18:
	s_or_b64 exec, exec, s[2:3]
	s_cmp_lt_i32 s9, 1
	s_waitcnt lgkmcnt(0)
	s_barrier
	s_cbranch_scc1 .LBB155_25
; %bb.19:
	s_add_u32 s2, s4, 64
	s_addc_u32 s3, s5, 0
	s_mov_b32 s8, 0
	v_mov_b32_e32 v3, 0
	v_mov_b32_e32 v6, 0xff800000
                                        ; implicit-def: $vgpr5
                                        ; implicit-def: $vgpr2
	s_branch .LBB155_21
.LBB155_20:                             ;   in Loop: Header=BB155_21 Depth=1
	s_or_b64 exec, exec, s[10:11]
	v_mov_b32_dpp v10, v8 quad_perm:[1,0,3,2] row_mask:0xf bank_mask:0xf
	v_cmp_lt_f32_e32 vcc, v8, v10
	v_cndmask_b32_e32 v8, v8, v10, vcc
	v_mov_b32_dpp v9, v7 quad_perm:[1,0,3,2] row_mask:0xf bank_mask:0xf
	v_cndmask_b32_e32 v7, v7, v9, vcc
	v_mov_b32_dpp v10, v8 quad_perm:[2,3,0,1] row_mask:0xf bank_mask:0xf
	v_cmp_gt_f32_e32 vcc, v10, v8
	v_cndmask_b32_e32 v8, v8, v10, vcc
	v_mov_b32_dpp v9, v7 quad_perm:[2,3,0,1] row_mask:0xf bank_mask:0xf
	v_cndmask_b32_e32 v7, v7, v9, vcc
	v_mov_b32_dpp v10, v8 row_half_mirror row_mask:0xf bank_mask:0xf
	v_cmp_gt_f32_e32 vcc, v10, v8
	v_cndmask_b32_e32 v8, v8, v10, vcc
	v_mov_b32_dpp v9, v7 row_half_mirror row_mask:0xf bank_mask:0xf
	v_cndmask_b32_e32 v7, v7, v9, vcc
	v_mov_b32_dpp v10, v8 row_mirror row_mask:0xf bank_mask:0xf
	v_cmp_gt_f32_e32 vcc, v10, v8
	v_cndmask_b32_e32 v8, v8, v10, vcc
	v_mov_b32_dpp v9, v7 row_mirror row_mask:0xf bank_mask:0xf
	v_cndmask_b32_e32 v7, v7, v9, vcc
	v_mov_b32_dpp v10, v8 row_bcast:15 row_mask:0xf bank_mask:0xf
	v_cmp_gt_f32_e32 vcc, v10, v8
	v_mov_b32_dpp v9, v7 row_bcast:15 row_mask:0xf bank_mask:0xf
	v_cndmask_b32_e32 v8, v8, v10, vcc
	v_cndmask_b32_e32 v7, v7, v9, vcc
	s_nop 0
	v_mov_b32_dpp v10, v8 row_bcast:31 row_mask:0xf bank_mask:0xf
	v_mov_b32_dpp v9, v7 row_bcast:31 row_mask:0xf bank_mask:0xf
	v_cmp_gt_f32_e32 vcc, v10, v8
	v_cndmask_b32_e32 v7, v7, v9, vcc
	v_readlane_b32 s11, v7, 63
	s_lshl_b32 s16, s11, 2
	s_add_i32 s16, s16, 0
	v_cndmask_b32_e32 v8, v8, v10, vcc
	v_mov_b32_e32 v7, s16
	v_readlane_b32 s10, v8, 63
	ds_write_b32 v7, v6
	v_mov_b32_e32 v7, s11
	v_cmp_eq_u32_e32 vcc, s8, v0
	v_cndmask_b32_e32 v2, v2, v7, vcc
	v_mov_b32_e32 v7, s10
	s_add_i32 s8, s8, 1
	v_cndmask_b32_e32 v5, v5, v7, vcc
	s_cmp_eq_u32 s8, s9
	v_add_f32_e32 v3, s10, v3
	s_cbranch_scc1 .LBB155_26
.LBB155_21:                             ; =>This Loop Header: Depth=1
                                        ;     Child Loop BB155_23 Depth 2
	v_mov_b32_e32 v7, s8
	v_mov_b32_e32 v8, 0xff800000
	s_and_saveexec_b64 s[10:11], s[0:1]
	s_cbranch_execz .LBB155_20
; %bb.22:                               ;   in Loop: Header=BB155_21 Depth=1
	s_load_dword s18, s[2:3], 0xc
	s_mov_b64 s[16:17], 0
	v_mov_b32_e32 v7, s8
	v_mov_b32_e32 v8, 0xff800000
	;; [unrolled: 1-line block ×3, first 2 shown]
	s_waitcnt lgkmcnt(0)
	s_and_b32 s18, s18, 0xffff
	s_lshl_b32 s19, s18, 1
	s_lshl_b32 s20, s18, 3
	v_mov_b32_e32 v10, v4
	v_mov_b32_e32 v11, v0
.LBB155_23:                             ;   Parent Loop BB155_21 Depth=1
                                        ; =>  This Inner Loop Header: Depth=2
	ds_read_b64 v[12:13], v9
	v_add_u32_e32 v11, s18, v11
	v_cmp_le_i32_e32 vcc, s7, v11
	s_or_b64 s[16:17], vcc, s[16:17]
	v_add_u32_e32 v14, 1, v10
	s_waitcnt lgkmcnt(0)
	v_cmp_gt_f32_e32 vcc, v12, v8
	v_cndmask_b32_e32 v8, v8, v12, vcc
	v_cndmask_b32_e32 v7, v7, v10, vcc
	v_cmp_gt_f32_e32 vcc, v13, v8
	v_add_u32_e32 v9, s20, v9
	v_cndmask_b32_e32 v8, v8, v13, vcc
	v_add_u32_e32 v10, s19, v10
	v_cndmask_b32_e32 v7, v7, v14, vcc
	s_andn2_b64 exec, exec, s[16:17]
	s_cbranch_execnz .LBB155_23
; %bb.24:                               ;   in Loop: Header=BB155_21 Depth=1
	s_or_b64 exec, exec, s[16:17]
	s_branch .LBB155_20
.LBB155_25:
	v_mov_b32_e32 v3, 0
                                        ; implicit-def: $vgpr5
                                        ; implicit-def: $vgpr2
.LBB155_26:
	v_cmp_gt_i32_e32 vcc, s9, v0
	s_and_saveexec_b64 s[0:1], vcc
	s_cbranch_execz .LBB155_29
; %bb.27:
	s_load_dword s7, s[4:5], 0x38
	s_load_dwordx2 s[0:1], s[4:5], 0x20
	s_load_dword s8, s[4:5], 0x4c
	s_waitcnt lgkmcnt(0)
	v_div_scale_f32 v1, s[2:3], v3, v3, s7
	v_rcp_f32_e32 v4, v1
	v_div_scale_f32 v6, vcc, s7, v3, s7
	s_ashr_i32 s2, s6, 31
	v_fma_f32 v7, -v1, v4, 1.0
	v_fmac_f32_e32 v4, v7, v4
	v_mul_f32_e32 v7, v6, v4
	v_fma_f32 v8, -v1, v7, v6
	v_fmac_f32_e32 v7, v8, v4
	v_fma_f32 v1, -v1, v7, v6
	s_mul_i32 s1, s6, s1
	s_mul_hi_u32 s3, s6, s0
	v_div_fmas_f32 v1, v1, v4, v7
	s_add_i32 s1, s3, s1
	s_mul_i32 s2, s2, s0
	v_div_fixup_f32 v1, v1, v3, s7
	s_add_i32 s4, s1, s2
	v_mul_f32_e32 v1, v1, v5
	s_mul_i32 s2, s6, s0
	s_and_b32 s3, s8, 0xffff
	s_mov_b64 s[0:1], 0
	v_mov_b32_e32 v3, s4
	v_mov_b32_e32 v4, s13
	;; [unrolled: 1-line block ×3, first 2 shown]
.LBB155_28:                             ; =>This Inner Loop Header: Depth=1
	v_ashrrev_i32_e32 v7, 31, v0
	v_add_co_u32_e32 v6, vcc, s2, v0
	v_addc_co_u32_e32 v7, vcc, v3, v7, vcc
	v_add_u32_e32 v0, s3, v0
	v_cmp_le_i32_e32 vcc, s9, v0
	v_lshlrev_b64 v[6:7], 2, v[6:7]
	s_or_b64 s[0:1], vcc, s[0:1]
	v_add_co_u32_e32 v8, vcc, s12, v6
	v_addc_co_u32_e32 v9, vcc, v4, v7, vcc
	v_add_co_u32_e32 v6, vcc, s14, v6
	v_addc_co_u32_e32 v7, vcc, v5, v7, vcc
	global_store_dword v[8:9], v1, off
	global_store_dword v[6:7], v2, off
	s_andn2_b64 exec, exec, s[0:1]
	s_cbranch_execnz .LBB155_28
.LBB155_29:
	s_endpgm
	.section	.rodata,"a",@progbits
	.p2align	6, 0x0
	.amdhsa_kernel _ZN5aiter19grouped_topk_kernelIN3c104HalfEDv2_fLi2ELb1ELb0ELb0EEEvPT_PKS4_PfPimiiiif
		.amdhsa_group_segment_fixed_size 0
		.amdhsa_private_segment_fixed_size 0
		.amdhsa_kernarg_size 320
		.amdhsa_user_sgpr_count 6
		.amdhsa_user_sgpr_private_segment_buffer 1
		.amdhsa_user_sgpr_dispatch_ptr 0
		.amdhsa_user_sgpr_queue_ptr 0
		.amdhsa_user_sgpr_kernarg_segment_ptr 1
		.amdhsa_user_sgpr_dispatch_id 0
		.amdhsa_user_sgpr_flat_scratch_init 0
		.amdhsa_user_sgpr_kernarg_preload_length 0
		.amdhsa_user_sgpr_kernarg_preload_offset 0
		.amdhsa_user_sgpr_private_segment_size 0
		.amdhsa_uses_dynamic_stack 0
		.amdhsa_system_sgpr_private_segment_wavefront_offset 0
		.amdhsa_system_sgpr_workgroup_id_x 1
		.amdhsa_system_sgpr_workgroup_id_y 0
		.amdhsa_system_sgpr_workgroup_id_z 0
		.amdhsa_system_sgpr_workgroup_info 0
		.amdhsa_system_vgpr_workitem_id 0
		.amdhsa_next_free_vgpr 20
		.amdhsa_next_free_sgpr 27
		.amdhsa_accum_offset 20
		.amdhsa_reserve_vcc 1
		.amdhsa_reserve_flat_scratch 0
		.amdhsa_float_round_mode_32 0
		.amdhsa_float_round_mode_16_64 0
		.amdhsa_float_denorm_mode_32 3
		.amdhsa_float_denorm_mode_16_64 3
		.amdhsa_dx10_clamp 1
		.amdhsa_ieee_mode 1
		.amdhsa_fp16_overflow 0
		.amdhsa_tg_split 0
		.amdhsa_exception_fp_ieee_invalid_op 0
		.amdhsa_exception_fp_denorm_src 0
		.amdhsa_exception_fp_ieee_div_zero 0
		.amdhsa_exception_fp_ieee_overflow 0
		.amdhsa_exception_fp_ieee_underflow 0
		.amdhsa_exception_fp_ieee_inexact 0
		.amdhsa_exception_int_div_zero 0
	.end_amdhsa_kernel
	.section	.text._ZN5aiter19grouped_topk_kernelIN3c104HalfEDv2_fLi2ELb1ELb0ELb0EEEvPT_PKS4_PfPimiiiif,"axG",@progbits,_ZN5aiter19grouped_topk_kernelIN3c104HalfEDv2_fLi2ELb1ELb0ELb0EEEvPT_PKS4_PfPimiiiif,comdat
.Lfunc_end155:
	.size	_ZN5aiter19grouped_topk_kernelIN3c104HalfEDv2_fLi2ELb1ELb0ELb0EEEvPT_PKS4_PfPimiiiif, .Lfunc_end155-_ZN5aiter19grouped_topk_kernelIN3c104HalfEDv2_fLi2ELb1ELb0ELb0EEEvPT_PKS4_PfPimiiiif
                                        ; -- End function
	.section	.AMDGPU.csdata,"",@progbits
; Kernel info:
; codeLenInByte = 1896
; NumSgprs: 31
; NumVgprs: 20
; NumAgprs: 0
; TotalNumVgprs: 20
; ScratchSize: 0
; MemoryBound: 0
; FloatMode: 240
; IeeeMode: 1
; LDSByteSize: 0 bytes/workgroup (compile time only)
; SGPRBlocks: 3
; VGPRBlocks: 2
; NumSGPRsForWavesPerEU: 31
; NumVGPRsForWavesPerEU: 20
; AccumOffset: 20
; Occupancy: 8
; WaveLimiterHint : 0
; COMPUTE_PGM_RSRC2:SCRATCH_EN: 0
; COMPUTE_PGM_RSRC2:USER_SGPR: 6
; COMPUTE_PGM_RSRC2:TRAP_HANDLER: 0
; COMPUTE_PGM_RSRC2:TGID_X_EN: 1
; COMPUTE_PGM_RSRC2:TGID_Y_EN: 0
; COMPUTE_PGM_RSRC2:TGID_Z_EN: 0
; COMPUTE_PGM_RSRC2:TIDIG_COMP_CNT: 0
; COMPUTE_PGM_RSRC3_GFX90A:ACCUM_OFFSET: 4
; COMPUTE_PGM_RSRC3_GFX90A:TG_SPLIT: 0
	.section	.text._ZN5aiter19grouped_topk_kernelIN3c108BFloat16EDv2_fLi2ELb1ELb0ELb0EEEvPT_PKS4_PfPimiiiif,"axG",@progbits,_ZN5aiter19grouped_topk_kernelIN3c108BFloat16EDv2_fLi2ELb1ELb0ELb0EEEvPT_PKS4_PfPimiiiif,comdat
	.protected	_ZN5aiter19grouped_topk_kernelIN3c108BFloat16EDv2_fLi2ELb1ELb0ELb0EEEvPT_PKS4_PfPimiiiif ; -- Begin function _ZN5aiter19grouped_topk_kernelIN3c108BFloat16EDv2_fLi2ELb1ELb0ELb0EEEvPT_PKS4_PfPimiiiif
	.globl	_ZN5aiter19grouped_topk_kernelIN3c108BFloat16EDv2_fLi2ELb1ELb0ELb0EEEvPT_PKS4_PfPimiiiif
	.p2align	8
	.type	_ZN5aiter19grouped_topk_kernelIN3c108BFloat16EDv2_fLi2ELb1ELb0ELb0EEEvPT_PKS4_PfPimiiiif,@function
_ZN5aiter19grouped_topk_kernelIN3c108BFloat16EDv2_fLi2ELb1ELb0ELb0EEEvPT_PKS4_PfPimiiiif: ; @_ZN5aiter19grouped_topk_kernelIN3c108BFloat16EDv2_fLi2ELb1ELb0ELb0EEEvPT_PKS4_PfPimiiiif
; %bb.0:
	s_load_dwordx4 s[8:11], s[4:5], 0x28
	s_load_dwordx4 s[12:15], s[4:5], 0x10
	v_lshl_add_u32 v1, v0, 3, 0
	s_waitcnt lgkmcnt(0)
	s_lshr_b32 s0, s8, 31
	s_add_i32 s0, s8, s0
	s_ashr_i32 s7, s0, 1
	v_cmp_gt_i32_e64 s[0:1], s7, v0
	s_and_saveexec_b64 s[16:17], s[0:1]
	s_cbranch_execz .LBB156_3
; %bb.1:
	s_load_dword s11, s[4:5], 0x4c
	s_load_dwordx2 s[2:3], s[4:5], 0x0
	s_mul_i32 s18, s6, s8
	s_ashr_i32 s19, s18, 31
	s_lshl_b64 s[18:19], s[18:19], 1
	s_waitcnt lgkmcnt(0)
	s_and_b32 s11, s11, 0xffff
	s_add_u32 s2, s2, s18
	v_lshlrev_b32_e32 v2, 2, v0
	s_addc_u32 s3, s3, s19
	s_mov_b32 s25, 0
	v_mov_b32_e32 v3, s3
	v_add_co_u32_e32 v2, vcc, s2, v2
	v_addc_co_u32_e32 v3, vcc, 0, v3, vcc
	s_lshl_b32 s20, s11, 2
	v_lshl_add_u32 v4, v0, 3, 0
	s_lshl_b32 s21, s11, 3
	s_mov_b64 s[18:19], 0
	s_mov_b32 s22, 0xbfb8aa3b
	s_mov_b32 s23, 0x42ce8ed0
	;; [unrolled: 1-line block ×3, first 2 shown]
	v_mov_b32_e32 v5, 0x7f800000
	v_mov_b32_e32 v6, s25
	;; [unrolled: 1-line block ×3, first 2 shown]
.LBB156_2:                              ; =>This Inner Loop Header: Depth=1
	global_load_dword v8, v[2:3], off
	v_add_co_u32_e32 v2, vcc, s20, v2
	v_add_u32_e32 v7, s11, v7
	v_addc_co_u32_e32 v3, vcc, v3, v6, vcc
	v_cmp_le_i32_e32 vcc, s7, v7
	s_or_b64 s[18:19], vcc, s[18:19]
	s_waitcnt vmcnt(0)
	v_cvt_f32_u32_sdwa v9, v8 dst_sel:DWORD dst_unused:UNUSED_PAD src0_sel:WORD_1
	v_cvt_f32_u32_sdwa v8, v8 dst_sel:DWORD dst_unused:UNUSED_PAD src0_sel:WORD_0
	v_mul_f32_e32 v10, 0xbfb8aa3b, v9
	v_mul_f32_e32 v11, 0xbfb8aa3b, v8
	v_fma_f32 v12, v9, s22, -v10
	v_rndne_f32_e32 v13, v10
	v_fma_f32 v14, v8, s22, -v11
	v_rndne_f32_e32 v15, v11
	v_fmac_f32_e32 v12, 0xb2a5705f, v9
	v_sub_f32_e32 v10, v10, v13
	v_fmac_f32_e32 v14, 0xb2a5705f, v8
	v_sub_f32_e32 v11, v11, v15
	v_add_f32_e32 v10, v10, v12
	v_add_f32_e32 v11, v11, v14
	v_cvt_i32_f32_e32 v13, v13
	v_cvt_i32_f32_e32 v15, v15
	v_exp_f32_e32 v10, v10
	v_exp_f32_e32 v11, v11
	v_cmp_nlt_f32_e32 vcc, s23, v8
	v_cmp_nlt_f32_e64 s[2:3], s23, v9
	v_ldexp_f32 v10, v10, v13
	v_ldexp_f32 v11, v11, v15
	v_cndmask_b32_e64 v10, 0, v10, s[2:3]
	v_cndmask_b32_e32 v11, 0, v11, vcc
	v_cmp_ngt_f32_e32 vcc, s24, v8
	v_cmp_ngt_f32_e64 s[2:3], s24, v9
	v_cndmask_b32_e64 v9, v5, v10, s[2:3]
	v_cndmask_b32_e32 v8, v5, v11, vcc
	v_pk_add_f32 v[8:9], v[8:9], 1.0 op_sel_hi:[1,0]
	v_div_scale_f32 v10, s[2:3], v9, v9, 1.0
	v_div_scale_f32 v12, s[2:3], v8, v8, 1.0
	v_rcp_f32_e32 v14, v10
	v_rcp_f32_e32 v15, v12
	v_div_scale_f32 v11, vcc, 1.0, v9, 1.0
	v_fma_f32 v16, -v10, v14, 1.0
	v_fma_f32 v17, -v12, v15, 1.0
	v_fmac_f32_e32 v14, v16, v14
	v_div_scale_f32 v13, s[2:3], 1.0, v8, 1.0
	v_fmac_f32_e32 v15, v17, v15
	v_mul_f32_e32 v16, v11, v14
	v_mul_f32_e32 v17, v13, v15
	v_fma_f32 v18, -v10, v16, v11
	v_fma_f32 v19, -v12, v17, v13
	v_fmac_f32_e32 v16, v18, v14
	v_fmac_f32_e32 v17, v19, v15
	v_fma_f32 v10, -v10, v16, v11
	v_fma_f32 v11, -v12, v17, v13
	v_div_fmas_f32 v10, v10, v14, v16
	s_mov_b64 vcc, s[2:3]
	v_div_fixup_f32 v9, v10, v9, 1.0
	v_div_fmas_f32 v10, v11, v15, v17
	v_div_fixup_f32 v8, v10, v8, 1.0
	ds_write_b64 v4, v[8:9]
	v_add_u32_e32 v4, s21, v4
	s_andn2_b64 exec, exec, s[18:19]
	s_cbranch_execnz .LBB156_2
.LBB156_3:
	s_or_b64 exec, exec, s[16:17]
	s_lshl_b32 s2, s8, 2
	s_add_i32 s22, s2, 0
	v_cmp_gt_u32_e32 vcc, 2, v0
	s_waitcnt lgkmcnt(0)
	s_barrier
	s_and_saveexec_b64 s[16:17], vcc
	s_cbranch_execz .LBB156_10
; %bb.4:
	s_load_dword s2, s[4:5], 0x4c
	v_mul_lo_u32 v2, v0, s7
	v_lshl_add_u32 v2, v2, 2, 0
	s_mov_b64 s[18:19], 0
	s_waitcnt lgkmcnt(0)
	s_and_b32 s11, s2, 0xffff
	s_cmp_gt_i32 s8, 1
	s_cselect_b64 s[2:3], -1, 0
	s_mul_i32 s8, s7, s11
	v_cndmask_b32_e64 v3, 0, 1, s[2:3]
	s_lshl_b32 s8, s8, 2
	v_cmp_ne_u32_e64 s[2:3], 1, v3
	v_mov_b32_e32 v3, v0
	s_branch .LBB156_6
.LBB156_5:                              ;   in Loop: Header=BB156_6 Depth=1
	v_lshl_add_u32 v5, v3, 2, s22
	v_add_u32_e32 v3, s11, v3
	v_cmp_lt_u32_e32 vcc, 1, v3
	s_or_b64 s[18:19], vcc, s[18:19]
	v_add_u32_e32 v2, s8, v2
	ds_write_b32 v5, v4
	s_andn2_b64 exec, exec, s[18:19]
	s_cbranch_execz .LBB156_10
.LBB156_6:                              ; =>This Loop Header: Depth=1
                                        ;     Child Loop BB156_8 Depth 2
	s_and_b64 vcc, exec, s[2:3]
	v_mov_b32_e32 v4, 0xff800000
	s_cbranch_vccnz .LBB156_5
; %bb.7:                                ;   in Loop: Header=BB156_6 Depth=1
	v_mul_lo_u32 v5, v3, s7
	v_add_u32_e32 v6, s7, v5
	s_mov_b64 s[20:21], 0
	v_mov_b32_e32 v4, 0xff800000
	v_mov_b32_e32 v7, v2
.LBB156_8:                              ;   Parent Loop BB156_6 Depth=1
                                        ; =>  This Inner Loop Header: Depth=2
	ds_read_b32 v8, v7
	v_add_u32_e32 v5, 1, v5
	v_cmp_ge_i32_e32 vcc, v5, v6
	s_or_b64 s[20:21], vcc, s[20:21]
	v_add_u32_e32 v7, 4, v7
	s_waitcnt lgkmcnt(0)
	v_cmp_gt_f32_e32 vcc, v8, v4
	v_cndmask_b32_e32 v4, v4, v8, vcc
	s_andn2_b64 exec, exec, s[20:21]
	s_cbranch_execnz .LBB156_8
; %bb.9:                                ;   in Loop: Header=BB156_6 Depth=1
	s_or_b64 exec, exec, s[20:21]
	s_branch .LBB156_5
.LBB156_10:
	s_or_b64 exec, exec, s[16:17]
	s_cmp_lt_i32 s10, 1
	s_waitcnt lgkmcnt(0)
	s_barrier
	s_cbranch_scc1 .LBB156_13
; %bb.11:
	v_mov_b32_e32 v2, s22
	s_mov_b32 s2, 0xff800000
	v_mov_b32_e32 v3, 0xff800000
.LBB156_12:                             ; =>This Inner Loop Header: Depth=1
	ds_read2_b32 v[4:5], v2 offset1:1
	s_add_i32 s10, s10, -1
	s_cmp_lg_u32 s10, 0
	s_waitcnt lgkmcnt(0)
	v_cmp_nlg_f32_e32 vcc, s2, v4
	v_cndmask_b32_e64 v6, 0, 1, vcc
	v_cmp_lg_f32_e32 vcc, s2, v4
	v_cndmask_b32_e32 v4, v3, v4, vcc
	v_lshlrev_b32_e32 v6, 1, v6
	v_cmp_ngt_f32_e32 vcc, v5, v4
	v_cndmask_b32_e32 v4, 1, v6, vcc
	v_lshlrev_b32_e32 v4, 2, v4
	v_add_u32_e32 v4, s22, v4
	ds_write_b32 v4, v3
	s_cbranch_scc1 .LBB156_12
.LBB156_13:
	v_lshlrev_b32_e32 v4, 1, v0
	s_and_saveexec_b64 s[2:3], s[0:1]
	s_cbranch_execz .LBB156_18
; %bb.14:
	s_abs_i32 s8, s7
	v_cvt_f32_u32_e32 v2, s8
	s_load_dword s16, s[4:5], 0x4c
	s_sub_i32 s17, 0, s8
	s_ashr_i32 s18, s7, 31
	v_rcp_iflag_f32_e32 v2, v2
	v_lshlrev_b32_e32 v5, 1, v0
	s_waitcnt lgkmcnt(0)
	s_and_b32 s19, s16, 0xffff
	v_lshl_add_u32 v6, v0, 3, 0
	v_mul_f32_e32 v2, 0x4f7ffffe, v2
	v_cvt_u32_f32_e32 v2, v2
	s_mov_b64 s[10:11], 0
	s_lshl_b32 s20, s19, 1
	s_lshl_b32 s21, s19, 3
	v_mul_lo_u32 v3, s17, v2
	v_mul_hi_u32 v3, v2, v3
	v_add_u32_e32 v7, v2, v3
	s_mov_b32 s23, 0xff800000
	v_mov_b32_e32 v2, 0xff800000
	v_mov_b32_e32 v8, v0
	s_branch .LBB156_16
.LBB156_15:                             ;   in Loop: Header=BB156_16 Depth=1
	s_or_b64 exec, exec, s[16:17]
	v_add_u32_e32 v8, s19, v8
	v_cmp_le_i32_e32 vcc, s7, v8
	v_add_u32_e32 v5, s20, v5
	s_or_b64 s[10:11], vcc, s[10:11]
	v_add_u32_e32 v6, s21, v6
	s_andn2_b64 exec, exec, s[10:11]
	s_cbranch_execz .LBB156_18
.LBB156_16:                             ; =>This Inner Loop Header: Depth=1
	v_mul_hi_u32 v3, v5, v7
	v_mul_lo_u32 v9, v3, s8
	v_sub_u32_e32 v9, v5, v9
	v_add_u32_e32 v10, 1, v3
	v_cmp_le_u32_e32 vcc, s8, v9
	v_cndmask_b32_e32 v3, v3, v10, vcc
	v_subrev_u32_e32 v10, s8, v9
	v_cndmask_b32_e32 v9, v9, v10, vcc
	v_add_u32_e32 v10, 1, v3
	v_cmp_le_u32_e32 vcc, s8, v9
	v_cndmask_b32_e32 v3, v3, v10, vcc
	v_xor_b32_e32 v3, s18, v3
	v_subrev_u32_e32 v3, s18, v3
	v_lshl_add_u32 v3, v3, 2, s22
	ds_read_b32 v3, v3
	s_waitcnt lgkmcnt(0)
	v_cmp_neq_f32_e32 vcc, s23, v3
	s_and_saveexec_b64 s[16:17], vcc
	s_cbranch_execz .LBB156_15
; %bb.17:                               ;   in Loop: Header=BB156_16 Depth=1
	v_mov_b32_e32 v3, v2
	ds_write_b64 v6, v[2:3]
	s_branch .LBB156_15
.LBB156_18:
	s_or_b64 exec, exec, s[2:3]
	s_cmp_lt_i32 s9, 1
	s_waitcnt lgkmcnt(0)
	s_barrier
	s_cbranch_scc1 .LBB156_25
; %bb.19:
	s_add_u32 s2, s4, 64
	s_addc_u32 s3, s5, 0
	s_mov_b32 s8, 0
	v_mov_b32_e32 v3, 0
	v_mov_b32_e32 v6, 0xff800000
                                        ; implicit-def: $vgpr5
                                        ; implicit-def: $vgpr2
	s_branch .LBB156_21
.LBB156_20:                             ;   in Loop: Header=BB156_21 Depth=1
	s_or_b64 exec, exec, s[10:11]
	v_mov_b32_dpp v10, v8 quad_perm:[1,0,3,2] row_mask:0xf bank_mask:0xf
	v_cmp_lt_f32_e32 vcc, v8, v10
	v_cndmask_b32_e32 v8, v8, v10, vcc
	v_mov_b32_dpp v9, v7 quad_perm:[1,0,3,2] row_mask:0xf bank_mask:0xf
	v_cndmask_b32_e32 v7, v7, v9, vcc
	v_mov_b32_dpp v10, v8 quad_perm:[2,3,0,1] row_mask:0xf bank_mask:0xf
	v_cmp_gt_f32_e32 vcc, v10, v8
	v_cndmask_b32_e32 v8, v8, v10, vcc
	v_mov_b32_dpp v9, v7 quad_perm:[2,3,0,1] row_mask:0xf bank_mask:0xf
	v_cndmask_b32_e32 v7, v7, v9, vcc
	v_mov_b32_dpp v10, v8 row_half_mirror row_mask:0xf bank_mask:0xf
	v_cmp_gt_f32_e32 vcc, v10, v8
	v_cndmask_b32_e32 v8, v8, v10, vcc
	v_mov_b32_dpp v9, v7 row_half_mirror row_mask:0xf bank_mask:0xf
	v_cndmask_b32_e32 v7, v7, v9, vcc
	v_mov_b32_dpp v10, v8 row_mirror row_mask:0xf bank_mask:0xf
	v_cmp_gt_f32_e32 vcc, v10, v8
	v_cndmask_b32_e32 v8, v8, v10, vcc
	v_mov_b32_dpp v9, v7 row_mirror row_mask:0xf bank_mask:0xf
	v_cndmask_b32_e32 v7, v7, v9, vcc
	v_mov_b32_dpp v10, v8 row_bcast:15 row_mask:0xf bank_mask:0xf
	v_cmp_gt_f32_e32 vcc, v10, v8
	v_mov_b32_dpp v9, v7 row_bcast:15 row_mask:0xf bank_mask:0xf
	v_cndmask_b32_e32 v8, v8, v10, vcc
	v_cndmask_b32_e32 v7, v7, v9, vcc
	s_nop 0
	v_mov_b32_dpp v10, v8 row_bcast:31 row_mask:0xf bank_mask:0xf
	v_mov_b32_dpp v9, v7 row_bcast:31 row_mask:0xf bank_mask:0xf
	v_cmp_gt_f32_e32 vcc, v10, v8
	v_cndmask_b32_e32 v7, v7, v9, vcc
	v_readlane_b32 s11, v7, 63
	s_lshl_b32 s16, s11, 2
	s_add_i32 s16, s16, 0
	v_cndmask_b32_e32 v8, v8, v10, vcc
	v_mov_b32_e32 v7, s16
	v_readlane_b32 s10, v8, 63
	ds_write_b32 v7, v6
	v_mov_b32_e32 v7, s11
	v_cmp_eq_u32_e32 vcc, s8, v0
	v_cndmask_b32_e32 v2, v2, v7, vcc
	v_mov_b32_e32 v7, s10
	s_add_i32 s8, s8, 1
	v_cndmask_b32_e32 v5, v5, v7, vcc
	s_cmp_eq_u32 s8, s9
	v_add_f32_e32 v3, s10, v3
	s_cbranch_scc1 .LBB156_26
.LBB156_21:                             ; =>This Loop Header: Depth=1
                                        ;     Child Loop BB156_23 Depth 2
	v_mov_b32_e32 v7, s8
	v_mov_b32_e32 v8, 0xff800000
	s_and_saveexec_b64 s[10:11], s[0:1]
	s_cbranch_execz .LBB156_20
; %bb.22:                               ;   in Loop: Header=BB156_21 Depth=1
	s_load_dword s18, s[2:3], 0xc
	s_mov_b64 s[16:17], 0
	v_mov_b32_e32 v7, s8
	v_mov_b32_e32 v8, 0xff800000
	v_mov_b32_e32 v9, v1
	s_waitcnt lgkmcnt(0)
	s_and_b32 s18, s18, 0xffff
	s_lshl_b32 s19, s18, 1
	s_lshl_b32 s20, s18, 3
	v_mov_b32_e32 v10, v4
	v_mov_b32_e32 v11, v0
.LBB156_23:                             ;   Parent Loop BB156_21 Depth=1
                                        ; =>  This Inner Loop Header: Depth=2
	ds_read_b64 v[12:13], v9
	v_add_u32_e32 v11, s18, v11
	v_cmp_le_i32_e32 vcc, s7, v11
	s_or_b64 s[16:17], vcc, s[16:17]
	v_add_u32_e32 v14, 1, v10
	s_waitcnt lgkmcnt(0)
	v_cmp_gt_f32_e32 vcc, v12, v8
	v_cndmask_b32_e32 v8, v8, v12, vcc
	v_cndmask_b32_e32 v7, v7, v10, vcc
	v_cmp_gt_f32_e32 vcc, v13, v8
	v_add_u32_e32 v9, s20, v9
	v_cndmask_b32_e32 v8, v8, v13, vcc
	v_add_u32_e32 v10, s19, v10
	v_cndmask_b32_e32 v7, v7, v14, vcc
	s_andn2_b64 exec, exec, s[16:17]
	s_cbranch_execnz .LBB156_23
; %bb.24:                               ;   in Loop: Header=BB156_21 Depth=1
	s_or_b64 exec, exec, s[16:17]
	s_branch .LBB156_20
.LBB156_25:
	v_mov_b32_e32 v3, 0
                                        ; implicit-def: $vgpr5
                                        ; implicit-def: $vgpr2
.LBB156_26:
	v_cmp_gt_i32_e32 vcc, s9, v0
	s_and_saveexec_b64 s[0:1], vcc
	s_cbranch_execz .LBB156_29
; %bb.27:
	s_load_dword s7, s[4:5], 0x38
	s_load_dwordx2 s[0:1], s[4:5], 0x20
	s_load_dword s8, s[4:5], 0x4c
	s_waitcnt lgkmcnt(0)
	v_div_scale_f32 v1, s[2:3], v3, v3, s7
	v_rcp_f32_e32 v4, v1
	v_div_scale_f32 v6, vcc, s7, v3, s7
	s_ashr_i32 s2, s6, 31
	v_fma_f32 v7, -v1, v4, 1.0
	v_fmac_f32_e32 v4, v7, v4
	v_mul_f32_e32 v7, v6, v4
	v_fma_f32 v8, -v1, v7, v6
	v_fmac_f32_e32 v7, v8, v4
	v_fma_f32 v1, -v1, v7, v6
	s_mul_i32 s1, s6, s1
	s_mul_hi_u32 s3, s6, s0
	v_div_fmas_f32 v1, v1, v4, v7
	s_add_i32 s1, s3, s1
	s_mul_i32 s2, s2, s0
	v_div_fixup_f32 v1, v1, v3, s7
	s_add_i32 s4, s1, s2
	v_mul_f32_e32 v1, v1, v5
	s_mul_i32 s2, s6, s0
	s_and_b32 s3, s8, 0xffff
	s_mov_b64 s[0:1], 0
	v_mov_b32_e32 v3, s4
	v_mov_b32_e32 v4, s13
	;; [unrolled: 1-line block ×3, first 2 shown]
.LBB156_28:                             ; =>This Inner Loop Header: Depth=1
	v_ashrrev_i32_e32 v7, 31, v0
	v_add_co_u32_e32 v6, vcc, s2, v0
	v_addc_co_u32_e32 v7, vcc, v3, v7, vcc
	v_add_u32_e32 v0, s3, v0
	v_cmp_le_i32_e32 vcc, s9, v0
	v_lshlrev_b64 v[6:7], 2, v[6:7]
	s_or_b64 s[0:1], vcc, s[0:1]
	v_add_co_u32_e32 v8, vcc, s12, v6
	v_addc_co_u32_e32 v9, vcc, v4, v7, vcc
	v_add_co_u32_e32 v6, vcc, s14, v6
	v_addc_co_u32_e32 v7, vcc, v5, v7, vcc
	global_store_dword v[8:9], v1, off
	global_store_dword v[6:7], v2, off
	s_andn2_b64 exec, exec, s[0:1]
	s_cbranch_execnz .LBB156_28
.LBB156_29:
	s_endpgm
	.section	.rodata,"a",@progbits
	.p2align	6, 0x0
	.amdhsa_kernel _ZN5aiter19grouped_topk_kernelIN3c108BFloat16EDv2_fLi2ELb1ELb0ELb0EEEvPT_PKS4_PfPimiiiif
		.amdhsa_group_segment_fixed_size 0
		.amdhsa_private_segment_fixed_size 0
		.amdhsa_kernarg_size 320
		.amdhsa_user_sgpr_count 6
		.amdhsa_user_sgpr_private_segment_buffer 1
		.amdhsa_user_sgpr_dispatch_ptr 0
		.amdhsa_user_sgpr_queue_ptr 0
		.amdhsa_user_sgpr_kernarg_segment_ptr 1
		.amdhsa_user_sgpr_dispatch_id 0
		.amdhsa_user_sgpr_flat_scratch_init 0
		.amdhsa_user_sgpr_kernarg_preload_length 0
		.amdhsa_user_sgpr_kernarg_preload_offset 0
		.amdhsa_user_sgpr_private_segment_size 0
		.amdhsa_uses_dynamic_stack 0
		.amdhsa_system_sgpr_private_segment_wavefront_offset 0
		.amdhsa_system_sgpr_workgroup_id_x 1
		.amdhsa_system_sgpr_workgroup_id_y 0
		.amdhsa_system_sgpr_workgroup_id_z 0
		.amdhsa_system_sgpr_workgroup_info 0
		.amdhsa_system_vgpr_workitem_id 0
		.amdhsa_next_free_vgpr 20
		.amdhsa_next_free_sgpr 26
		.amdhsa_accum_offset 20
		.amdhsa_reserve_vcc 1
		.amdhsa_reserve_flat_scratch 0
		.amdhsa_float_round_mode_32 0
		.amdhsa_float_round_mode_16_64 0
		.amdhsa_float_denorm_mode_32 3
		.amdhsa_float_denorm_mode_16_64 3
		.amdhsa_dx10_clamp 1
		.amdhsa_ieee_mode 1
		.amdhsa_fp16_overflow 0
		.amdhsa_tg_split 0
		.amdhsa_exception_fp_ieee_invalid_op 0
		.amdhsa_exception_fp_denorm_src 0
		.amdhsa_exception_fp_ieee_div_zero 0
		.amdhsa_exception_fp_ieee_overflow 0
		.amdhsa_exception_fp_ieee_underflow 0
		.amdhsa_exception_fp_ieee_inexact 0
		.amdhsa_exception_int_div_zero 0
	.end_amdhsa_kernel
	.section	.text._ZN5aiter19grouped_topk_kernelIN3c108BFloat16EDv2_fLi2ELb1ELb0ELb0EEEvPT_PKS4_PfPimiiiif,"axG",@progbits,_ZN5aiter19grouped_topk_kernelIN3c108BFloat16EDv2_fLi2ELb1ELb0ELb0EEEvPT_PKS4_PfPimiiiif,comdat
.Lfunc_end156:
	.size	_ZN5aiter19grouped_topk_kernelIN3c108BFloat16EDv2_fLi2ELb1ELb0ELb0EEEvPT_PKS4_PfPimiiiif, .Lfunc_end156-_ZN5aiter19grouped_topk_kernelIN3c108BFloat16EDv2_fLi2ELb1ELb0ELb0EEEvPT_PKS4_PfPimiiiif
                                        ; -- End function
	.section	.AMDGPU.csdata,"",@progbits
; Kernel info:
; codeLenInByte = 1888
; NumSgprs: 30
; NumVgprs: 20
; NumAgprs: 0
; TotalNumVgprs: 20
; ScratchSize: 0
; MemoryBound: 0
; FloatMode: 240
; IeeeMode: 1
; LDSByteSize: 0 bytes/workgroup (compile time only)
; SGPRBlocks: 3
; VGPRBlocks: 2
; NumSGPRsForWavesPerEU: 30
; NumVGPRsForWavesPerEU: 20
; AccumOffset: 20
; Occupancy: 8
; WaveLimiterHint : 0
; COMPUTE_PGM_RSRC2:SCRATCH_EN: 0
; COMPUTE_PGM_RSRC2:USER_SGPR: 6
; COMPUTE_PGM_RSRC2:TRAP_HANDLER: 0
; COMPUTE_PGM_RSRC2:TGID_X_EN: 1
; COMPUTE_PGM_RSRC2:TGID_Y_EN: 0
; COMPUTE_PGM_RSRC2:TGID_Z_EN: 0
; COMPUTE_PGM_RSRC2:TIDIG_COMP_CNT: 0
; COMPUTE_PGM_RSRC3_GFX90A:ACCUM_OFFSET: 4
; COMPUTE_PGM_RSRC3_GFX90A:TG_SPLIT: 0
	.section	.text._ZN5aiter28grouped_topk_opt_sort_kernelIfDv2_fLi2ELb0ELb1ELb0EEEvPT_PKS2_PfPimiiiif,"axG",@progbits,_ZN5aiter28grouped_topk_opt_sort_kernelIfDv2_fLi2ELb0ELb1ELb0EEEvPT_PKS2_PfPimiiiif,comdat
	.protected	_ZN5aiter28grouped_topk_opt_sort_kernelIfDv2_fLi2ELb0ELb1ELb0EEEvPT_PKS2_PfPimiiiif ; -- Begin function _ZN5aiter28grouped_topk_opt_sort_kernelIfDv2_fLi2ELb0ELb1ELb0EEEvPT_PKS2_PfPimiiiif
	.globl	_ZN5aiter28grouped_topk_opt_sort_kernelIfDv2_fLi2ELb0ELb1ELb0EEEvPT_PKS2_PfPimiiiif
	.p2align	8
	.type	_ZN5aiter28grouped_topk_opt_sort_kernelIfDv2_fLi2ELb0ELb1ELb0EEEvPT_PKS2_PfPimiiiif,@function
_ZN5aiter28grouped_topk_opt_sort_kernelIfDv2_fLi2ELb0ELb1ELb0EEEvPT_PKS2_PfPimiiiif: ; @_ZN5aiter28grouped_topk_opt_sort_kernelIfDv2_fLi2ELb0ELb1ELb0EEEvPT_PKS2_PfPimiiiif
; %bb.0:
	s_load_dword s7, s[4:5], 0x28
	s_load_dwordx4 s[0:3], s[4:5], 0x0
	s_load_dword s8, s[4:5], 0x30
	v_lshlrev_b32_e32 v1, 3, v0
	v_mbcnt_lo_u32_b32 v6, -1, 0
	s_waitcnt lgkmcnt(0)
	s_mul_i32 s4, s6, s7
	s_ashr_i32 s5, s4, 31
	s_lshl_b64 s[4:5], s[4:5], 2
	s_add_u32 s0, s0, s4
	s_addc_u32 s1, s1, s5
	global_load_dwordx2 v[2:3], v1, s[0:1]
	global_load_dwordx2 v[4:5], v1, s[2:3]
	s_mov_b32 s0, 0x652b82fe
	s_mov_b32 s1, 0xbff71547
	v_mbcnt_hi_u32_b32 v13, -1, v6
	s_mov_b32 s2, 0xc2fc0000
	v_mov_b32_e32 v8, 0x42800000
	v_mov_b32_e32 v9, 0x1f800000
	;; [unrolled: 1-line block ×3, first 2 shown]
	s_mov_b32 s3, 0xff800000
	v_lshlrev_b32_e32 v12, 5, v0
	v_mov_b32_e32 v11, 0x7f800000
	v_add_u32_e32 v1, 0, v1
	s_waitcnt vmcnt(1)
	v_cvt_f64_f32_e32 v[6:7], v2
	v_cvt_f64_f32_e32 v[2:3], v3
	v_mul_f64 v[6:7], v[6:7], s[0:1]
	v_mul_f64 v[2:3], v[2:3], s[0:1]
	v_cvt_f32_f64_e32 v6, v[6:7]
	v_cvt_f32_f64_e32 v2, v[2:3]
	v_cmp_gt_f32_e32 vcc, s2, v6
	v_cmp_gt_f32_e64 s[0:1], s2, v2
	v_cndmask_b32_e32 v3, 0, v8, vcc
	v_cndmask_b32_e64 v7, 0, v8, s[0:1]
	v_add_f32_e32 v3, v6, v3
	v_add_f32_e32 v2, v2, v7
	v_exp_f32_e32 v3, v3
	v_exp_f32_e32 v2, v2
	v_cndmask_b32_e32 v6, 1.0, v9, vcc
	v_cndmask_b32_e64 v7, 1.0, v9, s[0:1]
	v_fma_f32 v3, v3, v6, 1.0
	v_fma_f32 v6, v2, v7, 1.0
	v_rcp_f32_e32 v2, v3
	v_rcp_f32_e32 v3, v6
	v_and_b32_e32 v6, 64, v13
	v_and_or_b32 v7, v12, 32, v6
	v_lshlrev_b32_e32 v7, 2, v7
	s_waitcnt vmcnt(0)
	v_pk_add_f32 v[2:3], v[4:5], v[2:3]
	v_cmp_o_f32_e32 vcc, v3, v3
	v_cndmask_b32_e32 v3, v10, v3, vcc
	v_cmp_o_f32_e32 vcc, v2, v2
	v_cndmask_b32_e32 v2, v10, v2, vcc
	v_med3_f32 v4, v3, v2, s3
	v_max_f32_e32 v5, v3, v2
	v_add_f32_e32 v4, v5, v4
	ds_bpermute_b32 v4, v7, v4
	v_and_b32_e32 v5, 1, v0
	v_cmp_eq_u32_e32 vcc, 0, v5
	v_cndmask_b32_e32 v5, v10, v11, vcc
	v_lshlrev_b32_e32 v6, 2, v6
	s_waitcnt lgkmcnt(0)
	v_mov_b32_dpp v7, v4 quad_perm:[1,0,3,2] row_mask:0xf bank_mask:0xf bound_ctrl:1
	v_med3_f32 v5, v4, v7, v5
	ds_bpermute_b32 v5, v6, v5 offset:12
	ds_write_b64 v1, v[2:3]
	s_waitcnt lgkmcnt(1)
	v_cmp_gt_f32_e32 vcc, v4, v5
	v_cndmask_b32_e64 v1, 0, 1, vcc
	v_cmp_eq_f32_e64 s[0:1], v4, v5
	v_cndmask_b32_e64 v2, 0, 1, s[0:1]
	v_mov_b32_dpp v1, v1 row_shr:1 row_mask:0xf bank_mask:0xf bound_ctrl:1
	v_addc_co_u32_e32 v1, vcc, 0, v1, vcc
	v_readlane_b32 s4, v1, 1
	v_mov_b32_dpp v2, v2 row_shr:1 row_mask:0xf bank_mask:0xf bound_ctrl:1
	v_mov_b32_e32 v3, s4
	v_addc_co_u32_e64 v2, vcc, v2, v3, s[0:1]
	v_cndmask_b32_e64 v1, v1, v2, s[0:1]
	v_cmp_ge_f32_e64 s[2:3], v4, v5
	v_cmp_ge_i32_e32 vcc, s8, v1
	s_and_b64 s[0:1], s[2:3], vcc
	v_cmp_gt_u32_e32 vcc, 2, v0
	s_and_b64 s[2:3], vcc, s[0:1]
	s_and_saveexec_b64 s[0:1], s[2:3]
	s_cbranch_execz .LBB157_2
; %bb.1:
	s_lshl_b32 s2, s7, 2
	s_add_i32 s2, s2, 0
	v_lshl_add_u32 v1, v1, 2, s2
	ds_write_b32 v1, v0 offset:4
.LBB157_2:
	s_or_b64 exec, exec, s[0:1]
	s_waitcnt lgkmcnt(0)
	s_barrier
	s_endpgm
	.section	.rodata,"a",@progbits
	.p2align	6, 0x0
	.amdhsa_kernel _ZN5aiter28grouped_topk_opt_sort_kernelIfDv2_fLi2ELb0ELb1ELb0EEEvPT_PKS2_PfPimiiiif
		.amdhsa_group_segment_fixed_size 0
		.amdhsa_private_segment_fixed_size 0
		.amdhsa_kernarg_size 60
		.amdhsa_user_sgpr_count 6
		.amdhsa_user_sgpr_private_segment_buffer 1
		.amdhsa_user_sgpr_dispatch_ptr 0
		.amdhsa_user_sgpr_queue_ptr 0
		.amdhsa_user_sgpr_kernarg_segment_ptr 1
		.amdhsa_user_sgpr_dispatch_id 0
		.amdhsa_user_sgpr_flat_scratch_init 0
		.amdhsa_user_sgpr_kernarg_preload_length 0
		.amdhsa_user_sgpr_kernarg_preload_offset 0
		.amdhsa_user_sgpr_private_segment_size 0
		.amdhsa_uses_dynamic_stack 0
		.amdhsa_system_sgpr_private_segment_wavefront_offset 0
		.amdhsa_system_sgpr_workgroup_id_x 1
		.amdhsa_system_sgpr_workgroup_id_y 0
		.amdhsa_system_sgpr_workgroup_id_z 0
		.amdhsa_system_sgpr_workgroup_info 0
		.amdhsa_system_vgpr_workitem_id 0
		.amdhsa_next_free_vgpr 14
		.amdhsa_next_free_sgpr 9
		.amdhsa_accum_offset 16
		.amdhsa_reserve_vcc 1
		.amdhsa_reserve_flat_scratch 0
		.amdhsa_float_round_mode_32 0
		.amdhsa_float_round_mode_16_64 0
		.amdhsa_float_denorm_mode_32 3
		.amdhsa_float_denorm_mode_16_64 3
		.amdhsa_dx10_clamp 1
		.amdhsa_ieee_mode 1
		.amdhsa_fp16_overflow 0
		.amdhsa_tg_split 0
		.amdhsa_exception_fp_ieee_invalid_op 0
		.amdhsa_exception_fp_denorm_src 0
		.amdhsa_exception_fp_ieee_div_zero 0
		.amdhsa_exception_fp_ieee_overflow 0
		.amdhsa_exception_fp_ieee_underflow 0
		.amdhsa_exception_fp_ieee_inexact 0
		.amdhsa_exception_int_div_zero 0
	.end_amdhsa_kernel
	.section	.text._ZN5aiter28grouped_topk_opt_sort_kernelIfDv2_fLi2ELb0ELb1ELb0EEEvPT_PKS2_PfPimiiiif,"axG",@progbits,_ZN5aiter28grouped_topk_opt_sort_kernelIfDv2_fLi2ELb0ELb1ELb0EEEvPT_PKS2_PfPimiiiif,comdat
.Lfunc_end157:
	.size	_ZN5aiter28grouped_topk_opt_sort_kernelIfDv2_fLi2ELb0ELb1ELb0EEEvPT_PKS2_PfPimiiiif, .Lfunc_end157-_ZN5aiter28grouped_topk_opt_sort_kernelIfDv2_fLi2ELb0ELb1ELb0EEEvPT_PKS2_PfPimiiiif
                                        ; -- End function
	.section	.AMDGPU.csdata,"",@progbits
; Kernel info:
; codeLenInByte = 540
; NumSgprs: 13
; NumVgprs: 14
; NumAgprs: 0
; TotalNumVgprs: 14
; ScratchSize: 0
; MemoryBound: 0
; FloatMode: 240
; IeeeMode: 1
; LDSByteSize: 0 bytes/workgroup (compile time only)
; SGPRBlocks: 1
; VGPRBlocks: 1
; NumSGPRsForWavesPerEU: 13
; NumVGPRsForWavesPerEU: 14
; AccumOffset: 16
; Occupancy: 8
; WaveLimiterHint : 0
; COMPUTE_PGM_RSRC2:SCRATCH_EN: 0
; COMPUTE_PGM_RSRC2:USER_SGPR: 6
; COMPUTE_PGM_RSRC2:TRAP_HANDLER: 0
; COMPUTE_PGM_RSRC2:TGID_X_EN: 1
; COMPUTE_PGM_RSRC2:TGID_Y_EN: 0
; COMPUTE_PGM_RSRC2:TGID_Z_EN: 0
; COMPUTE_PGM_RSRC2:TIDIG_COMP_CNT: 0
; COMPUTE_PGM_RSRC3_GFX90A:ACCUM_OFFSET: 3
; COMPUTE_PGM_RSRC3_GFX90A:TG_SPLIT: 0
	.section	.text._ZN5aiter28grouped_topk_opt_sort_kernelIN3c104HalfEDv2_fLi2ELb0ELb1ELb0EEEvPT_PKS4_PfPimiiiif,"axG",@progbits,_ZN5aiter28grouped_topk_opt_sort_kernelIN3c104HalfEDv2_fLi2ELb0ELb1ELb0EEEvPT_PKS4_PfPimiiiif,comdat
	.protected	_ZN5aiter28grouped_topk_opt_sort_kernelIN3c104HalfEDv2_fLi2ELb0ELb1ELb0EEEvPT_PKS4_PfPimiiiif ; -- Begin function _ZN5aiter28grouped_topk_opt_sort_kernelIN3c104HalfEDv2_fLi2ELb0ELb1ELb0EEEvPT_PKS4_PfPimiiiif
	.globl	_ZN5aiter28grouped_topk_opt_sort_kernelIN3c104HalfEDv2_fLi2ELb0ELb1ELb0EEEvPT_PKS4_PfPimiiiif
	.p2align	8
	.type	_ZN5aiter28grouped_topk_opt_sort_kernelIN3c104HalfEDv2_fLi2ELb0ELb1ELb0EEEvPT_PKS4_PfPimiiiif,@function
_ZN5aiter28grouped_topk_opt_sort_kernelIN3c104HalfEDv2_fLi2ELb0ELb1ELb0EEEvPT_PKS4_PfPimiiiif: ; @_ZN5aiter28grouped_topk_opt_sort_kernelIN3c104HalfEDv2_fLi2ELb0ELb1ELb0EEEvPT_PKS4_PfPimiiiif
; %bb.0:
	s_load_dword s7, s[4:5], 0x28
	s_load_dwordx4 s[0:3], s[4:5], 0x0
	s_load_dword s8, s[4:5], 0x30
	v_lshlrev_b32_e32 v1, 2, v0
	v_mbcnt_lo_u32_b32 v4, -1, 0
	s_waitcnt lgkmcnt(0)
	s_mul_i32 s4, s6, s7
	s_ashr_i32 s5, s4, 31
	s_lshl_b64 s[4:5], s[4:5], 1
	s_add_u32 s0, s0, s4
	s_addc_u32 s1, s1, s5
	global_load_dword v2, v1, s[0:1]
	global_load_dword v3, v1, s[2:3]
	v_mbcnt_hi_u32_b32 v12, -1, v4
	s_mov_b32 s0, 0x652b82fe
	s_mov_b32 s1, 0xbff71547
	;; [unrolled: 1-line block ×3, first 2 shown]
	v_mov_b32_e32 v1, 0x42800000
	v_mov_b32_e32 v8, 0x1f800000
	;; [unrolled: 1-line block ×3, first 2 shown]
	s_mov_b32 s3, 0xff800000
	v_lshlrev_b32_e32 v11, 5, v0
	v_mov_b32_e32 v10, 0x7f800000
	s_waitcnt vmcnt(1)
	v_cvt_f32_f16_e32 v4, v2
	v_cvt_f32_f16_sdwa v6, v2 dst_sel:DWORD dst_unused:UNUSED_PAD src0_sel:WORD_1
	s_waitcnt vmcnt(0)
	v_cvt_f32_f16_e32 v2, v3
	v_cvt_f32_f16_sdwa v3, v3 dst_sel:DWORD dst_unused:UNUSED_PAD src0_sel:WORD_1
	v_cvt_f64_f32_e32 v[4:5], v4
	v_cvt_f64_f32_e32 v[6:7], v6
	v_mul_f64 v[4:5], v[4:5], s[0:1]
	v_mul_f64 v[6:7], v[6:7], s[0:1]
	v_cvt_f32_f64_e32 v4, v[4:5]
	v_cvt_f32_f64_e32 v5, v[6:7]
	v_cmp_gt_f32_e32 vcc, s2, v4
	v_cmp_gt_f32_e64 s[0:1], s2, v5
	v_cndmask_b32_e32 v6, 0, v1, vcc
	v_cndmask_b32_e64 v1, 0, v1, s[0:1]
	v_add_f32_e32 v4, v4, v6
	v_add_f32_e32 v1, v5, v1
	v_exp_f32_e32 v4, v4
	v_exp_f32_e32 v1, v1
	v_cndmask_b32_e32 v5, 1.0, v8, vcc
	v_cndmask_b32_e64 v6, 1.0, v8, s[0:1]
	v_fma_f32 v4, v4, v5, 1.0
	v_fma_f32 v1, v1, v6, 1.0
	v_rcp_f32_e32 v4, v4
	v_rcp_f32_e32 v5, v1
	v_and_b32_e32 v1, 64, v12
	v_and_or_b32 v6, v11, 32, v1
	v_lshlrev_b32_e32 v6, 2, v6
	v_pk_add_f32 v[2:3], v[4:5], v[2:3]
	v_cmp_o_f32_e32 vcc, v3, v3
	v_cndmask_b32_e32 v3, v9, v3, vcc
	v_cmp_o_f32_e32 vcc, v2, v2
	v_cndmask_b32_e32 v2, v9, v2, vcc
	v_med3_f32 v4, v3, v2, s3
	v_max_f32_e32 v5, v3, v2
	v_add_f32_e32 v4, v5, v4
	ds_bpermute_b32 v4, v6, v4
	v_and_b32_e32 v5, 1, v0
	v_cmp_eq_u32_e32 vcc, 0, v5
	v_cndmask_b32_e32 v5, v9, v10, vcc
	v_lshlrev_b32_e32 v1, 2, v1
	s_waitcnt lgkmcnt(0)
	v_mov_b32_dpp v6, v4 quad_perm:[1,0,3,2] row_mask:0xf bank_mask:0xf bound_ctrl:1
	v_med3_f32 v5, v4, v6, v5
	ds_bpermute_b32 v1, v1, v5 offset:12
	v_lshl_add_u32 v5, v0, 3, 0
	ds_write_b64 v5, v[2:3]
	s_waitcnt lgkmcnt(1)
	v_cmp_gt_f32_e32 vcc, v4, v1
	v_cndmask_b32_e64 v2, 0, 1, vcc
	v_cmp_eq_f32_e64 s[0:1], v4, v1
	v_cmp_ge_f32_e64 s[2:3], v4, v1
	v_mov_b32_dpp v1, v2 row_shr:1 row_mask:0xf bank_mask:0xf bound_ctrl:1
	v_addc_co_u32_e32 v1, vcc, 0, v1, vcc
	v_cndmask_b32_e64 v3, 0, 1, s[0:1]
	v_readlane_b32 s4, v1, 1
	s_nop 0
	v_mov_b32_dpp v2, v3 row_shr:1 row_mask:0xf bank_mask:0xf bound_ctrl:1
	v_mov_b32_e32 v3, s4
	v_addc_co_u32_e64 v2, vcc, v2, v3, s[0:1]
	v_cndmask_b32_e64 v1, v1, v2, s[0:1]
	v_cmp_ge_i32_e32 vcc, s8, v1
	s_and_b64 s[0:1], s[2:3], vcc
	v_cmp_gt_u32_e32 vcc, 2, v0
	s_and_b64 s[2:3], vcc, s[0:1]
	s_and_saveexec_b64 s[0:1], s[2:3]
	s_cbranch_execz .LBB158_2
; %bb.1:
	s_lshl_b32 s2, s7, 2
	s_add_i32 s2, s2, 0
	v_lshl_add_u32 v1, v1, 2, s2
	ds_write_b32 v1, v0 offset:4
.LBB158_2:
	s_or_b64 exec, exec, s[0:1]
	s_waitcnt lgkmcnt(0)
	s_barrier
	s_endpgm
	.section	.rodata,"a",@progbits
	.p2align	6, 0x0
	.amdhsa_kernel _ZN5aiter28grouped_topk_opt_sort_kernelIN3c104HalfEDv2_fLi2ELb0ELb1ELb0EEEvPT_PKS4_PfPimiiiif
		.amdhsa_group_segment_fixed_size 0
		.amdhsa_private_segment_fixed_size 0
		.amdhsa_kernarg_size 60
		.amdhsa_user_sgpr_count 6
		.amdhsa_user_sgpr_private_segment_buffer 1
		.amdhsa_user_sgpr_dispatch_ptr 0
		.amdhsa_user_sgpr_queue_ptr 0
		.amdhsa_user_sgpr_kernarg_segment_ptr 1
		.amdhsa_user_sgpr_dispatch_id 0
		.amdhsa_user_sgpr_flat_scratch_init 0
		.amdhsa_user_sgpr_kernarg_preload_length 0
		.amdhsa_user_sgpr_kernarg_preload_offset 0
		.amdhsa_user_sgpr_private_segment_size 0
		.amdhsa_uses_dynamic_stack 0
		.amdhsa_system_sgpr_private_segment_wavefront_offset 0
		.amdhsa_system_sgpr_workgroup_id_x 1
		.amdhsa_system_sgpr_workgroup_id_y 0
		.amdhsa_system_sgpr_workgroup_id_z 0
		.amdhsa_system_sgpr_workgroup_info 0
		.amdhsa_system_vgpr_workitem_id 0
		.amdhsa_next_free_vgpr 13
		.amdhsa_next_free_sgpr 9
		.amdhsa_accum_offset 16
		.amdhsa_reserve_vcc 1
		.amdhsa_reserve_flat_scratch 0
		.amdhsa_float_round_mode_32 0
		.amdhsa_float_round_mode_16_64 0
		.amdhsa_float_denorm_mode_32 3
		.amdhsa_float_denorm_mode_16_64 3
		.amdhsa_dx10_clamp 1
		.amdhsa_ieee_mode 1
		.amdhsa_fp16_overflow 0
		.amdhsa_tg_split 0
		.amdhsa_exception_fp_ieee_invalid_op 0
		.amdhsa_exception_fp_denorm_src 0
		.amdhsa_exception_fp_ieee_div_zero 0
		.amdhsa_exception_fp_ieee_overflow 0
		.amdhsa_exception_fp_ieee_underflow 0
		.amdhsa_exception_fp_ieee_inexact 0
		.amdhsa_exception_int_div_zero 0
	.end_amdhsa_kernel
	.section	.text._ZN5aiter28grouped_topk_opt_sort_kernelIN3c104HalfEDv2_fLi2ELb0ELb1ELb0EEEvPT_PKS4_PfPimiiiif,"axG",@progbits,_ZN5aiter28grouped_topk_opt_sort_kernelIN3c104HalfEDv2_fLi2ELb0ELb1ELb0EEEvPT_PKS4_PfPimiiiif,comdat
.Lfunc_end158:
	.size	_ZN5aiter28grouped_topk_opt_sort_kernelIN3c104HalfEDv2_fLi2ELb0ELb1ELb0EEEvPT_PKS4_PfPimiiiif, .Lfunc_end158-_ZN5aiter28grouped_topk_opt_sort_kernelIN3c104HalfEDv2_fLi2ELb0ELb1ELb0EEEvPT_PKS4_PfPimiiiif
                                        ; -- End function
	.section	.AMDGPU.csdata,"",@progbits
; Kernel info:
; codeLenInByte = 572
; NumSgprs: 13
; NumVgprs: 13
; NumAgprs: 0
; TotalNumVgprs: 13
; ScratchSize: 0
; MemoryBound: 0
; FloatMode: 240
; IeeeMode: 1
; LDSByteSize: 0 bytes/workgroup (compile time only)
; SGPRBlocks: 1
; VGPRBlocks: 1
; NumSGPRsForWavesPerEU: 13
; NumVGPRsForWavesPerEU: 13
; AccumOffset: 16
; Occupancy: 8
; WaveLimiterHint : 0
; COMPUTE_PGM_RSRC2:SCRATCH_EN: 0
; COMPUTE_PGM_RSRC2:USER_SGPR: 6
; COMPUTE_PGM_RSRC2:TRAP_HANDLER: 0
; COMPUTE_PGM_RSRC2:TGID_X_EN: 1
; COMPUTE_PGM_RSRC2:TGID_Y_EN: 0
; COMPUTE_PGM_RSRC2:TGID_Z_EN: 0
; COMPUTE_PGM_RSRC2:TIDIG_COMP_CNT: 0
; COMPUTE_PGM_RSRC3_GFX90A:ACCUM_OFFSET: 3
; COMPUTE_PGM_RSRC3_GFX90A:TG_SPLIT: 0
	.section	.text._ZN5aiter28grouped_topk_opt_sort_kernelIN3c108BFloat16EDv2_fLi2ELb0ELb1ELb0EEEvPT_PKS4_PfPimiiiif,"axG",@progbits,_ZN5aiter28grouped_topk_opt_sort_kernelIN3c108BFloat16EDv2_fLi2ELb0ELb1ELb0EEEvPT_PKS4_PfPimiiiif,comdat
	.protected	_ZN5aiter28grouped_topk_opt_sort_kernelIN3c108BFloat16EDv2_fLi2ELb0ELb1ELb0EEEvPT_PKS4_PfPimiiiif ; -- Begin function _ZN5aiter28grouped_topk_opt_sort_kernelIN3c108BFloat16EDv2_fLi2ELb0ELb1ELb0EEEvPT_PKS4_PfPimiiiif
	.globl	_ZN5aiter28grouped_topk_opt_sort_kernelIN3c108BFloat16EDv2_fLi2ELb0ELb1ELb0EEEvPT_PKS4_PfPimiiiif
	.p2align	8
	.type	_ZN5aiter28grouped_topk_opt_sort_kernelIN3c108BFloat16EDv2_fLi2ELb0ELb1ELb0EEEvPT_PKS4_PfPimiiiif,@function
_ZN5aiter28grouped_topk_opt_sort_kernelIN3c108BFloat16EDv2_fLi2ELb0ELb1ELb0EEEvPT_PKS4_PfPimiiiif: ; @_ZN5aiter28grouped_topk_opt_sort_kernelIN3c108BFloat16EDv2_fLi2ELb0ELb1ELb0EEEvPT_PKS4_PfPimiiiif
; %bb.0:
	s_load_dword s7, s[4:5], 0x28
	s_load_dwordx4 s[0:3], s[4:5], 0x0
	s_load_dword s8, s[4:5], 0x30
	v_lshlrev_b32_e32 v1, 2, v0
	v_mbcnt_lo_u32_b32 v3, -1, 0
	s_waitcnt lgkmcnt(0)
	s_mul_i32 s4, s6, s7
	s_ashr_i32 s5, s4, 31
	s_lshl_b64 s[4:5], s[4:5], 1
	s_add_u32 s0, s0, s4
	s_addc_u32 s1, s1, s5
	global_load_dword v2, v1, s[0:1]
	global_load_dword v4, v1, s[2:3]
	s_mov_b32 s0, 0x652b82fe
	s_mov_b32 s1, 0xbff71547
	v_mbcnt_hi_u32_b32 v12, -1, v3
	s_mov_b32 s2, 0xc2fc0000
	v_mov_b32_e32 v1, 0x42800000
	v_mov_b32_e32 v8, 0x1f800000
	;; [unrolled: 1-line block ×3, first 2 shown]
	s_mov_b32 s3, 0xff800000
	v_lshlrev_b32_e32 v11, 5, v0
	v_mov_b32_e32 v10, 0x7f800000
	s_waitcnt vmcnt(1)
	v_and_b32_e32 v5, 0xffff, v2
	v_lshrrev_b32_e32 v6, 16, v2
	s_waitcnt vmcnt(0)
	v_cvt_f32_u32_sdwa v3, v4 dst_sel:DWORD dst_unused:UNUSED_PAD src0_sel:WORD_1
	v_cvt_f32_u32_sdwa v2, v4 dst_sel:DWORD dst_unused:UNUSED_PAD src0_sel:WORD_0
	v_cvt_f64_u32_e32 v[4:5], v5
	v_cvt_f64_u32_e32 v[6:7], v6
	v_mul_f64 v[4:5], v[4:5], s[0:1]
	v_mul_f64 v[6:7], v[6:7], s[0:1]
	v_cvt_f32_f64_e32 v4, v[4:5]
	v_cvt_f32_f64_e32 v5, v[6:7]
	v_cmp_gt_f32_e32 vcc, s2, v4
	v_cmp_gt_f32_e64 s[0:1], s2, v5
	v_cndmask_b32_e32 v6, 0, v1, vcc
	v_cndmask_b32_e64 v1, 0, v1, s[0:1]
	v_add_f32_e32 v4, v4, v6
	v_add_f32_e32 v1, v5, v1
	v_exp_f32_e32 v4, v4
	v_exp_f32_e32 v1, v1
	v_cndmask_b32_e32 v5, 1.0, v8, vcc
	v_cndmask_b32_e64 v6, 1.0, v8, s[0:1]
	v_fma_f32 v4, v4, v5, 1.0
	v_fma_f32 v1, v1, v6, 1.0
	v_rcp_f32_e32 v4, v4
	v_rcp_f32_e32 v5, v1
	v_and_b32_e32 v1, 64, v12
	v_and_or_b32 v6, v11, 32, v1
	v_lshlrev_b32_e32 v6, 2, v6
	v_pk_add_f32 v[2:3], v[4:5], v[2:3]
	v_cmp_o_f32_e32 vcc, v3, v3
	v_cndmask_b32_e32 v3, v9, v3, vcc
	v_cmp_o_f32_e32 vcc, v2, v2
	v_cndmask_b32_e32 v2, v9, v2, vcc
	v_med3_f32 v4, v3, v2, s3
	v_max_f32_e32 v5, v3, v2
	v_add_f32_e32 v4, v5, v4
	ds_bpermute_b32 v4, v6, v4
	v_and_b32_e32 v5, 1, v0
	v_cmp_eq_u32_e32 vcc, 0, v5
	v_cndmask_b32_e32 v5, v9, v10, vcc
	v_lshlrev_b32_e32 v1, 2, v1
	s_waitcnt lgkmcnt(0)
	v_mov_b32_dpp v6, v4 quad_perm:[1,0,3,2] row_mask:0xf bank_mask:0xf bound_ctrl:1
	v_med3_f32 v5, v4, v6, v5
	ds_bpermute_b32 v1, v1, v5 offset:12
	v_lshl_add_u32 v5, v0, 3, 0
	ds_write_b64 v5, v[2:3]
	s_waitcnt lgkmcnt(1)
	v_cmp_gt_f32_e32 vcc, v4, v1
	v_cndmask_b32_e64 v2, 0, 1, vcc
	v_cmp_eq_f32_e64 s[0:1], v4, v1
	v_cmp_ge_f32_e64 s[2:3], v4, v1
	v_mov_b32_dpp v1, v2 row_shr:1 row_mask:0xf bank_mask:0xf bound_ctrl:1
	v_addc_co_u32_e32 v1, vcc, 0, v1, vcc
	v_cndmask_b32_e64 v3, 0, 1, s[0:1]
	v_readlane_b32 s4, v1, 1
	s_nop 0
	v_mov_b32_dpp v2, v3 row_shr:1 row_mask:0xf bank_mask:0xf bound_ctrl:1
	v_mov_b32_e32 v3, s4
	v_addc_co_u32_e64 v2, vcc, v2, v3, s[0:1]
	v_cndmask_b32_e64 v1, v1, v2, s[0:1]
	v_cmp_ge_i32_e32 vcc, s8, v1
	s_and_b64 s[0:1], s[2:3], vcc
	v_cmp_gt_u32_e32 vcc, 2, v0
	s_and_b64 s[2:3], vcc, s[0:1]
	s_and_saveexec_b64 s[0:1], s[2:3]
	s_cbranch_execz .LBB159_2
; %bb.1:
	s_lshl_b32 s2, s7, 2
	s_add_i32 s2, s2, 0
	v_lshl_add_u32 v1, v1, 2, s2
	ds_write_b32 v1, v0 offset:4
.LBB159_2:
	s_or_b64 exec, exec, s[0:1]
	s_waitcnt lgkmcnt(0)
	s_barrier
	s_endpgm
	.section	.rodata,"a",@progbits
	.p2align	6, 0x0
	.amdhsa_kernel _ZN5aiter28grouped_topk_opt_sort_kernelIN3c108BFloat16EDv2_fLi2ELb0ELb1ELb0EEEvPT_PKS4_PfPimiiiif
		.amdhsa_group_segment_fixed_size 0
		.amdhsa_private_segment_fixed_size 0
		.amdhsa_kernarg_size 60
		.amdhsa_user_sgpr_count 6
		.amdhsa_user_sgpr_private_segment_buffer 1
		.amdhsa_user_sgpr_dispatch_ptr 0
		.amdhsa_user_sgpr_queue_ptr 0
		.amdhsa_user_sgpr_kernarg_segment_ptr 1
		.amdhsa_user_sgpr_dispatch_id 0
		.amdhsa_user_sgpr_flat_scratch_init 0
		.amdhsa_user_sgpr_kernarg_preload_length 0
		.amdhsa_user_sgpr_kernarg_preload_offset 0
		.amdhsa_user_sgpr_private_segment_size 0
		.amdhsa_uses_dynamic_stack 0
		.amdhsa_system_sgpr_private_segment_wavefront_offset 0
		.amdhsa_system_sgpr_workgroup_id_x 1
		.amdhsa_system_sgpr_workgroup_id_y 0
		.amdhsa_system_sgpr_workgroup_id_z 0
		.amdhsa_system_sgpr_workgroup_info 0
		.amdhsa_system_vgpr_workitem_id 0
		.amdhsa_next_free_vgpr 13
		.amdhsa_next_free_sgpr 9
		.amdhsa_accum_offset 16
		.amdhsa_reserve_vcc 1
		.amdhsa_reserve_flat_scratch 0
		.amdhsa_float_round_mode_32 0
		.amdhsa_float_round_mode_16_64 0
		.amdhsa_float_denorm_mode_32 3
		.amdhsa_float_denorm_mode_16_64 3
		.amdhsa_dx10_clamp 1
		.amdhsa_ieee_mode 1
		.amdhsa_fp16_overflow 0
		.amdhsa_tg_split 0
		.amdhsa_exception_fp_ieee_invalid_op 0
		.amdhsa_exception_fp_denorm_src 0
		.amdhsa_exception_fp_ieee_div_zero 0
		.amdhsa_exception_fp_ieee_overflow 0
		.amdhsa_exception_fp_ieee_underflow 0
		.amdhsa_exception_fp_ieee_inexact 0
		.amdhsa_exception_int_div_zero 0
	.end_amdhsa_kernel
	.section	.text._ZN5aiter28grouped_topk_opt_sort_kernelIN3c108BFloat16EDv2_fLi2ELb0ELb1ELb0EEEvPT_PKS4_PfPimiiiif,"axG",@progbits,_ZN5aiter28grouped_topk_opt_sort_kernelIN3c108BFloat16EDv2_fLi2ELb0ELb1ELb0EEEvPT_PKS4_PfPimiiiif,comdat
.Lfunc_end159:
	.size	_ZN5aiter28grouped_topk_opt_sort_kernelIN3c108BFloat16EDv2_fLi2ELb0ELb1ELb0EEEvPT_PKS4_PfPimiiiif, .Lfunc_end159-_ZN5aiter28grouped_topk_opt_sort_kernelIN3c108BFloat16EDv2_fLi2ELb0ELb1ELb0EEEvPT_PKS4_PfPimiiiif
                                        ; -- End function
	.section	.AMDGPU.csdata,"",@progbits
; Kernel info:
; codeLenInByte = 576
; NumSgprs: 13
; NumVgprs: 13
; NumAgprs: 0
; TotalNumVgprs: 13
; ScratchSize: 0
; MemoryBound: 0
; FloatMode: 240
; IeeeMode: 1
; LDSByteSize: 0 bytes/workgroup (compile time only)
; SGPRBlocks: 1
; VGPRBlocks: 1
; NumSGPRsForWavesPerEU: 13
; NumVGPRsForWavesPerEU: 13
; AccumOffset: 16
; Occupancy: 8
; WaveLimiterHint : 0
; COMPUTE_PGM_RSRC2:SCRATCH_EN: 0
; COMPUTE_PGM_RSRC2:USER_SGPR: 6
; COMPUTE_PGM_RSRC2:TRAP_HANDLER: 0
; COMPUTE_PGM_RSRC2:TGID_X_EN: 1
; COMPUTE_PGM_RSRC2:TGID_Y_EN: 0
; COMPUTE_PGM_RSRC2:TGID_Z_EN: 0
; COMPUTE_PGM_RSRC2:TIDIG_COMP_CNT: 0
; COMPUTE_PGM_RSRC3_GFX90A:ACCUM_OFFSET: 3
; COMPUTE_PGM_RSRC3_GFX90A:TG_SPLIT: 0
	.section	.text._ZN5aiter19grouped_topk_kernelIfDv2_fLi2ELb0ELb1ELb0EEEvPT_PKS2_PfPimiiiif,"axG",@progbits,_ZN5aiter19grouped_topk_kernelIfDv2_fLi2ELb0ELb1ELb0EEEvPT_PKS2_PfPimiiiif,comdat
	.protected	_ZN5aiter19grouped_topk_kernelIfDv2_fLi2ELb0ELb1ELb0EEEvPT_PKS2_PfPimiiiif ; -- Begin function _ZN5aiter19grouped_topk_kernelIfDv2_fLi2ELb0ELb1ELb0EEEvPT_PKS2_PfPimiiiif
	.globl	_ZN5aiter19grouped_topk_kernelIfDv2_fLi2ELb0ELb1ELb0EEEvPT_PKS2_PfPimiiiif
	.p2align	8
	.type	_ZN5aiter19grouped_topk_kernelIfDv2_fLi2ELb0ELb1ELb0EEEvPT_PKS2_PfPimiiiif,@function
_ZN5aiter19grouped_topk_kernelIfDv2_fLi2ELb0ELb1ELb0EEEvPT_PKS2_PfPimiiiif: ; @_ZN5aiter19grouped_topk_kernelIfDv2_fLi2ELb0ELb1ELb0EEEvPT_PKS2_PfPimiiiif
; %bb.0:
	s_load_dwordx4 s[12:15], s[4:5], 0x28
	s_load_dwordx4 s[16:19], s[4:5], 0x8
	s_load_dwordx2 s[10:11], s[4:5], 0x18
	s_waitcnt lgkmcnt(0)
	s_lshr_b32 s0, s12, 31
	s_add_i32 s0, s12, s0
	s_ashr_i32 s7, s0, 1
	v_cmp_gt_i32_e64 s[0:1], s7, v0
	s_and_saveexec_b64 s[8:9], s[0:1]
	s_cbranch_execz .LBB160_3
; %bb.1:
	s_load_dwordx2 s[2:3], s[4:5], 0x0
	s_load_dword s22, s[4:5], 0x4c
	s_mul_i32 s20, s6, s12
	s_ashr_i32 s21, s20, 31
	s_lshl_b64 s[20:21], s[20:21], 2
	s_waitcnt lgkmcnt(0)
	s_add_u32 s15, s2, s20
	s_addc_u32 s2, s3, s21
	s_and_b32 s22, s22, 0xffff
	s_mov_b32 s3, 0
	v_lshlrev_b32_e32 v2, 3, v0
	v_mov_b32_e32 v1, 0
	s_lshl_b32 s23, s22, 3
	v_add_u32_e32 v3, 0, v2
	s_mov_b64 s[20:21], 0
	v_mov_b32_e32 v4, s2
	v_mov_b32_e32 v5, s17
	s_mov_b32 s24, 0xbfb8aa3b
	s_mov_b32 s25, 0x42ce8ed0
	;; [unrolled: 1-line block ×3, first 2 shown]
	v_mov_b32_e32 v6, 0x7f800000
	v_mov_b32_e32 v7, s3
	;; [unrolled: 1-line block ×3, first 2 shown]
.LBB160_2:                              ; =>This Inner Loop Header: Depth=1
	v_add_co_u32_e32 v10, vcc, s15, v2
	v_addc_co_u32_e32 v11, vcc, v4, v1, vcc
	global_load_dwordx2 v[10:11], v[10:11], off
	v_add_co_u32_e32 v12, vcc, s16, v2
	v_addc_co_u32_e32 v13, vcc, v5, v1, vcc
	global_load_dwordx2 v[12:13], v[12:13], off
	v_add_co_u32_e32 v2, vcc, s23, v2
	v_add_u32_e32 v8, s22, v8
	v_addc_co_u32_e32 v1, vcc, v1, v7, vcc
	v_cmp_le_i32_e32 vcc, s7, v8
	s_or_b64 s[20:21], vcc, s[20:21]
	s_waitcnt vmcnt(1)
	v_mul_f32_e32 v9, 0xbfb8aa3b, v11
	v_mul_f32_e32 v14, 0xbfb8aa3b, v10
	v_fma_f32 v15, v11, s24, -v9
	v_rndne_f32_e32 v16, v9
	v_fma_f32 v17, v10, s24, -v14
	v_rndne_f32_e32 v18, v14
	v_fmac_f32_e32 v15, 0xb2a5705f, v11
	v_sub_f32_e32 v9, v9, v16
	v_fmac_f32_e32 v17, 0xb2a5705f, v10
	v_sub_f32_e32 v14, v14, v18
	v_add_f32_e32 v9, v9, v15
	v_add_f32_e32 v14, v14, v17
	v_cvt_i32_f32_e32 v16, v16
	v_cvt_i32_f32_e32 v18, v18
	v_exp_f32_e32 v9, v9
	v_exp_f32_e32 v14, v14
	v_cmp_nlt_f32_e32 vcc, s25, v10
	v_cmp_nlt_f32_e64 s[2:3], s25, v11
	v_ldexp_f32 v9, v9, v16
	v_ldexp_f32 v14, v14, v18
	v_cndmask_b32_e64 v9, 0, v9, s[2:3]
	v_cndmask_b32_e32 v14, 0, v14, vcc
	v_cmp_ngt_f32_e32 vcc, s26, v10
	v_cmp_ngt_f32_e64 s[2:3], s26, v11
	v_cndmask_b32_e64 v11, v6, v9, s[2:3]
	v_cndmask_b32_e32 v10, v6, v14, vcc
	v_pk_add_f32 v[10:11], v[10:11], 1.0 op_sel_hi:[1,0]
	v_div_scale_f32 v9, s[2:3], v11, v11, 1.0
	v_div_scale_f32 v15, s[2:3], v10, v10, 1.0
	v_rcp_f32_e32 v17, v9
	v_rcp_f32_e32 v18, v15
	v_div_scale_f32 v14, vcc, 1.0, v11, 1.0
	v_fma_f32 v19, -v9, v17, 1.0
	v_fma_f32 v20, -v15, v18, 1.0
	v_fmac_f32_e32 v17, v19, v17
	v_div_scale_f32 v16, s[2:3], 1.0, v10, 1.0
	v_fmac_f32_e32 v18, v20, v18
	v_mul_f32_e32 v19, v14, v17
	v_mul_f32_e32 v20, v16, v18
	v_fma_f32 v21, -v9, v19, v14
	v_fma_f32 v22, -v15, v20, v16
	v_fmac_f32_e32 v19, v21, v17
	v_fmac_f32_e32 v20, v22, v18
	v_fma_f32 v9, -v9, v19, v14
	v_fma_f32 v14, -v15, v20, v16
	v_div_fmas_f32 v9, v9, v17, v19
	s_mov_b64 vcc, s[2:3]
	v_div_fixup_f32 v11, v9, v11, 1.0
	v_div_fmas_f32 v9, v14, v18, v20
	v_div_fixup_f32 v10, v9, v10, 1.0
	s_waitcnt vmcnt(0)
	v_pk_add_f32 v[10:11], v[12:13], v[10:11]
	ds_write_b64 v3, v[10:11]
	v_add_u32_e32 v3, s23, v3
	s_andn2_b64 exec, exec, s[20:21]
	s_cbranch_execnz .LBB160_2
.LBB160_3:
	s_or_b64 exec, exec, s[8:9]
	s_lshl_b32 s2, s12, 2
	s_add_i32 s28, s2, 0
	v_cmp_gt_u32_e32 vcc, 64, v0
	s_waitcnt lgkmcnt(0)
	s_barrier
	s_and_saveexec_b64 s[20:21], vcc
	s_cbranch_execz .LBB160_12
; %bb.4:
	s_load_dword s8, s[4:5], 0x4c
	s_ashr_i32 s2, s12, 31
	v_lshrrev_b32_e32 v2, 5, v0
	s_lshr_b32 s2, s2, 30
	v_and_b32_e32 v1, 31, v0
	s_add_i32 s2, s12, s2
	s_waitcnt lgkmcnt(0)
	s_bfe_u32 s15, s8, 0xb0005
	v_mul_lo_u32 v3, s7, v2
	s_ashr_i32 s12, s2, 2
	v_lshlrev_b32_e32 v3, 2, v3
	v_lshlrev_b32_e32 v4, 3, v1
	s_mul_i32 s8, s7, s15
	v_cmp_gt_i32_e32 vcc, s12, v1
	v_cmp_eq_u32_e64 s[2:3], 0, v1
	v_add3_u32 v3, v3, v4, 0
	s_lshl_b32 s29, s8, 2
	s_mov_b64 s[22:23], 0
	s_branch .LBB160_6
.LBB160_5:                              ;   in Loop: Header=BB160_6 Depth=1
	s_or_b64 exec, exec, s[8:9]
	v_add_u32_e32 v2, s15, v2
	v_cmp_lt_u32_e64 s[8:9], 1, v2
	s_or_b64 s[22:23], s[8:9], s[22:23]
	v_add_u32_e32 v3, s29, v3
	s_andn2_b64 exec, exec, s[22:23]
	s_cbranch_execz .LBB160_12
.LBB160_6:                              ; =>This Loop Header: Depth=1
                                        ;     Child Loop BB160_8 Depth 2
	v_mov_b32_e32 v4, 0xff800000
	v_mov_b32_e32 v7, 0xff800000
	s_and_saveexec_b64 s[24:25], vcc
	s_cbranch_execz .LBB160_10
; %bb.7:                                ;   in Loop: Header=BB160_6 Depth=1
	s_mov_b64 s[26:27], 0
	v_mov_b32_e32 v4, 0xff800000
	v_mov_b32_e32 v5, v3
	;; [unrolled: 1-line block ×4, first 2 shown]
.LBB160_8:                              ;   Parent Loop BB160_6 Depth=1
                                        ; =>  This Inner Loop Header: Depth=2
	ds_read_b64 v[8:9], v5
	v_add_u32_e32 v6, 32, v6
	v_max_f32_e32 v7, v7, v7
	v_cmp_le_i32_e64 s[8:9], s12, v6
	s_or_b64 s[26:27], s[8:9], s[26:27]
	s_waitcnt lgkmcnt(0)
	v_max_f32_e32 v11, v8, v8
	v_max_f32_e32 v7, v11, v7
	v_cmp_gt_f32_e64 s[8:9], v8, v4
	v_max_f32_e32 v10, v4, v4
	v_cndmask_b32_e64 v7, v7, v4, s[8:9]
	v_max_f32_e32 v12, v9, v9
	v_max_f32_e32 v10, v11, v10
	;; [unrolled: 1-line block ×4, first 2 shown]
	v_cmp_gt_f32_e64 s[8:9], v9, v10
	v_add_u32_e32 v5, 0x100, v5
	v_max_f32_e32 v4, v12, v10
	v_cndmask_b32_e64 v7, v7, v10, s[8:9]
	s_andn2_b64 exec, exec, s[26:27]
	s_cbranch_execnz .LBB160_8
; %bb.9:                                ;   in Loop: Header=BB160_6 Depth=1
	s_or_b64 exec, exec, s[26:27]
.LBB160_10:                             ;   in Loop: Header=BB160_6 Depth=1
	s_or_b64 exec, exec, s[24:25]
	s_and_saveexec_b64 s[8:9], s[2:3]
	s_cbranch_execz .LBB160_5
; %bb.11:                               ;   in Loop: Header=BB160_6 Depth=1
	v_lshl_add_u32 v5, v2, 2, s28
	v_add_f32_e32 v4, v7, v4
	ds_write_b32 v5, v4
	s_branch .LBB160_5
.LBB160_12:
	s_or_b64 exec, exec, s[20:21]
	s_cmp_lt_i32 s14, 1
	s_waitcnt lgkmcnt(0)
	s_barrier
	s_cbranch_scc1 .LBB160_15
; %bb.13:
	v_mov_b32_e32 v1, s28
	s_mov_b32 s2, 0xff800000
	v_mov_b32_e32 v2, 0xff800000
.LBB160_14:                             ; =>This Inner Loop Header: Depth=1
	ds_read2_b32 v[4:5], v1 offset1:1
	s_add_i32 s14, s14, -1
	s_cmp_lg_u32 s14, 0
	s_waitcnt lgkmcnt(0)
	v_cmp_nlg_f32_e32 vcc, s2, v4
	v_cndmask_b32_e64 v3, 0, 1, vcc
	v_cmp_lg_f32_e32 vcc, s2, v4
	v_cndmask_b32_e32 v4, v2, v4, vcc
	v_lshlrev_b32_e32 v3, 1, v3
	v_cmp_ngt_f32_e32 vcc, v5, v4
	v_cndmask_b32_e32 v3, 1, v3, vcc
	v_lshlrev_b32_e32 v3, 2, v3
	v_add_u32_e32 v3, s28, v3
	ds_write_b32 v3, v2
	s_cbranch_scc1 .LBB160_14
.LBB160_15:
	v_lshlrev_b32_e32 v1, 1, v0
	v_lshl_add_u32 v4, v0, 3, 0
	s_and_saveexec_b64 s[2:3], s[0:1]
	s_cbranch_execz .LBB160_20
; %bb.16:
	s_abs_i32 s12, s7
	v_cvt_f32_u32_e32 v2, s12
	s_load_dword s14, s[4:5], 0x4c
	s_sub_i32 s15, 0, s12
	s_ashr_i32 s20, s7, 31
	v_rcp_iflag_f32_e32 v2, v2
	v_lshlrev_b32_e32 v5, 1, v0
	s_waitcnt lgkmcnt(0)
	s_and_b32 s21, s14, 0xffff
	v_lshl_add_u32 v6, v0, 3, 0
	v_mul_f32_e32 v2, 0x4f7ffffe, v2
	v_cvt_u32_f32_e32 v2, v2
	s_mov_b64 s[8:9], 0
	s_lshl_b32 s22, s21, 1
	s_lshl_b32 s23, s21, 3
	v_mul_lo_u32 v3, s15, v2
	v_mul_hi_u32 v3, v2, v3
	v_add_u32_e32 v7, v2, v3
	s_mov_b32 s24, 0xff800000
	v_mov_b32_e32 v2, 0xff800000
	v_mov_b32_e32 v8, v0
	s_branch .LBB160_18
.LBB160_17:                             ;   in Loop: Header=BB160_18 Depth=1
	s_or_b64 exec, exec, s[14:15]
	v_add_u32_e32 v8, s21, v8
	v_cmp_le_i32_e32 vcc, s7, v8
	v_add_u32_e32 v5, s22, v5
	s_or_b64 s[8:9], vcc, s[8:9]
	v_add_u32_e32 v6, s23, v6
	s_andn2_b64 exec, exec, s[8:9]
	s_cbranch_execz .LBB160_20
.LBB160_18:                             ; =>This Inner Loop Header: Depth=1
	v_mul_hi_u32 v3, v5, v7
	v_mul_lo_u32 v9, v3, s12
	v_sub_u32_e32 v9, v5, v9
	v_add_u32_e32 v10, 1, v3
	v_cmp_le_u32_e32 vcc, s12, v9
	v_cndmask_b32_e32 v3, v3, v10, vcc
	v_subrev_u32_e32 v10, s12, v9
	v_cndmask_b32_e32 v9, v9, v10, vcc
	v_add_u32_e32 v10, 1, v3
	v_cmp_le_u32_e32 vcc, s12, v9
	v_cndmask_b32_e32 v3, v3, v10, vcc
	v_xor_b32_e32 v3, s20, v3
	v_subrev_u32_e32 v3, s20, v3
	v_lshl_add_u32 v3, v3, 2, s28
	ds_read_b32 v3, v3
	s_waitcnt lgkmcnt(0)
	v_cmp_neq_f32_e32 vcc, s24, v3
	s_and_saveexec_b64 s[14:15], vcc
	s_cbranch_execz .LBB160_17
; %bb.19:                               ;   in Loop: Header=BB160_18 Depth=1
	v_mov_b32_e32 v3, v2
	ds_write_b64 v6, v[2:3]
	s_branch .LBB160_17
.LBB160_20:
	s_or_b64 exec, exec, s[2:3]
	s_cmp_lt_i32 s13, 1
	s_waitcnt lgkmcnt(0)
	s_barrier
	s_cbranch_scc1 .LBB160_27
; %bb.21:
	s_add_u32 s2, s4, 64
	s_addc_u32 s3, s5, 0
	s_mov_b32 s12, 0
	v_mov_b32_e32 v5, 0xff800000
                                        ; implicit-def: $vgpr3
                                        ; implicit-def: $vgpr2
	s_branch .LBB160_23
.LBB160_22:                             ;   in Loop: Header=BB160_23 Depth=1
	s_or_b64 exec, exec, s[8:9]
	v_mov_b32_dpp v9, v7 quad_perm:[1,0,3,2] row_mask:0xf bank_mask:0xf
	v_cmp_lt_f32_e32 vcc, v7, v9
	v_cndmask_b32_e32 v7, v7, v9, vcc
	v_mov_b32_dpp v8, v6 quad_perm:[1,0,3,2] row_mask:0xf bank_mask:0xf
	v_cndmask_b32_e32 v6, v6, v8, vcc
	v_mov_b32_dpp v9, v7 quad_perm:[2,3,0,1] row_mask:0xf bank_mask:0xf
	v_cmp_gt_f32_e32 vcc, v9, v7
	v_cndmask_b32_e32 v7, v7, v9, vcc
	v_mov_b32_dpp v8, v6 quad_perm:[2,3,0,1] row_mask:0xf bank_mask:0xf
	v_cndmask_b32_e32 v6, v6, v8, vcc
	v_mov_b32_dpp v9, v7 row_half_mirror row_mask:0xf bank_mask:0xf
	v_cmp_gt_f32_e32 vcc, v9, v7
	v_cndmask_b32_e32 v7, v7, v9, vcc
	v_mov_b32_dpp v8, v6 row_half_mirror row_mask:0xf bank_mask:0xf
	v_cndmask_b32_e32 v6, v6, v8, vcc
	v_mov_b32_dpp v9, v7 row_mirror row_mask:0xf bank_mask:0xf
	v_cmp_gt_f32_e32 vcc, v9, v7
	v_cndmask_b32_e32 v7, v7, v9, vcc
	v_mov_b32_dpp v8, v6 row_mirror row_mask:0xf bank_mask:0xf
	v_cndmask_b32_e32 v6, v6, v8, vcc
	v_mov_b32_dpp v9, v7 row_bcast:15 row_mask:0xf bank_mask:0xf
	v_cmp_gt_f32_e32 vcc, v9, v7
	v_mov_b32_dpp v8, v6 row_bcast:15 row_mask:0xf bank_mask:0xf
	v_cndmask_b32_e32 v7, v7, v9, vcc
	v_cndmask_b32_e32 v6, v6, v8, vcc
	s_nop 0
	v_mov_b32_dpp v9, v7 row_bcast:31 row_mask:0xf bank_mask:0xf
	v_mov_b32_dpp v8, v6 row_bcast:31 row_mask:0xf bank_mask:0xf
	v_cmp_gt_f32_e32 vcc, v9, v7
	v_cndmask_b32_e32 v6, v6, v8, vcc
	v_readlane_b32 s8, v6, 63
	s_ashr_i32 s9, s8, 31
	s_lshl_b64 s[14:15], s[8:9], 2
	s_add_u32 s14, s16, s14
	s_addc_u32 s15, s17, s15
	s_load_dword s9, s[14:15], 0x0
	v_cndmask_b32_e32 v6, v7, v9, vcc
	v_readlane_b32 s14, v6, 63
	v_cmp_eq_u32_e32 vcc, s12, v0
	s_add_i32 s12, s12, 1
	s_waitcnt lgkmcnt(0)
	v_mov_b32_e32 v6, s9
	s_lshl_b32 s9, s8, 2
	s_add_i32 s9, s9, 0
	v_mov_b32_e32 v7, s9
	v_sub_f32_e32 v6, s14, v6
	ds_write_b32 v7, v5
	v_mov_b32_e32 v7, s8
	v_cndmask_b32_e32 v2, v2, v7, vcc
	s_cmp_eq_u32 s12, s13
	v_cndmask_b32_e32 v3, v3, v6, vcc
	s_cbranch_scc1 .LBB160_28
.LBB160_23:                             ; =>This Loop Header: Depth=1
                                        ;     Child Loop BB160_25 Depth 2
	v_mov_b32_e32 v6, s12
	v_mov_b32_e32 v7, 0xff800000
	s_and_saveexec_b64 s[8:9], s[0:1]
	s_cbranch_execz .LBB160_22
; %bb.24:                               ;   in Loop: Header=BB160_23 Depth=1
	s_load_dword s20, s[2:3], 0xc
	s_mov_b64 s[14:15], 0
	v_mov_b32_e32 v6, s12
	v_mov_b32_e32 v7, 0xff800000
	;; [unrolled: 1-line block ×3, first 2 shown]
	s_waitcnt lgkmcnt(0)
	s_and_b32 s20, s20, 0xffff
	s_lshl_b32 s21, s20, 1
	s_lshl_b32 s22, s20, 3
	v_mov_b32_e32 v9, v1
	v_mov_b32_e32 v10, v0
.LBB160_25:                             ;   Parent Loop BB160_23 Depth=1
                                        ; =>  This Inner Loop Header: Depth=2
	ds_read_b64 v[12:13], v8
	v_add_u32_e32 v10, s20, v10
	v_cmp_le_i32_e32 vcc, s7, v10
	s_or_b64 s[14:15], vcc, s[14:15]
	v_add_u32_e32 v11, 1, v9
	s_waitcnt lgkmcnt(0)
	v_cmp_gt_f32_e32 vcc, v12, v7
	v_cndmask_b32_e32 v7, v7, v12, vcc
	v_cndmask_b32_e32 v6, v6, v9, vcc
	v_cmp_gt_f32_e32 vcc, v13, v7
	v_add_u32_e32 v8, s22, v8
	v_cndmask_b32_e32 v7, v7, v13, vcc
	v_add_u32_e32 v9, s21, v9
	v_cndmask_b32_e32 v6, v6, v11, vcc
	s_andn2_b64 exec, exec, s[14:15]
	s_cbranch_execnz .LBB160_25
; %bb.26:                               ;   in Loop: Header=BB160_23 Depth=1
	s_or_b64 exec, exec, s[14:15]
	s_branch .LBB160_22
.LBB160_27:
                                        ; implicit-def: $vgpr3
                                        ; implicit-def: $vgpr2
.LBB160_28:
	v_cmp_gt_i32_e32 vcc, s13, v0
	s_and_saveexec_b64 s[0:1], vcc
	s_cbranch_execz .LBB160_31
; %bb.29:
	s_load_dword s2, s[4:5], 0x38
	s_load_dwordx2 s[0:1], s[4:5], 0x20
	s_ashr_i32 s3, s6, 31
	s_load_dword s4, s[4:5], 0x4c
	v_mov_b32_e32 v4, s19
	s_waitcnt lgkmcnt(0)
	v_mul_f32_e32 v1, s2, v3
	s_mul_i32 s1, s6, s1
	s_mul_hi_u32 s2, s6, s0
	s_add_i32 s1, s2, s1
	s_mul_i32 s3, s3, s0
	s_add_i32 s5, s1, s3
	s_mul_i32 s2, s6, s0
	s_and_b32 s3, s4, 0xffff
	s_mov_b64 s[0:1], 0
	v_mov_b32_e32 v3, s5
	v_mov_b32_e32 v5, s11
.LBB160_30:                             ; =>This Inner Loop Header: Depth=1
	v_ashrrev_i32_e32 v7, 31, v0
	v_add_co_u32_e32 v6, vcc, s2, v0
	v_addc_co_u32_e32 v7, vcc, v3, v7, vcc
	v_add_u32_e32 v0, s3, v0
	v_cmp_le_i32_e32 vcc, s13, v0
	v_lshlrev_b64 v[6:7], 2, v[6:7]
	s_or_b64 s[0:1], vcc, s[0:1]
	v_add_co_u32_e32 v8, vcc, s18, v6
	v_addc_co_u32_e32 v9, vcc, v4, v7, vcc
	v_add_co_u32_e32 v6, vcc, s10, v6
	v_addc_co_u32_e32 v7, vcc, v5, v7, vcc
	global_store_dword v[8:9], v1, off
	global_store_dword v[6:7], v2, off
	s_andn2_b64 exec, exec, s[0:1]
	s_cbranch_execnz .LBB160_30
.LBB160_31:
	s_endpgm
	.section	.rodata,"a",@progbits
	.p2align	6, 0x0
	.amdhsa_kernel _ZN5aiter19grouped_topk_kernelIfDv2_fLi2ELb0ELb1ELb0EEEvPT_PKS2_PfPimiiiif
		.amdhsa_group_segment_fixed_size 0
		.amdhsa_private_segment_fixed_size 0
		.amdhsa_kernarg_size 320
		.amdhsa_user_sgpr_count 6
		.amdhsa_user_sgpr_private_segment_buffer 1
		.amdhsa_user_sgpr_dispatch_ptr 0
		.amdhsa_user_sgpr_queue_ptr 0
		.amdhsa_user_sgpr_kernarg_segment_ptr 1
		.amdhsa_user_sgpr_dispatch_id 0
		.amdhsa_user_sgpr_flat_scratch_init 0
		.amdhsa_user_sgpr_kernarg_preload_length 0
		.amdhsa_user_sgpr_kernarg_preload_offset 0
		.amdhsa_user_sgpr_private_segment_size 0
		.amdhsa_uses_dynamic_stack 0
		.amdhsa_system_sgpr_private_segment_wavefront_offset 0
		.amdhsa_system_sgpr_workgroup_id_x 1
		.amdhsa_system_sgpr_workgroup_id_y 0
		.amdhsa_system_sgpr_workgroup_id_z 0
		.amdhsa_system_sgpr_workgroup_info 0
		.amdhsa_system_vgpr_workitem_id 0
		.amdhsa_next_free_vgpr 23
		.amdhsa_next_free_sgpr 30
		.amdhsa_accum_offset 24
		.amdhsa_reserve_vcc 1
		.amdhsa_reserve_flat_scratch 0
		.amdhsa_float_round_mode_32 0
		.amdhsa_float_round_mode_16_64 0
		.amdhsa_float_denorm_mode_32 3
		.amdhsa_float_denorm_mode_16_64 3
		.amdhsa_dx10_clamp 1
		.amdhsa_ieee_mode 1
		.amdhsa_fp16_overflow 0
		.amdhsa_tg_split 0
		.amdhsa_exception_fp_ieee_invalid_op 0
		.amdhsa_exception_fp_denorm_src 0
		.amdhsa_exception_fp_ieee_div_zero 0
		.amdhsa_exception_fp_ieee_overflow 0
		.amdhsa_exception_fp_ieee_underflow 0
		.amdhsa_exception_fp_ieee_inexact 0
		.amdhsa_exception_int_div_zero 0
	.end_amdhsa_kernel
	.section	.text._ZN5aiter19grouped_topk_kernelIfDv2_fLi2ELb0ELb1ELb0EEEvPT_PKS2_PfPimiiiif,"axG",@progbits,_ZN5aiter19grouped_topk_kernelIfDv2_fLi2ELb0ELb1ELb0EEEvPT_PKS2_PfPimiiiif,comdat
.Lfunc_end160:
	.size	_ZN5aiter19grouped_topk_kernelIfDv2_fLi2ELb0ELb1ELb0EEEvPT_PKS2_PfPimiiiif, .Lfunc_end160-_ZN5aiter19grouped_topk_kernelIfDv2_fLi2ELb0ELb1ELb0EEEvPT_PKS2_PfPimiiiif
                                        ; -- End function
	.section	.AMDGPU.csdata,"",@progbits
; Kernel info:
; codeLenInByte = 1972
; NumSgprs: 34
; NumVgprs: 23
; NumAgprs: 0
; TotalNumVgprs: 23
; ScratchSize: 0
; MemoryBound: 0
; FloatMode: 240
; IeeeMode: 1
; LDSByteSize: 0 bytes/workgroup (compile time only)
; SGPRBlocks: 4
; VGPRBlocks: 2
; NumSGPRsForWavesPerEU: 34
; NumVGPRsForWavesPerEU: 23
; AccumOffset: 24
; Occupancy: 8
; WaveLimiterHint : 0
; COMPUTE_PGM_RSRC2:SCRATCH_EN: 0
; COMPUTE_PGM_RSRC2:USER_SGPR: 6
; COMPUTE_PGM_RSRC2:TRAP_HANDLER: 0
; COMPUTE_PGM_RSRC2:TGID_X_EN: 1
; COMPUTE_PGM_RSRC2:TGID_Y_EN: 0
; COMPUTE_PGM_RSRC2:TGID_Z_EN: 0
; COMPUTE_PGM_RSRC2:TIDIG_COMP_CNT: 0
; COMPUTE_PGM_RSRC3_GFX90A:ACCUM_OFFSET: 5
; COMPUTE_PGM_RSRC3_GFX90A:TG_SPLIT: 0
	.section	.text._ZN5aiter19grouped_topk_kernelIN3c104HalfEDv2_fLi2ELb0ELb1ELb0EEEvPT_PKS4_PfPimiiiif,"axG",@progbits,_ZN5aiter19grouped_topk_kernelIN3c104HalfEDv2_fLi2ELb0ELb1ELb0EEEvPT_PKS4_PfPimiiiif,comdat
	.protected	_ZN5aiter19grouped_topk_kernelIN3c104HalfEDv2_fLi2ELb0ELb1ELb0EEEvPT_PKS4_PfPimiiiif ; -- Begin function _ZN5aiter19grouped_topk_kernelIN3c104HalfEDv2_fLi2ELb0ELb1ELb0EEEvPT_PKS4_PfPimiiiif
	.globl	_ZN5aiter19grouped_topk_kernelIN3c104HalfEDv2_fLi2ELb0ELb1ELb0EEEvPT_PKS4_PfPimiiiif
	.p2align	8
	.type	_ZN5aiter19grouped_topk_kernelIN3c104HalfEDv2_fLi2ELb0ELb1ELb0EEEvPT_PKS4_PfPimiiiif,@function
_ZN5aiter19grouped_topk_kernelIN3c104HalfEDv2_fLi2ELb0ELb1ELb0EEEvPT_PKS4_PfPimiiiif: ; @_ZN5aiter19grouped_topk_kernelIN3c104HalfEDv2_fLi2ELb0ELb1ELb0EEEvPT_PKS4_PfPimiiiif
; %bb.0:
	s_load_dwordx4 s[12:15], s[4:5], 0x28
	s_load_dwordx4 s[16:19], s[4:5], 0x8
	s_load_dwordx2 s[10:11], s[4:5], 0x18
	v_lshl_add_u32 v4, v0, 3, 0
	s_waitcnt lgkmcnt(0)
	s_lshr_b32 s0, s12, 31
	s_add_i32 s0, s12, s0
	s_ashr_i32 s7, s0, 1
	v_cmp_gt_i32_e64 s[0:1], s7, v0
	s_and_saveexec_b64 s[8:9], s[0:1]
	s_cbranch_execz .LBB161_3
; %bb.1:
	s_load_dwordx2 s[2:3], s[4:5], 0x0
	s_load_dword s22, s[4:5], 0x4c
	s_mul_i32 s20, s6, s12
	s_ashr_i32 s21, s20, 31
	s_lshl_b64 s[20:21], s[20:21], 1
	s_waitcnt lgkmcnt(0)
	s_add_u32 s15, s2, s20
	s_addc_u32 s2, s3, s21
	s_and_b32 s22, s22, 0xffff
	s_mov_b32 s3, 0
	v_lshlrev_b32_e32 v2, 2, v0
	v_mov_b32_e32 v1, 0
	s_lshl_b32 s23, s22, 2
	v_lshl_add_u32 v3, v0, 3, 0
	s_lshl_b32 s24, s22, 3
	s_mov_b64 s[20:21], 0
	v_mov_b32_e32 v5, s2
	v_mov_b32_e32 v6, s17
	s_mov_b32 s25, 0x3fb8aa3b
	s_mov_b32 s26, 0x32a5705f
	;; [unrolled: 1-line block ×4, first 2 shown]
	v_mov_b32_e32 v7, 0x7f800000
	v_mov_b32_e32 v8, s3
	;; [unrolled: 1-line block ×3, first 2 shown]
.LBB161_2:                              ; =>This Inner Loop Header: Depth=1
	v_add_co_u32_e32 v10, vcc, s15, v2
	v_addc_co_u32_e32 v11, vcc, v5, v1, vcc
	v_add_co_u32_e32 v12, vcc, s16, v2
	v_addc_co_u32_e32 v13, vcc, v6, v1, vcc
	global_load_dword v14, v[10:11], off
	global_load_dword v15, v[12:13], off
	v_add_co_u32_e32 v2, vcc, s23, v2
	v_add_u32_e32 v9, s22, v9
	v_addc_co_u32_e32 v1, vcc, v1, v8, vcc
	v_cmp_le_i32_e32 vcc, s7, v9
	s_or_b64 s[20:21], vcc, s[20:21]
	s_waitcnt vmcnt(1)
	v_cvt_f32_f16_e64 v12, -v14
	v_cvt_f32_f16_sdwa v13, -v14 dst_sel:DWORD dst_unused:UNUSED_PAD src0_sel:WORD_1
	s_waitcnt vmcnt(0)
	v_cvt_f32_f16_e32 v10, v15
	v_cvt_f32_f16_sdwa v11, v15 dst_sel:DWORD dst_unused:UNUSED_PAD src0_sel:WORD_1
	v_mul_f32_e32 v15, 0x3fb8aa3b, v12
	v_mul_f32_e32 v16, 0x3fb8aa3b, v13
	v_fma_mix_f32 v17, -v14, s25, -v15 op_sel_hi:[1,0,0]
	v_rndne_f32_e32 v18, v15
	v_fma_mix_f32 v19, -v14, s25, -v16 op_sel:[1,0,0] op_sel_hi:[1,0,0]
	v_rndne_f32_e32 v20, v16
	v_fma_mix_f32 v17, -v14, s26, v17 op_sel_hi:[1,0,0]
	v_sub_f32_e32 v15, v15, v18
	v_fma_mix_f32 v14, -v14, s26, v19 op_sel:[1,0,0] op_sel_hi:[1,0,0]
	v_sub_f32_e32 v16, v16, v20
	v_add_f32_e32 v15, v15, v17
	v_add_f32_e32 v14, v16, v14
	v_cvt_i32_f32_e32 v18, v18
	v_cvt_i32_f32_e32 v19, v20
	v_exp_f32_e32 v15, v15
	v_exp_f32_e32 v14, v14
	v_cmp_ngt_f32_e32 vcc, s27, v13
	v_cmp_ngt_f32_e64 s[2:3], s27, v12
	v_ldexp_f32 v15, v15, v18
	v_ldexp_f32 v14, v14, v19
	v_cndmask_b32_e64 v15, 0, v15, s[2:3]
	v_cndmask_b32_e32 v14, 0, v14, vcc
	v_cmp_nlt_f32_e32 vcc, s28, v13
	v_cmp_nlt_f32_e64 s[2:3], s28, v12
	v_cndmask_b32_e64 v12, v7, v15, s[2:3]
	v_cndmask_b32_e32 v13, v7, v14, vcc
	v_pk_add_f32 v[12:13], v[12:13], 1.0 op_sel_hi:[1,0]
	v_div_scale_f32 v14, s[2:3], v13, v13, 1.0
	v_div_scale_f32 v16, s[2:3], v12, v12, 1.0
	v_rcp_f32_e32 v18, v14
	v_rcp_f32_e32 v19, v16
	v_div_scale_f32 v15, vcc, 1.0, v13, 1.0
	v_fma_f32 v20, -v14, v18, 1.0
	v_fma_f32 v21, -v16, v19, 1.0
	v_fmac_f32_e32 v18, v20, v18
	v_div_scale_f32 v17, s[2:3], 1.0, v12, 1.0
	v_fmac_f32_e32 v19, v21, v19
	v_mul_f32_e32 v20, v15, v18
	v_mul_f32_e32 v21, v17, v19
	v_fma_f32 v22, -v14, v20, v15
	v_fma_f32 v23, -v16, v21, v17
	v_fmac_f32_e32 v20, v22, v18
	v_fmac_f32_e32 v21, v23, v19
	v_fma_f32 v14, -v14, v20, v15
	v_fma_f32 v15, -v16, v21, v17
	v_div_fmas_f32 v14, v14, v18, v20
	s_mov_b64 vcc, s[2:3]
	v_div_fixup_f32 v13, v14, v13, 1.0
	v_div_fmas_f32 v14, v15, v19, v21
	v_div_fixup_f32 v12, v14, v12, 1.0
	v_pk_add_f32 v[10:11], v[12:13], v[10:11]
	ds_write_b64 v3, v[10:11]
	v_add_u32_e32 v3, s24, v3
	s_andn2_b64 exec, exec, s[20:21]
	s_cbranch_execnz .LBB161_2
.LBB161_3:
	s_or_b64 exec, exec, s[8:9]
	s_lshl_b32 s2, s12, 2
	s_add_i32 s28, s2, 0
	v_cmp_gt_u32_e32 vcc, 64, v0
	s_waitcnt lgkmcnt(0)
	s_barrier
	s_and_saveexec_b64 s[20:21], vcc
	s_cbranch_execz .LBB161_12
; %bb.4:
	s_load_dword s8, s[4:5], 0x4c
	s_ashr_i32 s2, s12, 31
	v_lshrrev_b32_e32 v2, 5, v0
	s_lshr_b32 s2, s2, 30
	v_and_b32_e32 v1, 31, v0
	s_add_i32 s2, s12, s2
	s_waitcnt lgkmcnt(0)
	s_bfe_u32 s15, s8, 0xb0005
	v_mul_lo_u32 v3, s7, v2
	s_ashr_i32 s12, s2, 2
	v_lshlrev_b32_e32 v3, 2, v3
	v_lshlrev_b32_e32 v5, 3, v1
	s_mul_i32 s8, s7, s15
	v_cmp_gt_i32_e32 vcc, s12, v1
	v_cmp_eq_u32_e64 s[2:3], 0, v1
	v_add3_u32 v3, v3, v5, 0
	s_lshl_b32 s29, s8, 2
	s_mov_b64 s[22:23], 0
	s_branch .LBB161_6
.LBB161_5:                              ;   in Loop: Header=BB161_6 Depth=1
	s_or_b64 exec, exec, s[8:9]
	v_add_u32_e32 v2, s15, v2
	v_cmp_lt_u32_e64 s[8:9], 1, v2
	s_or_b64 s[22:23], s[8:9], s[22:23]
	v_add_u32_e32 v3, s29, v3
	s_andn2_b64 exec, exec, s[22:23]
	s_cbranch_execz .LBB161_12
.LBB161_6:                              ; =>This Loop Header: Depth=1
                                        ;     Child Loop BB161_8 Depth 2
	v_mov_b32_e32 v5, 0xff800000
	v_mov_b32_e32 v8, 0xff800000
	s_and_saveexec_b64 s[24:25], vcc
	s_cbranch_execz .LBB161_10
; %bb.7:                                ;   in Loop: Header=BB161_6 Depth=1
	s_mov_b64 s[26:27], 0
	v_mov_b32_e32 v5, 0xff800000
	v_mov_b32_e32 v6, v3
	;; [unrolled: 1-line block ×4, first 2 shown]
.LBB161_8:                              ;   Parent Loop BB161_6 Depth=1
                                        ; =>  This Inner Loop Header: Depth=2
	ds_read_b64 v[10:11], v6
	v_add_u32_e32 v7, 32, v7
	v_max_f32_e32 v8, v8, v8
	v_cmp_le_i32_e64 s[8:9], s12, v7
	s_or_b64 s[26:27], s[8:9], s[26:27]
	s_waitcnt lgkmcnt(0)
	v_max_f32_e32 v12, v10, v10
	v_max_f32_e32 v8, v12, v8
	v_cmp_gt_f32_e64 s[8:9], v10, v5
	v_max_f32_e32 v9, v5, v5
	v_cndmask_b32_e64 v8, v8, v5, s[8:9]
	v_max_f32_e32 v13, v11, v11
	v_max_f32_e32 v9, v12, v9
	;; [unrolled: 1-line block ×4, first 2 shown]
	v_cmp_gt_f32_e64 s[8:9], v11, v9
	v_add_u32_e32 v6, 0x100, v6
	v_max_f32_e32 v5, v13, v9
	v_cndmask_b32_e64 v8, v8, v9, s[8:9]
	s_andn2_b64 exec, exec, s[26:27]
	s_cbranch_execnz .LBB161_8
; %bb.9:                                ;   in Loop: Header=BB161_6 Depth=1
	s_or_b64 exec, exec, s[26:27]
.LBB161_10:                             ;   in Loop: Header=BB161_6 Depth=1
	s_or_b64 exec, exec, s[24:25]
	s_and_saveexec_b64 s[8:9], s[2:3]
	s_cbranch_execz .LBB161_5
; %bb.11:                               ;   in Loop: Header=BB161_6 Depth=1
	v_lshl_add_u32 v6, v2, 2, s28
	v_add_f32_e32 v5, v8, v5
	ds_write_b32 v6, v5
	s_branch .LBB161_5
.LBB161_12:
	s_or_b64 exec, exec, s[20:21]
	s_cmp_lt_i32 s14, 1
	s_waitcnt lgkmcnt(0)
	s_barrier
	s_cbranch_scc1 .LBB161_15
; %bb.13:
	v_mov_b32_e32 v1, s28
	s_mov_b32 s2, 0xff800000
	v_mov_b32_e32 v2, 0xff800000
.LBB161_14:                             ; =>This Inner Loop Header: Depth=1
	ds_read2_b32 v[6:7], v1 offset1:1
	s_add_i32 s14, s14, -1
	s_cmp_lg_u32 s14, 0
	s_waitcnt lgkmcnt(0)
	v_cmp_nlg_f32_e32 vcc, s2, v6
	v_cndmask_b32_e64 v3, 0, 1, vcc
	v_cmp_lg_f32_e32 vcc, s2, v6
	v_cndmask_b32_e32 v5, v2, v6, vcc
	v_lshlrev_b32_e32 v3, 1, v3
	v_cmp_ngt_f32_e32 vcc, v7, v5
	v_cndmask_b32_e32 v3, 1, v3, vcc
	v_lshlrev_b32_e32 v3, 2, v3
	v_add_u32_e32 v3, s28, v3
	ds_write_b32 v3, v2
	s_cbranch_scc1 .LBB161_14
.LBB161_15:
	v_lshlrev_b32_e32 v1, 1, v0
	s_and_saveexec_b64 s[2:3], s[0:1]
	s_cbranch_execz .LBB161_20
; %bb.16:
	s_abs_i32 s12, s7
	v_cvt_f32_u32_e32 v2, s12
	s_load_dword s14, s[4:5], 0x4c
	s_sub_i32 s15, 0, s12
	s_ashr_i32 s20, s7, 31
	v_rcp_iflag_f32_e32 v2, v2
	v_lshlrev_b32_e32 v5, 1, v0
	s_waitcnt lgkmcnt(0)
	s_and_b32 s21, s14, 0xffff
	v_lshl_add_u32 v6, v0, 3, 0
	v_mul_f32_e32 v2, 0x4f7ffffe, v2
	v_cvt_u32_f32_e32 v2, v2
	s_mov_b64 s[8:9], 0
	s_lshl_b32 s22, s21, 1
	s_lshl_b32 s23, s21, 3
	v_mul_lo_u32 v3, s15, v2
	v_mul_hi_u32 v3, v2, v3
	v_add_u32_e32 v7, v2, v3
	s_mov_b32 s24, 0xff800000
	v_mov_b32_e32 v2, 0xff800000
	v_mov_b32_e32 v8, v0
	s_branch .LBB161_18
.LBB161_17:                             ;   in Loop: Header=BB161_18 Depth=1
	s_or_b64 exec, exec, s[14:15]
	v_add_u32_e32 v8, s21, v8
	v_cmp_le_i32_e32 vcc, s7, v8
	v_add_u32_e32 v5, s22, v5
	s_or_b64 s[8:9], vcc, s[8:9]
	v_add_u32_e32 v6, s23, v6
	s_andn2_b64 exec, exec, s[8:9]
	s_cbranch_execz .LBB161_20
.LBB161_18:                             ; =>This Inner Loop Header: Depth=1
	v_mul_hi_u32 v3, v5, v7
	v_mul_lo_u32 v9, v3, s12
	v_sub_u32_e32 v9, v5, v9
	v_add_u32_e32 v10, 1, v3
	v_cmp_le_u32_e32 vcc, s12, v9
	v_cndmask_b32_e32 v3, v3, v10, vcc
	v_subrev_u32_e32 v10, s12, v9
	v_cndmask_b32_e32 v9, v9, v10, vcc
	v_add_u32_e32 v10, 1, v3
	v_cmp_le_u32_e32 vcc, s12, v9
	v_cndmask_b32_e32 v3, v3, v10, vcc
	v_xor_b32_e32 v3, s20, v3
	v_subrev_u32_e32 v3, s20, v3
	v_lshl_add_u32 v3, v3, 2, s28
	ds_read_b32 v3, v3
	s_waitcnt lgkmcnt(0)
	v_cmp_neq_f32_e32 vcc, s24, v3
	s_and_saveexec_b64 s[14:15], vcc
	s_cbranch_execz .LBB161_17
; %bb.19:                               ;   in Loop: Header=BB161_18 Depth=1
	v_mov_b32_e32 v3, v2
	ds_write_b64 v6, v[2:3]
	s_branch .LBB161_17
.LBB161_20:
	s_or_b64 exec, exec, s[2:3]
	s_cmp_lt_i32 s13, 1
	s_waitcnt lgkmcnt(0)
	s_barrier
	s_cbranch_scc1 .LBB161_27
; %bb.21:
	s_add_u32 s2, s4, 64
	s_addc_u32 s3, s5, 0
	s_mov_b32 s12, 0
	v_mov_b32_e32 v5, 0
	v_mov_b32_e32 v6, 0xff800000
                                        ; implicit-def: $vgpr3
                                        ; implicit-def: $vgpr2
	s_branch .LBB161_23
.LBB161_22:                             ;   in Loop: Header=BB161_23 Depth=1
	s_or_b64 exec, exec, s[8:9]
	v_mov_b32_dpp v10, v8 quad_perm:[1,0,3,2] row_mask:0xf bank_mask:0xf
	v_cmp_lt_f32_e32 vcc, v8, v10
	v_cndmask_b32_e32 v8, v8, v10, vcc
	v_mov_b32_dpp v9, v7 quad_perm:[1,0,3,2] row_mask:0xf bank_mask:0xf
	v_cndmask_b32_e32 v7, v7, v9, vcc
	v_mov_b32_dpp v10, v8 quad_perm:[2,3,0,1] row_mask:0xf bank_mask:0xf
	v_cmp_gt_f32_e32 vcc, v10, v8
	v_cndmask_b32_e32 v8, v8, v10, vcc
	v_mov_b32_dpp v9, v7 quad_perm:[2,3,0,1] row_mask:0xf bank_mask:0xf
	v_cndmask_b32_e32 v7, v7, v9, vcc
	v_mov_b32_dpp v10, v8 row_half_mirror row_mask:0xf bank_mask:0xf
	v_cmp_gt_f32_e32 vcc, v10, v8
	v_cndmask_b32_e32 v8, v8, v10, vcc
	v_mov_b32_dpp v9, v7 row_half_mirror row_mask:0xf bank_mask:0xf
	v_cndmask_b32_e32 v7, v7, v9, vcc
	v_mov_b32_dpp v10, v8 row_mirror row_mask:0xf bank_mask:0xf
	v_cmp_gt_f32_e32 vcc, v10, v8
	v_cndmask_b32_e32 v8, v8, v10, vcc
	v_mov_b32_dpp v9, v7 row_mirror row_mask:0xf bank_mask:0xf
	v_cndmask_b32_e32 v7, v7, v9, vcc
	v_mov_b32_dpp v10, v8 row_bcast:15 row_mask:0xf bank_mask:0xf
	v_cmp_gt_f32_e32 vcc, v10, v8
	v_mov_b32_dpp v9, v7 row_bcast:15 row_mask:0xf bank_mask:0xf
	v_cndmask_b32_e32 v8, v8, v10, vcc
	v_cndmask_b32_e32 v7, v7, v9, vcc
	s_nop 0
	v_mov_b32_dpp v10, v8 row_bcast:31 row_mask:0xf bank_mask:0xf
	v_mov_b32_dpp v9, v7 row_bcast:31 row_mask:0xf bank_mask:0xf
	v_cmp_gt_f32_e32 vcc, v10, v8
	v_cndmask_b32_e32 v7, v7, v9, vcc
	v_readlane_b32 s8, v7, 63
	s_ashr_i32 s9, s8, 31
	s_lshl_b64 s[14:15], s[8:9], 1
	s_add_u32 s14, s16, s14
	s_addc_u32 s15, s17, s15
	global_load_ushort v7, v5, s[14:15]
	v_cndmask_b32_e32 v8, v8, v10, vcc
	v_readlane_b32 s9, v8, 63
	v_mov_b32_e32 v8, s8
	s_lshl_b32 s8, s8, 2
	v_cmp_eq_u32_e32 vcc, s12, v0
	s_add_i32 s12, s12, 1
	s_add_i32 s8, s8, 0
	v_cndmask_b32_e32 v2, v2, v8, vcc
	v_mov_b32_e32 v8, s8
	s_cmp_eq_u32 s12, s13
	ds_write_b32 v8, v6
	s_waitcnt vmcnt(0)
	v_cvt_f32_f16_e32 v7, v7
	v_sub_f32_e32 v7, s9, v7
	v_cndmask_b32_e32 v3, v3, v7, vcc
	s_cbranch_scc1 .LBB161_28
.LBB161_23:                             ; =>This Loop Header: Depth=1
                                        ;     Child Loop BB161_25 Depth 2
	v_mov_b32_e32 v7, s12
	v_mov_b32_e32 v8, 0xff800000
	s_and_saveexec_b64 s[8:9], s[0:1]
	s_cbranch_execz .LBB161_22
; %bb.24:                               ;   in Loop: Header=BB161_23 Depth=1
	s_load_dword s20, s[2:3], 0xc
	s_mov_b64 s[14:15], 0
	v_mov_b32_e32 v7, s12
	v_mov_b32_e32 v8, 0xff800000
	;; [unrolled: 1-line block ×3, first 2 shown]
	s_waitcnt lgkmcnt(0)
	s_and_b32 s20, s20, 0xffff
	s_lshl_b32 s21, s20, 1
	s_lshl_b32 s22, s20, 3
	v_mov_b32_e32 v10, v1
	v_mov_b32_e32 v11, v0
.LBB161_25:                             ;   Parent Loop BB161_23 Depth=1
                                        ; =>  This Inner Loop Header: Depth=2
	ds_read_b64 v[12:13], v9
	v_add_u32_e32 v11, s20, v11
	v_cmp_le_i32_e32 vcc, s7, v11
	s_or_b64 s[14:15], vcc, s[14:15]
	v_add_u32_e32 v14, 1, v10
	s_waitcnt lgkmcnt(0)
	v_cmp_gt_f32_e32 vcc, v12, v8
	v_cndmask_b32_e32 v8, v8, v12, vcc
	v_cndmask_b32_e32 v7, v7, v10, vcc
	v_cmp_gt_f32_e32 vcc, v13, v8
	v_add_u32_e32 v9, s22, v9
	v_cndmask_b32_e32 v8, v8, v13, vcc
	v_add_u32_e32 v10, s21, v10
	v_cndmask_b32_e32 v7, v7, v14, vcc
	s_andn2_b64 exec, exec, s[14:15]
	s_cbranch_execnz .LBB161_25
; %bb.26:                               ;   in Loop: Header=BB161_23 Depth=1
	s_or_b64 exec, exec, s[14:15]
	s_branch .LBB161_22
.LBB161_27:
                                        ; implicit-def: $vgpr3
                                        ; implicit-def: $vgpr2
.LBB161_28:
	v_cmp_gt_i32_e32 vcc, s13, v0
	s_and_saveexec_b64 s[0:1], vcc
	s_cbranch_execz .LBB161_31
; %bb.29:
	s_load_dword s2, s[4:5], 0x38
	s_load_dwordx2 s[0:1], s[4:5], 0x20
	s_ashr_i32 s3, s6, 31
	s_load_dword s4, s[4:5], 0x4c
	v_mov_b32_e32 v4, s19
	s_waitcnt lgkmcnt(0)
	v_mul_f32_e32 v1, s2, v3
	s_mul_i32 s1, s6, s1
	s_mul_hi_u32 s2, s6, s0
	s_add_i32 s1, s2, s1
	s_mul_i32 s3, s3, s0
	s_add_i32 s5, s1, s3
	s_mul_i32 s2, s6, s0
	s_and_b32 s3, s4, 0xffff
	s_mov_b64 s[0:1], 0
	v_mov_b32_e32 v3, s5
	v_mov_b32_e32 v5, s11
.LBB161_30:                             ; =>This Inner Loop Header: Depth=1
	v_ashrrev_i32_e32 v7, 31, v0
	v_add_co_u32_e32 v6, vcc, s2, v0
	v_addc_co_u32_e32 v7, vcc, v3, v7, vcc
	v_add_u32_e32 v0, s3, v0
	v_cmp_le_i32_e32 vcc, s13, v0
	v_lshlrev_b64 v[6:7], 2, v[6:7]
	s_or_b64 s[0:1], vcc, s[0:1]
	v_add_co_u32_e32 v8, vcc, s18, v6
	v_addc_co_u32_e32 v9, vcc, v4, v7, vcc
	v_add_co_u32_e32 v6, vcc, s10, v6
	v_addc_co_u32_e32 v7, vcc, v5, v7, vcc
	global_store_dword v[8:9], v1, off
	global_store_dword v[6:7], v2, off
	s_andn2_b64 exec, exec, s[0:1]
	s_cbranch_execnz .LBB161_30
.LBB161_31:
	s_endpgm
	.section	.rodata,"a",@progbits
	.p2align	6, 0x0
	.amdhsa_kernel _ZN5aiter19grouped_topk_kernelIN3c104HalfEDv2_fLi2ELb0ELb1ELb0EEEvPT_PKS4_PfPimiiiif
		.amdhsa_group_segment_fixed_size 0
		.amdhsa_private_segment_fixed_size 0
		.amdhsa_kernarg_size 320
		.amdhsa_user_sgpr_count 6
		.amdhsa_user_sgpr_private_segment_buffer 1
		.amdhsa_user_sgpr_dispatch_ptr 0
		.amdhsa_user_sgpr_queue_ptr 0
		.amdhsa_user_sgpr_kernarg_segment_ptr 1
		.amdhsa_user_sgpr_dispatch_id 0
		.amdhsa_user_sgpr_flat_scratch_init 0
		.amdhsa_user_sgpr_kernarg_preload_length 0
		.amdhsa_user_sgpr_kernarg_preload_offset 0
		.amdhsa_user_sgpr_private_segment_size 0
		.amdhsa_uses_dynamic_stack 0
		.amdhsa_system_sgpr_private_segment_wavefront_offset 0
		.amdhsa_system_sgpr_workgroup_id_x 1
		.amdhsa_system_sgpr_workgroup_id_y 0
		.amdhsa_system_sgpr_workgroup_id_z 0
		.amdhsa_system_sgpr_workgroup_info 0
		.amdhsa_system_vgpr_workitem_id 0
		.amdhsa_next_free_vgpr 24
		.amdhsa_next_free_sgpr 30
		.amdhsa_accum_offset 24
		.amdhsa_reserve_vcc 1
		.amdhsa_reserve_flat_scratch 0
		.amdhsa_float_round_mode_32 0
		.amdhsa_float_round_mode_16_64 0
		.amdhsa_float_denorm_mode_32 3
		.amdhsa_float_denorm_mode_16_64 3
		.amdhsa_dx10_clamp 1
		.amdhsa_ieee_mode 1
		.amdhsa_fp16_overflow 0
		.amdhsa_tg_split 0
		.amdhsa_exception_fp_ieee_invalid_op 0
		.amdhsa_exception_fp_denorm_src 0
		.amdhsa_exception_fp_ieee_div_zero 0
		.amdhsa_exception_fp_ieee_overflow 0
		.amdhsa_exception_fp_ieee_underflow 0
		.amdhsa_exception_fp_ieee_inexact 0
		.amdhsa_exception_int_div_zero 0
	.end_amdhsa_kernel
	.section	.text._ZN5aiter19grouped_topk_kernelIN3c104HalfEDv2_fLi2ELb0ELb1ELb0EEEvPT_PKS4_PfPimiiiif,"axG",@progbits,_ZN5aiter19grouped_topk_kernelIN3c104HalfEDv2_fLi2ELb0ELb1ELb0EEEvPT_PKS4_PfPimiiiif,comdat
.Lfunc_end161:
	.size	_ZN5aiter19grouped_topk_kernelIN3c104HalfEDv2_fLi2ELb0ELb1ELb0EEEvPT_PKS4_PfPimiiiif, .Lfunc_end161-_ZN5aiter19grouped_topk_kernelIN3c104HalfEDv2_fLi2ELb0ELb1ELb0EEEvPT_PKS4_PfPimiiiif
                                        ; -- End function
	.section	.AMDGPU.csdata,"",@progbits
; Kernel info:
; codeLenInByte = 2020
; NumSgprs: 34
; NumVgprs: 24
; NumAgprs: 0
; TotalNumVgprs: 24
; ScratchSize: 0
; MemoryBound: 0
; FloatMode: 240
; IeeeMode: 1
; LDSByteSize: 0 bytes/workgroup (compile time only)
; SGPRBlocks: 4
; VGPRBlocks: 2
; NumSGPRsForWavesPerEU: 34
; NumVGPRsForWavesPerEU: 24
; AccumOffset: 24
; Occupancy: 8
; WaveLimiterHint : 0
; COMPUTE_PGM_RSRC2:SCRATCH_EN: 0
; COMPUTE_PGM_RSRC2:USER_SGPR: 6
; COMPUTE_PGM_RSRC2:TRAP_HANDLER: 0
; COMPUTE_PGM_RSRC2:TGID_X_EN: 1
; COMPUTE_PGM_RSRC2:TGID_Y_EN: 0
; COMPUTE_PGM_RSRC2:TGID_Z_EN: 0
; COMPUTE_PGM_RSRC2:TIDIG_COMP_CNT: 0
; COMPUTE_PGM_RSRC3_GFX90A:ACCUM_OFFSET: 5
; COMPUTE_PGM_RSRC3_GFX90A:TG_SPLIT: 0
	.section	.text._ZN5aiter19grouped_topk_kernelIN3c108BFloat16EDv2_fLi2ELb0ELb1ELb0EEEvPT_PKS4_PfPimiiiif,"axG",@progbits,_ZN5aiter19grouped_topk_kernelIN3c108BFloat16EDv2_fLi2ELb0ELb1ELb0EEEvPT_PKS4_PfPimiiiif,comdat
	.protected	_ZN5aiter19grouped_topk_kernelIN3c108BFloat16EDv2_fLi2ELb0ELb1ELb0EEEvPT_PKS4_PfPimiiiif ; -- Begin function _ZN5aiter19grouped_topk_kernelIN3c108BFloat16EDv2_fLi2ELb0ELb1ELb0EEEvPT_PKS4_PfPimiiiif
	.globl	_ZN5aiter19grouped_topk_kernelIN3c108BFloat16EDv2_fLi2ELb0ELb1ELb0EEEvPT_PKS4_PfPimiiiif
	.p2align	8
	.type	_ZN5aiter19grouped_topk_kernelIN3c108BFloat16EDv2_fLi2ELb0ELb1ELb0EEEvPT_PKS4_PfPimiiiif,@function
_ZN5aiter19grouped_topk_kernelIN3c108BFloat16EDv2_fLi2ELb0ELb1ELb0EEEvPT_PKS4_PfPimiiiif: ; @_ZN5aiter19grouped_topk_kernelIN3c108BFloat16EDv2_fLi2ELb0ELb1ELb0EEEvPT_PKS4_PfPimiiiif
; %bb.0:
	s_load_dwordx4 s[12:15], s[4:5], 0x28
	s_load_dwordx4 s[16:19], s[4:5], 0x8
	s_load_dwordx2 s[10:11], s[4:5], 0x18
	v_lshl_add_u32 v4, v0, 3, 0
	s_waitcnt lgkmcnt(0)
	s_lshr_b32 s0, s12, 31
	s_add_i32 s0, s12, s0
	s_ashr_i32 s7, s0, 1
	v_cmp_gt_i32_e64 s[0:1], s7, v0
	s_and_saveexec_b64 s[8:9], s[0:1]
	s_cbranch_execz .LBB162_3
; %bb.1:
	s_load_dwordx2 s[2:3], s[4:5], 0x0
	s_load_dword s22, s[4:5], 0x4c
	s_mul_i32 s20, s6, s12
	s_ashr_i32 s21, s20, 31
	s_lshl_b64 s[20:21], s[20:21], 1
	s_waitcnt lgkmcnt(0)
	s_add_u32 s15, s2, s20
	s_addc_u32 s2, s3, s21
	s_and_b32 s22, s22, 0xffff
	s_mov_b32 s3, 0
	v_lshlrev_b32_e32 v2, 2, v0
	v_mov_b32_e32 v1, 0
	s_lshl_b32 s23, s22, 2
	v_lshl_add_u32 v3, v0, 3, 0
	s_lshl_b32 s24, s22, 3
	s_mov_b64 s[20:21], 0
	v_mov_b32_e32 v5, s2
	v_mov_b32_e32 v6, s17
	s_mov_b32 s25, 0xbfb8aa3b
	s_mov_b32 s26, 0x42ce8ed0
	;; [unrolled: 1-line block ×3, first 2 shown]
	v_mov_b32_e32 v7, 0x7f800000
	v_mov_b32_e32 v8, s3
	v_mov_b32_e32 v9, v0
.LBB162_2:                              ; =>This Inner Loop Header: Depth=1
	v_add_co_u32_e32 v10, vcc, s15, v2
	v_addc_co_u32_e32 v11, vcc, v5, v1, vcc
	v_add_co_u32_e32 v12, vcc, s16, v2
	v_addc_co_u32_e32 v13, vcc, v6, v1, vcc
	global_load_dword v14, v[10:11], off
	global_load_dword v15, v[12:13], off
	v_add_co_u32_e32 v2, vcc, s23, v2
	v_add_u32_e32 v9, s22, v9
	v_addc_co_u32_e32 v1, vcc, v1, v8, vcc
	v_cmp_le_i32_e32 vcc, s7, v9
	s_or_b64 s[20:21], vcc, s[20:21]
	s_waitcnt vmcnt(1)
	v_cvt_f32_u32_sdwa v12, v14 dst_sel:DWORD dst_unused:UNUSED_PAD src0_sel:WORD_1
	v_cvt_f32_u32_sdwa v13, v14 dst_sel:DWORD dst_unused:UNUSED_PAD src0_sel:WORD_0
	s_waitcnt vmcnt(0)
	v_cvt_f32_u32_sdwa v11, v15 dst_sel:DWORD dst_unused:UNUSED_PAD src0_sel:WORD_1
	v_cvt_f32_u32_sdwa v10, v15 dst_sel:DWORD dst_unused:UNUSED_PAD src0_sel:WORD_0
	v_mul_f32_e32 v14, 0xbfb8aa3b, v12
	v_mul_f32_e32 v15, 0xbfb8aa3b, v13
	v_fma_f32 v16, v12, s25, -v14
	v_rndne_f32_e32 v17, v14
	v_fma_f32 v18, v13, s25, -v15
	v_rndne_f32_e32 v19, v15
	v_fmac_f32_e32 v16, 0xb2a5705f, v12
	v_sub_f32_e32 v14, v14, v17
	v_fmac_f32_e32 v18, 0xb2a5705f, v13
	v_sub_f32_e32 v15, v15, v19
	v_add_f32_e32 v14, v14, v16
	v_add_f32_e32 v15, v15, v18
	v_cvt_i32_f32_e32 v17, v17
	v_cvt_i32_f32_e32 v19, v19
	v_exp_f32_e32 v14, v14
	v_exp_f32_e32 v15, v15
	v_cmp_nlt_f32_e32 vcc, s26, v13
	v_cmp_nlt_f32_e64 s[2:3], s26, v12
	v_ldexp_f32 v14, v14, v17
	v_ldexp_f32 v15, v15, v19
	v_cndmask_b32_e64 v14, 0, v14, s[2:3]
	v_cndmask_b32_e32 v15, 0, v15, vcc
	v_cmp_ngt_f32_e32 vcc, s27, v13
	v_cmp_ngt_f32_e64 s[2:3], s27, v12
	v_cndmask_b32_e64 v13, v7, v14, s[2:3]
	v_cndmask_b32_e32 v12, v7, v15, vcc
	v_pk_add_f32 v[12:13], v[12:13], 1.0 op_sel_hi:[1,0]
	v_div_scale_f32 v14, s[2:3], v13, v13, 1.0
	v_div_scale_f32 v16, s[2:3], v12, v12, 1.0
	v_rcp_f32_e32 v18, v14
	v_rcp_f32_e32 v19, v16
	v_div_scale_f32 v15, vcc, 1.0, v13, 1.0
	v_fma_f32 v20, -v14, v18, 1.0
	v_fma_f32 v21, -v16, v19, 1.0
	v_fmac_f32_e32 v18, v20, v18
	v_div_scale_f32 v17, s[2:3], 1.0, v12, 1.0
	v_fmac_f32_e32 v19, v21, v19
	v_mul_f32_e32 v20, v15, v18
	v_mul_f32_e32 v21, v17, v19
	v_fma_f32 v22, -v14, v20, v15
	v_fma_f32 v23, -v16, v21, v17
	v_fmac_f32_e32 v20, v22, v18
	v_fmac_f32_e32 v21, v23, v19
	v_fma_f32 v14, -v14, v20, v15
	v_fma_f32 v15, -v16, v21, v17
	v_div_fmas_f32 v14, v14, v18, v20
	s_mov_b64 vcc, s[2:3]
	v_div_fixup_f32 v13, v14, v13, 1.0
	v_div_fmas_f32 v14, v15, v19, v21
	v_div_fixup_f32 v12, v14, v12, 1.0
	v_pk_add_f32 v[10:11], v[12:13], v[10:11]
	ds_write_b64 v3, v[10:11]
	v_add_u32_e32 v3, s24, v3
	s_andn2_b64 exec, exec, s[20:21]
	s_cbranch_execnz .LBB162_2
.LBB162_3:
	s_or_b64 exec, exec, s[8:9]
	s_lshl_b32 s2, s12, 2
	s_add_i32 s28, s2, 0
	v_cmp_gt_u32_e32 vcc, 64, v0
	s_waitcnt lgkmcnt(0)
	s_barrier
	s_and_saveexec_b64 s[20:21], vcc
	s_cbranch_execz .LBB162_12
; %bb.4:
	s_load_dword s8, s[4:5], 0x4c
	s_ashr_i32 s2, s12, 31
	v_lshrrev_b32_e32 v2, 5, v0
	s_lshr_b32 s2, s2, 30
	v_and_b32_e32 v1, 31, v0
	s_add_i32 s2, s12, s2
	s_waitcnt lgkmcnt(0)
	s_bfe_u32 s15, s8, 0xb0005
	v_mul_lo_u32 v3, s7, v2
	s_ashr_i32 s12, s2, 2
	v_lshlrev_b32_e32 v3, 2, v3
	v_lshlrev_b32_e32 v5, 3, v1
	s_mul_i32 s8, s7, s15
	v_cmp_gt_i32_e32 vcc, s12, v1
	v_cmp_eq_u32_e64 s[2:3], 0, v1
	v_add3_u32 v3, v3, v5, 0
	s_lshl_b32 s29, s8, 2
	s_mov_b64 s[22:23], 0
	s_branch .LBB162_6
.LBB162_5:                              ;   in Loop: Header=BB162_6 Depth=1
	s_or_b64 exec, exec, s[8:9]
	v_add_u32_e32 v2, s15, v2
	v_cmp_lt_u32_e64 s[8:9], 1, v2
	s_or_b64 s[22:23], s[8:9], s[22:23]
	v_add_u32_e32 v3, s29, v3
	s_andn2_b64 exec, exec, s[22:23]
	s_cbranch_execz .LBB162_12
.LBB162_6:                              ; =>This Loop Header: Depth=1
                                        ;     Child Loop BB162_8 Depth 2
	v_mov_b32_e32 v5, 0xff800000
	v_mov_b32_e32 v8, 0xff800000
	s_and_saveexec_b64 s[24:25], vcc
	s_cbranch_execz .LBB162_10
; %bb.7:                                ;   in Loop: Header=BB162_6 Depth=1
	s_mov_b64 s[26:27], 0
	v_mov_b32_e32 v5, 0xff800000
	v_mov_b32_e32 v6, v3
	;; [unrolled: 1-line block ×4, first 2 shown]
.LBB162_8:                              ;   Parent Loop BB162_6 Depth=1
                                        ; =>  This Inner Loop Header: Depth=2
	ds_read_b64 v[10:11], v6
	v_add_u32_e32 v7, 32, v7
	v_max_f32_e32 v8, v8, v8
	v_cmp_le_i32_e64 s[8:9], s12, v7
	s_or_b64 s[26:27], s[8:9], s[26:27]
	s_waitcnt lgkmcnt(0)
	v_max_f32_e32 v12, v10, v10
	v_max_f32_e32 v8, v12, v8
	v_cmp_gt_f32_e64 s[8:9], v10, v5
	v_max_f32_e32 v9, v5, v5
	v_cndmask_b32_e64 v8, v8, v5, s[8:9]
	v_max_f32_e32 v13, v11, v11
	v_max_f32_e32 v9, v12, v9
	;; [unrolled: 1-line block ×4, first 2 shown]
	v_cmp_gt_f32_e64 s[8:9], v11, v9
	v_add_u32_e32 v6, 0x100, v6
	v_max_f32_e32 v5, v13, v9
	v_cndmask_b32_e64 v8, v8, v9, s[8:9]
	s_andn2_b64 exec, exec, s[26:27]
	s_cbranch_execnz .LBB162_8
; %bb.9:                                ;   in Loop: Header=BB162_6 Depth=1
	s_or_b64 exec, exec, s[26:27]
.LBB162_10:                             ;   in Loop: Header=BB162_6 Depth=1
	s_or_b64 exec, exec, s[24:25]
	s_and_saveexec_b64 s[8:9], s[2:3]
	s_cbranch_execz .LBB162_5
; %bb.11:                               ;   in Loop: Header=BB162_6 Depth=1
	v_lshl_add_u32 v6, v2, 2, s28
	v_add_f32_e32 v5, v8, v5
	ds_write_b32 v6, v5
	s_branch .LBB162_5
.LBB162_12:
	s_or_b64 exec, exec, s[20:21]
	s_cmp_lt_i32 s14, 1
	s_waitcnt lgkmcnt(0)
	s_barrier
	s_cbranch_scc1 .LBB162_15
; %bb.13:
	v_mov_b32_e32 v1, s28
	s_mov_b32 s2, 0xff800000
	v_mov_b32_e32 v2, 0xff800000
.LBB162_14:                             ; =>This Inner Loop Header: Depth=1
	ds_read2_b32 v[6:7], v1 offset1:1
	s_add_i32 s14, s14, -1
	s_cmp_lg_u32 s14, 0
	s_waitcnt lgkmcnt(0)
	v_cmp_nlg_f32_e32 vcc, s2, v6
	v_cndmask_b32_e64 v3, 0, 1, vcc
	v_cmp_lg_f32_e32 vcc, s2, v6
	v_cndmask_b32_e32 v5, v2, v6, vcc
	v_lshlrev_b32_e32 v3, 1, v3
	v_cmp_ngt_f32_e32 vcc, v7, v5
	v_cndmask_b32_e32 v3, 1, v3, vcc
	v_lshlrev_b32_e32 v3, 2, v3
	v_add_u32_e32 v3, s28, v3
	ds_write_b32 v3, v2
	s_cbranch_scc1 .LBB162_14
.LBB162_15:
	v_lshlrev_b32_e32 v1, 1, v0
	s_and_saveexec_b64 s[2:3], s[0:1]
	s_cbranch_execz .LBB162_20
; %bb.16:
	s_abs_i32 s12, s7
	v_cvt_f32_u32_e32 v2, s12
	s_load_dword s14, s[4:5], 0x4c
	s_sub_i32 s15, 0, s12
	s_ashr_i32 s20, s7, 31
	v_rcp_iflag_f32_e32 v2, v2
	v_lshlrev_b32_e32 v5, 1, v0
	s_waitcnt lgkmcnt(0)
	s_and_b32 s21, s14, 0xffff
	v_lshl_add_u32 v6, v0, 3, 0
	v_mul_f32_e32 v2, 0x4f7ffffe, v2
	v_cvt_u32_f32_e32 v2, v2
	s_mov_b64 s[8:9], 0
	s_lshl_b32 s22, s21, 1
	s_lshl_b32 s23, s21, 3
	v_mul_lo_u32 v3, s15, v2
	v_mul_hi_u32 v3, v2, v3
	v_add_u32_e32 v7, v2, v3
	s_mov_b32 s24, 0xff800000
	v_mov_b32_e32 v2, 0xff800000
	v_mov_b32_e32 v8, v0
	s_branch .LBB162_18
.LBB162_17:                             ;   in Loop: Header=BB162_18 Depth=1
	s_or_b64 exec, exec, s[14:15]
	v_add_u32_e32 v8, s21, v8
	v_cmp_le_i32_e32 vcc, s7, v8
	v_add_u32_e32 v5, s22, v5
	s_or_b64 s[8:9], vcc, s[8:9]
	v_add_u32_e32 v6, s23, v6
	s_andn2_b64 exec, exec, s[8:9]
	s_cbranch_execz .LBB162_20
.LBB162_18:                             ; =>This Inner Loop Header: Depth=1
	v_mul_hi_u32 v3, v5, v7
	v_mul_lo_u32 v9, v3, s12
	v_sub_u32_e32 v9, v5, v9
	v_add_u32_e32 v10, 1, v3
	v_cmp_le_u32_e32 vcc, s12, v9
	v_cndmask_b32_e32 v3, v3, v10, vcc
	v_subrev_u32_e32 v10, s12, v9
	v_cndmask_b32_e32 v9, v9, v10, vcc
	v_add_u32_e32 v10, 1, v3
	v_cmp_le_u32_e32 vcc, s12, v9
	v_cndmask_b32_e32 v3, v3, v10, vcc
	v_xor_b32_e32 v3, s20, v3
	v_subrev_u32_e32 v3, s20, v3
	v_lshl_add_u32 v3, v3, 2, s28
	ds_read_b32 v3, v3
	s_waitcnt lgkmcnt(0)
	v_cmp_neq_f32_e32 vcc, s24, v3
	s_and_saveexec_b64 s[14:15], vcc
	s_cbranch_execz .LBB162_17
; %bb.19:                               ;   in Loop: Header=BB162_18 Depth=1
	v_mov_b32_e32 v3, v2
	ds_write_b64 v6, v[2:3]
	s_branch .LBB162_17
.LBB162_20:
	s_or_b64 exec, exec, s[2:3]
	s_cmp_lt_i32 s13, 1
	s_waitcnt lgkmcnt(0)
	s_barrier
	s_cbranch_scc1 .LBB162_27
; %bb.21:
	s_add_u32 s2, s4, 64
	s_addc_u32 s3, s5, 0
	s_mov_b32 s12, 0
	v_mov_b32_e32 v5, 0
	v_mov_b32_e32 v6, 0xff800000
                                        ; implicit-def: $vgpr3
                                        ; implicit-def: $vgpr2
	s_branch .LBB162_23
.LBB162_22:                             ;   in Loop: Header=BB162_23 Depth=1
	s_or_b64 exec, exec, s[8:9]
	v_mov_b32_dpp v10, v8 quad_perm:[1,0,3,2] row_mask:0xf bank_mask:0xf
	v_cmp_lt_f32_e32 vcc, v8, v10
	v_cndmask_b32_e32 v8, v8, v10, vcc
	v_mov_b32_dpp v9, v7 quad_perm:[1,0,3,2] row_mask:0xf bank_mask:0xf
	v_cndmask_b32_e32 v7, v7, v9, vcc
	v_mov_b32_dpp v10, v8 quad_perm:[2,3,0,1] row_mask:0xf bank_mask:0xf
	v_cmp_gt_f32_e32 vcc, v10, v8
	v_cndmask_b32_e32 v8, v8, v10, vcc
	v_mov_b32_dpp v9, v7 quad_perm:[2,3,0,1] row_mask:0xf bank_mask:0xf
	v_cndmask_b32_e32 v7, v7, v9, vcc
	v_mov_b32_dpp v10, v8 row_half_mirror row_mask:0xf bank_mask:0xf
	v_cmp_gt_f32_e32 vcc, v10, v8
	v_cndmask_b32_e32 v8, v8, v10, vcc
	v_mov_b32_dpp v9, v7 row_half_mirror row_mask:0xf bank_mask:0xf
	v_cndmask_b32_e32 v7, v7, v9, vcc
	v_mov_b32_dpp v10, v8 row_mirror row_mask:0xf bank_mask:0xf
	v_cmp_gt_f32_e32 vcc, v10, v8
	v_cndmask_b32_e32 v8, v8, v10, vcc
	v_mov_b32_dpp v9, v7 row_mirror row_mask:0xf bank_mask:0xf
	v_cndmask_b32_e32 v7, v7, v9, vcc
	v_mov_b32_dpp v10, v8 row_bcast:15 row_mask:0xf bank_mask:0xf
	v_cmp_gt_f32_e32 vcc, v10, v8
	v_mov_b32_dpp v9, v7 row_bcast:15 row_mask:0xf bank_mask:0xf
	v_cndmask_b32_e32 v8, v8, v10, vcc
	v_cndmask_b32_e32 v7, v7, v9, vcc
	s_nop 0
	v_mov_b32_dpp v10, v8 row_bcast:31 row_mask:0xf bank_mask:0xf
	v_mov_b32_dpp v9, v7 row_bcast:31 row_mask:0xf bank_mask:0xf
	v_cmp_gt_f32_e32 vcc, v10, v8
	v_cndmask_b32_e32 v7, v7, v9, vcc
	v_readlane_b32 s8, v7, 63
	s_ashr_i32 s9, s8, 31
	s_lshl_b64 s[14:15], s[8:9], 1
	s_add_u32 s14, s16, s14
	s_addc_u32 s15, s17, s15
	global_load_ushort v7, v5, s[14:15]
	v_cndmask_b32_e32 v8, v8, v10, vcc
	v_readlane_b32 s9, v8, 63
	v_mov_b32_e32 v8, s8
	s_lshl_b32 s8, s8, 2
	v_cmp_eq_u32_e32 vcc, s12, v0
	s_add_i32 s8, s8, 0
	v_cndmask_b32_e32 v2, v2, v8, vcc
	v_mov_b32_e32 v8, s8
	ds_write_b32 v8, v6
	s_add_i32 s12, s12, 1
	s_cmp_eq_u32 s12, s13
	s_waitcnt vmcnt(0)
	v_and_b32_e32 v8, 0xff, v7
	v_lshlrev_b32_e32 v7, 16, v7
	v_lshlrev_b32_e32 v8, 16, v8
	v_and_b32_e32 v7, 0xff000000, v7
	v_or_b32_e32 v7, v8, v7
	v_sub_f32_e32 v7, s9, v7
	v_cndmask_b32_e32 v3, v3, v7, vcc
	s_cbranch_scc1 .LBB162_28
.LBB162_23:                             ; =>This Loop Header: Depth=1
                                        ;     Child Loop BB162_25 Depth 2
	v_mov_b32_e32 v7, s12
	v_mov_b32_e32 v8, 0xff800000
	s_and_saveexec_b64 s[8:9], s[0:1]
	s_cbranch_execz .LBB162_22
; %bb.24:                               ;   in Loop: Header=BB162_23 Depth=1
	s_load_dword s20, s[2:3], 0xc
	s_mov_b64 s[14:15], 0
	v_mov_b32_e32 v7, s12
	v_mov_b32_e32 v8, 0xff800000
	;; [unrolled: 1-line block ×3, first 2 shown]
	s_waitcnt lgkmcnt(0)
	s_and_b32 s20, s20, 0xffff
	s_lshl_b32 s21, s20, 1
	s_lshl_b32 s22, s20, 3
	v_mov_b32_e32 v10, v1
	v_mov_b32_e32 v11, v0
.LBB162_25:                             ;   Parent Loop BB162_23 Depth=1
                                        ; =>  This Inner Loop Header: Depth=2
	ds_read_b64 v[12:13], v9
	v_add_u32_e32 v11, s20, v11
	v_cmp_le_i32_e32 vcc, s7, v11
	s_or_b64 s[14:15], vcc, s[14:15]
	v_add_u32_e32 v14, 1, v10
	s_waitcnt lgkmcnt(0)
	v_cmp_gt_f32_e32 vcc, v12, v8
	v_cndmask_b32_e32 v8, v8, v12, vcc
	v_cndmask_b32_e32 v7, v7, v10, vcc
	v_cmp_gt_f32_e32 vcc, v13, v8
	v_add_u32_e32 v9, s22, v9
	v_cndmask_b32_e32 v8, v8, v13, vcc
	v_add_u32_e32 v10, s21, v10
	v_cndmask_b32_e32 v7, v7, v14, vcc
	s_andn2_b64 exec, exec, s[14:15]
	s_cbranch_execnz .LBB162_25
; %bb.26:                               ;   in Loop: Header=BB162_23 Depth=1
	s_or_b64 exec, exec, s[14:15]
	s_branch .LBB162_22
.LBB162_27:
                                        ; implicit-def: $vgpr3
                                        ; implicit-def: $vgpr2
.LBB162_28:
	v_cmp_gt_i32_e32 vcc, s13, v0
	s_and_saveexec_b64 s[0:1], vcc
	s_cbranch_execz .LBB162_31
; %bb.29:
	s_load_dword s2, s[4:5], 0x38
	s_load_dwordx2 s[0:1], s[4:5], 0x20
	s_ashr_i32 s3, s6, 31
	s_load_dword s4, s[4:5], 0x4c
	v_mov_b32_e32 v4, s19
	s_waitcnt lgkmcnt(0)
	v_mul_f32_e32 v1, s2, v3
	s_mul_i32 s1, s6, s1
	s_mul_hi_u32 s2, s6, s0
	s_add_i32 s1, s2, s1
	s_mul_i32 s3, s3, s0
	s_add_i32 s5, s1, s3
	s_mul_i32 s2, s6, s0
	s_and_b32 s3, s4, 0xffff
	s_mov_b64 s[0:1], 0
	v_mov_b32_e32 v3, s5
	v_mov_b32_e32 v5, s11
.LBB162_30:                             ; =>This Inner Loop Header: Depth=1
	v_ashrrev_i32_e32 v7, 31, v0
	v_add_co_u32_e32 v6, vcc, s2, v0
	v_addc_co_u32_e32 v7, vcc, v3, v7, vcc
	v_add_u32_e32 v0, s3, v0
	v_cmp_le_i32_e32 vcc, s13, v0
	v_lshlrev_b64 v[6:7], 2, v[6:7]
	s_or_b64 s[0:1], vcc, s[0:1]
	v_add_co_u32_e32 v8, vcc, s18, v6
	v_addc_co_u32_e32 v9, vcc, v4, v7, vcc
	v_add_co_u32_e32 v6, vcc, s10, v6
	v_addc_co_u32_e32 v7, vcc, v5, v7, vcc
	global_store_dword v[8:9], v1, off
	global_store_dword v[6:7], v2, off
	s_andn2_b64 exec, exec, s[0:1]
	s_cbranch_execnz .LBB162_30
.LBB162_31:
	s_endpgm
	.section	.rodata,"a",@progbits
	.p2align	6, 0x0
	.amdhsa_kernel _ZN5aiter19grouped_topk_kernelIN3c108BFloat16EDv2_fLi2ELb0ELb1ELb0EEEvPT_PKS4_PfPimiiiif
		.amdhsa_group_segment_fixed_size 0
		.amdhsa_private_segment_fixed_size 0
		.amdhsa_kernarg_size 320
		.amdhsa_user_sgpr_count 6
		.amdhsa_user_sgpr_private_segment_buffer 1
		.amdhsa_user_sgpr_dispatch_ptr 0
		.amdhsa_user_sgpr_queue_ptr 0
		.amdhsa_user_sgpr_kernarg_segment_ptr 1
		.amdhsa_user_sgpr_dispatch_id 0
		.amdhsa_user_sgpr_flat_scratch_init 0
		.amdhsa_user_sgpr_kernarg_preload_length 0
		.amdhsa_user_sgpr_kernarg_preload_offset 0
		.amdhsa_user_sgpr_private_segment_size 0
		.amdhsa_uses_dynamic_stack 0
		.amdhsa_system_sgpr_private_segment_wavefront_offset 0
		.amdhsa_system_sgpr_workgroup_id_x 1
		.amdhsa_system_sgpr_workgroup_id_y 0
		.amdhsa_system_sgpr_workgroup_id_z 0
		.amdhsa_system_sgpr_workgroup_info 0
		.amdhsa_system_vgpr_workitem_id 0
		.amdhsa_next_free_vgpr 24
		.amdhsa_next_free_sgpr 30
		.amdhsa_accum_offset 24
		.amdhsa_reserve_vcc 1
		.amdhsa_reserve_flat_scratch 0
		.amdhsa_float_round_mode_32 0
		.amdhsa_float_round_mode_16_64 0
		.amdhsa_float_denorm_mode_32 3
		.amdhsa_float_denorm_mode_16_64 3
		.amdhsa_dx10_clamp 1
		.amdhsa_ieee_mode 1
		.amdhsa_fp16_overflow 0
		.amdhsa_tg_split 0
		.amdhsa_exception_fp_ieee_invalid_op 0
		.amdhsa_exception_fp_denorm_src 0
		.amdhsa_exception_fp_ieee_div_zero 0
		.amdhsa_exception_fp_ieee_overflow 0
		.amdhsa_exception_fp_ieee_underflow 0
		.amdhsa_exception_fp_ieee_inexact 0
		.amdhsa_exception_int_div_zero 0
	.end_amdhsa_kernel
	.section	.text._ZN5aiter19grouped_topk_kernelIN3c108BFloat16EDv2_fLi2ELb0ELb1ELb0EEEvPT_PKS4_PfPimiiiif,"axG",@progbits,_ZN5aiter19grouped_topk_kernelIN3c108BFloat16EDv2_fLi2ELb0ELb1ELb0EEEvPT_PKS4_PfPimiiiif,comdat
.Lfunc_end162:
	.size	_ZN5aiter19grouped_topk_kernelIN3c108BFloat16EDv2_fLi2ELb0ELb1ELb0EEEvPT_PKS4_PfPimiiiif, .Lfunc_end162-_ZN5aiter19grouped_topk_kernelIN3c108BFloat16EDv2_fLi2ELb0ELb1ELb0EEEvPT_PKS4_PfPimiiiif
                                        ; -- End function
	.section	.AMDGPU.csdata,"",@progbits
; Kernel info:
; codeLenInByte = 2040
; NumSgprs: 34
; NumVgprs: 24
; NumAgprs: 0
; TotalNumVgprs: 24
; ScratchSize: 0
; MemoryBound: 0
; FloatMode: 240
; IeeeMode: 1
; LDSByteSize: 0 bytes/workgroup (compile time only)
; SGPRBlocks: 4
; VGPRBlocks: 2
; NumSGPRsForWavesPerEU: 34
; NumVGPRsForWavesPerEU: 24
; AccumOffset: 24
; Occupancy: 8
; WaveLimiterHint : 0
; COMPUTE_PGM_RSRC2:SCRATCH_EN: 0
; COMPUTE_PGM_RSRC2:USER_SGPR: 6
; COMPUTE_PGM_RSRC2:TRAP_HANDLER: 0
; COMPUTE_PGM_RSRC2:TGID_X_EN: 1
; COMPUTE_PGM_RSRC2:TGID_Y_EN: 0
; COMPUTE_PGM_RSRC2:TGID_Z_EN: 0
; COMPUTE_PGM_RSRC2:TIDIG_COMP_CNT: 0
; COMPUTE_PGM_RSRC3_GFX90A:ACCUM_OFFSET: 5
; COMPUTE_PGM_RSRC3_GFX90A:TG_SPLIT: 0
	.section	.text._ZN5aiter19grouped_topk_kernelIfDv2_fLi2ELb0ELb0ELb1EEEvPT_PKS2_PfPimiiiif,"axG",@progbits,_ZN5aiter19grouped_topk_kernelIfDv2_fLi2ELb0ELb0ELb1EEEvPT_PKS2_PfPimiiiif,comdat
	.protected	_ZN5aiter19grouped_topk_kernelIfDv2_fLi2ELb0ELb0ELb1EEEvPT_PKS2_PfPimiiiif ; -- Begin function _ZN5aiter19grouped_topk_kernelIfDv2_fLi2ELb0ELb0ELb1EEEvPT_PKS2_PfPimiiiif
	.globl	_ZN5aiter19grouped_topk_kernelIfDv2_fLi2ELb0ELb0ELb1EEEvPT_PKS2_PfPimiiiif
	.p2align	8
	.type	_ZN5aiter19grouped_topk_kernelIfDv2_fLi2ELb0ELb0ELb1EEEvPT_PKS2_PfPimiiiif,@function
_ZN5aiter19grouped_topk_kernelIfDv2_fLi2ELb0ELb0ELb1EEEvPT_PKS2_PfPimiiiif: ; @_ZN5aiter19grouped_topk_kernelIfDv2_fLi2ELb0ELb0ELb1EEEvPT_PKS2_PfPimiiiif
; %bb.0:
	s_load_dwordx4 s[8:11], s[4:5], 0x28
	s_load_dwordx4 s[12:15], s[4:5], 0x10
	v_mov_b32_e32 v1, 0xff800000
	s_waitcnt lgkmcnt(0)
	v_cmp_gt_i32_e32 vcc, s8, v0
	s_and_saveexec_b64 s[2:3], vcc
	s_cbranch_execz .LBB163_4
; %bb.1:
	s_load_dword s0, s[4:5], 0x4c
	s_load_dwordx2 s[16:17], s[4:5], 0x0
	s_mul_i32 s7, s6, s8
	v_lshl_add_u32 v2, v0, 2, 0
	s_mov_b64 s[18:19], 0
	s_waitcnt lgkmcnt(0)
	s_and_b32 s11, s0, 0xffff
	s_lshl_b32 s20, s11, 2
	v_mov_b32_e32 v1, 0xff800000
	v_mov_b32_e32 v3, s17
	;; [unrolled: 1-line block ×3, first 2 shown]
.LBB163_2:                              ; =>This Inner Loop Header: Depth=1
	v_add_u32_e32 v6, s7, v4
	v_ashrrev_i32_e32 v7, 31, v6
	v_lshlrev_b64 v[6:7], 2, v[6:7]
	v_add_co_u32_e64 v6, s[0:1], s16, v6
	v_addc_co_u32_e64 v7, s[0:1], v3, v7, s[0:1]
	global_load_dword v5, v[6:7], off
	v_add_u32_e32 v4, s11, v4
	v_cmp_le_i32_e64 s[0:1], s8, v4
	s_or_b64 s[18:19], s[0:1], s[18:19]
	s_waitcnt vmcnt(0)
	v_cmp_gt_f32_e64 s[0:1], v5, v1
	ds_write_b32 v2, v5
	v_cndmask_b32_e64 v1, v1, v5, s[0:1]
	v_add_u32_e32 v2, s20, v2
	s_andn2_b64 exec, exec, s[18:19]
	s_cbranch_execnz .LBB163_2
; %bb.3:
	s_or_b64 exec, exec, s[18:19]
.LBB163_4:
	s_or_b64 exec, exec, s[2:3]
	v_mov_b32_dpp v2, v1 quad_perm:[1,0,3,2] row_mask:0xf bank_mask:0xf
	v_cmp_lt_f32_e64 s[0:1], v1, v2
	v_cndmask_b32_e64 v1, v1, v2, s[0:1]
	v_bfrev_b32_e32 v3, 0.5
	s_waitcnt lgkmcnt(0)
	v_mov_b32_dpp v2, v1 quad_perm:[2,3,0,1] row_mask:0xf bank_mask:0xf
	v_cmp_lt_f32_e64 s[0:1], v1, v2
	v_cndmask_b32_e64 v1, v1, v2, s[0:1]
	s_barrier
	s_nop 0
	v_mov_b32_dpp v2, v1 row_half_mirror row_mask:0xf bank_mask:0xf
	v_cmp_lt_f32_e64 s[0:1], v1, v2
	v_cndmask_b32_e64 v1, v1, v2, s[0:1]
	s_nop 1
	v_mov_b32_dpp v2, v1 row_mirror row_mask:0xf bank_mask:0xf
	v_cmp_lt_f32_e64 s[0:1], v1, v2
	v_cndmask_b32_e64 v1, v1, v2, s[0:1]
	s_nop 1
	v_mov_b32_dpp v2, v1 row_bcast:15 row_mask:0xf bank_mask:0xf
	v_cmp_lt_f32_e64 s[0:1], v1, v2
	v_cndmask_b32_e64 v1, v1, v2, s[0:1]
	s_nop 1
	v_mov_b32_dpp v2, v1 row_bcast:31 row_mask:0xf bank_mask:0xf
	v_cmp_lt_f32_e64 s[0:1], v1, v2
	v_cndmask_b32_e64 v2, v1, v2, s[0:1]
	v_mbcnt_lo_u32_b32 v1, -1, 0
	v_mbcnt_hi_u32_b32 v1, -1, v1
	v_lshl_or_b32 v1, v1, 2, v3
	ds_bpermute_b32 v3, v1, v2
	v_mov_b32_e32 v2, 0
	s_and_saveexec_b64 s[2:3], vcc
	s_cbranch_execz .LBB163_8
; %bb.5:
	s_load_dword s0, s[4:5], 0x4c
	v_lshl_add_u32 v4, v0, 2, 0
	s_mov_b64 s[16:17], 0
	v_mov_b32_e32 v2, 0
	s_mov_b32 s7, 0x3fb8aa3b
	s_waitcnt lgkmcnt(0)
	s_and_b32 s11, s0, 0xffff
	s_lshl_b32 s18, s11, 2
	s_mov_b32 s19, 0xc2ce8ed0
	s_mov_b32 s20, 0x42b17218
	v_mov_b32_e32 v5, 0x7f800000
	v_mov_b32_e32 v6, v0
.LBB163_6:                              ; =>This Inner Loop Header: Depth=1
	ds_read_b32 v7, v4
	v_add_u32_e32 v6, s11, v6
	s_waitcnt lgkmcnt(0)
	v_sub_f32_e32 v7, v7, v3
	v_mul_f32_e32 v8, 0x3fb8aa3b, v7
	v_fma_f32 v9, v7, s7, -v8
	v_rndne_f32_e32 v10, v8
	v_fmac_f32_e32 v9, 0x32a5705f, v7
	v_sub_f32_e32 v8, v8, v10
	v_add_f32_e32 v8, v8, v9
	v_cvt_i32_f32_e32 v10, v10
	v_exp_f32_e32 v8, v8
	v_cmp_ngt_f32_e64 s[0:1], s19, v7
	v_ldexp_f32 v8, v8, v10
	v_cndmask_b32_e64 v8, 0, v8, s[0:1]
	v_cmp_nlt_f32_e64 s[0:1], s20, v7
	v_cndmask_b32_e64 v7, v5, v8, s[0:1]
	v_cmp_le_i32_e64 s[0:1], s8, v6
	ds_write_b32 v4, v7
	v_add_f32_e32 v2, v2, v7
	s_or_b64 s[16:17], s[0:1], s[16:17]
	v_add_u32_e32 v4, s18, v4
	s_andn2_b64 exec, exec, s[16:17]
	s_cbranch_execnz .LBB163_6
; %bb.7:
	s_or_b64 exec, exec, s[16:17]
.LBB163_8:
	s_or_b64 exec, exec, s[2:3]
	s_waitcnt lgkmcnt(0)
	v_mov_b32_dpp v3, v2 quad_perm:[1,0,3,2] row_mask:0xf bank_mask:0xf
	v_add_f32_e32 v2, v2, v3
	s_barrier
	s_nop 0
	v_mov_b32_dpp v3, v2 quad_perm:[2,3,0,1] row_mask:0xf bank_mask:0xf
	v_add_f32_e32 v2, v2, v3
	s_nop 1
	v_mov_b32_dpp v3, v2 row_half_mirror row_mask:0xf bank_mask:0xf
	v_add_f32_e32 v2, v2, v3
	s_nop 1
	v_mov_b32_dpp v3, v2 row_mirror row_mask:0xf bank_mask:0xf
	v_add_f32_e32 v2, v2, v3
	s_nop 1
	v_mov_b32_dpp v3, v2 row_bcast:15 row_mask:0xf bank_mask:0xf
	v_add_f32_e32 v2, v2, v3
	s_nop 1
	v_mov_b32_dpp v3, v2 row_bcast:31 row_mask:0xf bank_mask:0xf
	v_add_f32_e32 v2, v2, v3
	ds_bpermute_b32 v1, v1, v2
	s_and_saveexec_b64 s[0:1], vcc
	s_cbranch_execz .LBB163_11
; %bb.9:
	s_load_dword s7, s[4:5], 0x4c
	v_lshl_add_u32 v2, v0, 2, 0
	s_mov_b64 s[2:3], 0
	v_mov_b32_e32 v3, v0
	s_waitcnt lgkmcnt(0)
	s_and_b32 s7, s7, 0xffff
	s_lshl_b32 s11, s7, 2
.LBB163_10:                             ; =>This Inner Loop Header: Depth=1
	ds_read_b32 v4, v2
	v_add_u32_e32 v3, s7, v3
	v_cmp_le_i32_e32 vcc, s8, v3
	s_or_b64 s[2:3], vcc, s[2:3]
	s_waitcnt lgkmcnt(0)
	v_div_scale_f32 v5, s[16:17], v1, v1, v4
	v_rcp_f32_e32 v6, v5
	v_div_scale_f32 v7, vcc, v4, v1, v4
	v_fma_f32 v8, -v5, v6, 1.0
	v_fmac_f32_e32 v6, v8, v6
	v_mul_f32_e32 v8, v7, v6
	v_fma_f32 v9, -v5, v8, v7
	v_fmac_f32_e32 v8, v9, v6
	v_fma_f32 v5, -v5, v8, v7
	v_div_fmas_f32 v5, v5, v6, v8
	v_div_fixup_f32 v4, v5, v1, v4
	ds_write_b32 v2, v4
	v_add_u32_e32 v2, s11, v2
	s_andn2_b64 exec, exec, s[2:3]
	s_cbranch_execnz .LBB163_10
.LBB163_11:
	s_or_b64 exec, exec, s[0:1]
	s_lshr_b32 s0, s8, 31
	s_add_i32 s0, s8, s0
	s_ashr_i32 s7, s0, 1
	s_lshl_b32 s0, s8, 2
	s_add_i32 s20, s0, 0
	v_cmp_gt_u32_e32 vcc, 2, v0
	s_waitcnt lgkmcnt(0)
	s_barrier
	s_and_saveexec_b64 s[2:3], vcc
	s_cbranch_execz .LBB163_18
; %bb.12:
	s_load_dword s0, s[4:5], 0x4c
	v_mul_lo_u32 v1, v0, s7
	v_lshl_add_u32 v1, v1, 2, 0
	s_mov_b64 s[16:17], 0
	s_waitcnt lgkmcnt(0)
	s_and_b32 s11, s0, 0xffff
	s_cmp_gt_i32 s8, 1
	s_cselect_b64 s[0:1], -1, 0
	s_mul_i32 s8, s7, s11
	v_cndmask_b32_e64 v2, 0, 1, s[0:1]
	s_lshl_b32 s8, s8, 2
	v_cmp_ne_u32_e64 s[0:1], 1, v2
	v_mov_b32_e32 v2, v0
	s_branch .LBB163_14
.LBB163_13:                             ;   in Loop: Header=BB163_14 Depth=1
	v_lshl_add_u32 v4, v2, 2, s20
	v_add_u32_e32 v2, s11, v2
	v_cmp_lt_u32_e32 vcc, 1, v2
	s_or_b64 s[16:17], vcc, s[16:17]
	v_add_u32_e32 v1, s8, v1
	ds_write_b32 v4, v3
	s_andn2_b64 exec, exec, s[16:17]
	s_cbranch_execz .LBB163_18
.LBB163_14:                             ; =>This Loop Header: Depth=1
                                        ;     Child Loop BB163_16 Depth 2
	s_and_b64 vcc, exec, s[0:1]
	v_mov_b32_e32 v3, 0xff800000
	s_cbranch_vccnz .LBB163_13
; %bb.15:                               ;   in Loop: Header=BB163_14 Depth=1
	v_mul_lo_u32 v4, v2, s7
	v_add_u32_e32 v5, s7, v4
	s_mov_b64 s[18:19], 0
	v_mov_b32_e32 v3, 0xff800000
	v_mov_b32_e32 v6, v1
.LBB163_16:                             ;   Parent Loop BB163_14 Depth=1
                                        ; =>  This Inner Loop Header: Depth=2
	ds_read_b32 v7, v6
	v_add_u32_e32 v4, 1, v4
	v_cmp_ge_i32_e32 vcc, v4, v5
	s_or_b64 s[18:19], vcc, s[18:19]
	v_add_u32_e32 v6, 4, v6
	s_waitcnt lgkmcnt(0)
	v_cmp_gt_f32_e32 vcc, v7, v3
	v_cndmask_b32_e32 v3, v3, v7, vcc
	s_andn2_b64 exec, exec, s[18:19]
	s_cbranch_execnz .LBB163_16
; %bb.17:                               ;   in Loop: Header=BB163_14 Depth=1
	s_or_b64 exec, exec, s[18:19]
	s_branch .LBB163_13
.LBB163_18:
	s_or_b64 exec, exec, s[2:3]
	s_cmp_lt_i32 s10, 1
	s_waitcnt lgkmcnt(0)
	s_barrier
	s_cbranch_scc1 .LBB163_21
; %bb.19:
	v_mov_b32_e32 v1, s20
	s_mov_b32 s0, 0xff800000
	v_mov_b32_e32 v2, 0xff800000
.LBB163_20:                             ; =>This Inner Loop Header: Depth=1
	ds_read2_b32 v[4:5], v1 offset1:1
	s_add_i32 s10, s10, -1
	s_cmp_lg_u32 s10, 0
	s_waitcnt lgkmcnt(0)
	v_cmp_nlg_f32_e32 vcc, s0, v4
	v_cndmask_b32_e64 v3, 0, 1, vcc
	v_cmp_lg_f32_e32 vcc, s0, v4
	v_cndmask_b32_e32 v4, v2, v4, vcc
	v_lshlrev_b32_e32 v3, 1, v3
	v_cmp_ngt_f32_e32 vcc, v5, v4
	v_cndmask_b32_e32 v3, 1, v3, vcc
	v_lshlrev_b32_e32 v3, 2, v3
	v_add_u32_e32 v3, s20, v3
	ds_write_b32 v3, v2
	s_cbranch_scc1 .LBB163_20
.LBB163_21:
	v_cmp_gt_i32_e32 vcc, s7, v0
	v_lshlrev_b32_e32 v1, 1, v0
	v_lshl_add_u32 v4, v0, 3, 0
	s_and_saveexec_b64 s[2:3], vcc
	s_cbranch_execz .LBB163_26
; %bb.22:
	s_abs_i32 s8, s7
	v_cvt_f32_u32_e32 v2, s8
	s_load_dword s0, s[4:5], 0x4c
	s_sub_i32 s1, 0, s8
	s_ashr_i32 s18, s7, 31
	v_rcp_iflag_f32_e32 v2, v2
	v_lshlrev_b32_e32 v5, 1, v0
	s_waitcnt lgkmcnt(0)
	s_and_b32 s19, s0, 0xffff
	v_lshl_add_u32 v6, v0, 3, 0
	v_mul_f32_e32 v2, 0x4f7ffffe, v2
	v_cvt_u32_f32_e32 v2, v2
	s_mov_b64 s[10:11], 0
	s_lshl_b32 s21, s19, 1
	s_lshl_b32 s22, s19, 3
	v_mul_lo_u32 v3, s1, v2
	v_mul_hi_u32 v3, v2, v3
	v_add_u32_e32 v7, v2, v3
	s_mov_b32 s23, 0xff800000
	v_mov_b32_e32 v2, 0xff800000
	v_mov_b32_e32 v8, v0
	s_branch .LBB163_24
.LBB163_23:                             ;   in Loop: Header=BB163_24 Depth=1
	s_or_b64 exec, exec, s[16:17]
	v_add_u32_e32 v8, s19, v8
	v_cmp_le_i32_e64 s[0:1], s7, v8
	v_add_u32_e32 v5, s21, v5
	s_or_b64 s[10:11], s[0:1], s[10:11]
	v_add_u32_e32 v6, s22, v6
	s_andn2_b64 exec, exec, s[10:11]
	s_cbranch_execz .LBB163_26
.LBB163_24:                             ; =>This Inner Loop Header: Depth=1
	v_mul_hi_u32 v3, v5, v7
	v_mul_lo_u32 v9, v3, s8
	v_sub_u32_e32 v9, v5, v9
	v_add_u32_e32 v10, 1, v3
	v_cmp_le_u32_e64 s[0:1], s8, v9
	v_cndmask_b32_e64 v3, v3, v10, s[0:1]
	v_subrev_u32_e32 v10, s8, v9
	v_cndmask_b32_e64 v9, v9, v10, s[0:1]
	v_add_u32_e32 v10, 1, v3
	v_cmp_le_u32_e64 s[0:1], s8, v9
	v_cndmask_b32_e64 v3, v3, v10, s[0:1]
	v_xor_b32_e32 v3, s18, v3
	v_subrev_u32_e32 v3, s18, v3
	v_lshl_add_u32 v3, v3, 2, s20
	ds_read_b32 v3, v3
	s_waitcnt lgkmcnt(0)
	v_cmp_neq_f32_e64 s[0:1], s23, v3
	s_and_saveexec_b64 s[16:17], s[0:1]
	s_cbranch_execz .LBB163_23
; %bb.25:                               ;   in Loop: Header=BB163_24 Depth=1
	v_mov_b32_e32 v3, v2
	ds_write_b64 v6, v[2:3]
	s_branch .LBB163_23
.LBB163_26:
	s_or_b64 exec, exec, s[2:3]
	s_cmp_lt_i32 s9, 1
	s_waitcnt lgkmcnt(0)
	s_barrier
	s_cbranch_scc1 .LBB163_33
; %bb.27:
	s_add_u32 s2, s4, 64
	s_addc_u32 s3, s5, 0
	s_mov_b32 s8, 0
	v_mov_b32_e32 v5, 0xff800000
                                        ; implicit-def: $vgpr3
                                        ; implicit-def: $vgpr2
	s_branch .LBB163_29
.LBB163_28:                             ;   in Loop: Header=BB163_29 Depth=1
	s_or_b64 exec, exec, s[10:11]
	v_mov_b32_dpp v9, v7 quad_perm:[1,0,3,2] row_mask:0xf bank_mask:0xf
	v_cmp_lt_f32_e64 s[0:1], v7, v9
	v_cndmask_b32_e64 v7, v7, v9, s[0:1]
	v_mov_b32_dpp v8, v6 quad_perm:[1,0,3,2] row_mask:0xf bank_mask:0xf
	v_cndmask_b32_e64 v6, v6, v8, s[0:1]
	v_mov_b32_dpp v9, v7 quad_perm:[2,3,0,1] row_mask:0xf bank_mask:0xf
	v_cmp_gt_f32_e64 s[0:1], v9, v7
	v_cndmask_b32_e64 v7, v7, v9, s[0:1]
	v_mov_b32_dpp v8, v6 quad_perm:[2,3,0,1] row_mask:0xf bank_mask:0xf
	v_cndmask_b32_e64 v6, v6, v8, s[0:1]
	v_mov_b32_dpp v9, v7 row_half_mirror row_mask:0xf bank_mask:0xf
	v_cmp_gt_f32_e64 s[0:1], v9, v7
	v_cndmask_b32_e64 v7, v7, v9, s[0:1]
	v_mov_b32_dpp v8, v6 row_half_mirror row_mask:0xf bank_mask:0xf
	v_cndmask_b32_e64 v6, v6, v8, s[0:1]
	v_mov_b32_dpp v9, v7 row_mirror row_mask:0xf bank_mask:0xf
	v_cmp_gt_f32_e64 s[0:1], v9, v7
	v_cndmask_b32_e64 v7, v7, v9, s[0:1]
	v_mov_b32_dpp v8, v6 row_mirror row_mask:0xf bank_mask:0xf
	v_cndmask_b32_e64 v6, v6, v8, s[0:1]
	v_mov_b32_dpp v9, v7 row_bcast:15 row_mask:0xf bank_mask:0xf
	v_cmp_gt_f32_e64 s[0:1], v9, v7
	v_mov_b32_dpp v8, v6 row_bcast:15 row_mask:0xf bank_mask:0xf
	v_cndmask_b32_e64 v7, v7, v9, s[0:1]
	v_cndmask_b32_e64 v6, v6, v8, s[0:1]
	s_nop 0
	v_mov_b32_dpp v9, v7 row_bcast:31 row_mask:0xf bank_mask:0xf
	v_mov_b32_dpp v8, v6 row_bcast:31 row_mask:0xf bank_mask:0xf
	v_cmp_gt_f32_e64 s[0:1], v9, v7
	v_cndmask_b32_e64 v6, v6, v8, s[0:1]
	v_cndmask_b32_e64 v7, v7, v9, s[0:1]
	v_readlane_b32 s0, v6, 63
	s_lshl_b32 s1, s0, 2
	s_add_i32 s1, s1, 0
	v_mov_b32_e32 v6, s1
	v_readlane_b32 s10, v7, 63
	ds_write_b32 v6, v5
	v_mov_b32_e32 v6, s0
	v_cmp_eq_u32_e64 s[0:1], s8, v0
	v_cndmask_b32_e64 v2, v2, v6, s[0:1]
	v_mov_b32_e32 v6, s10
	s_add_i32 s8, s8, 1
	s_cmp_eq_u32 s8, s9
	v_cndmask_b32_e64 v3, v3, v6, s[0:1]
	s_cbranch_scc1 .LBB163_34
.LBB163_29:                             ; =>This Loop Header: Depth=1
                                        ;     Child Loop BB163_31 Depth 2
	v_mov_b32_e32 v6, s8
	v_mov_b32_e32 v7, 0xff800000
	s_and_saveexec_b64 s[10:11], vcc
	s_cbranch_execz .LBB163_28
; %bb.30:                               ;   in Loop: Header=BB163_29 Depth=1
	s_load_dword s0, s[2:3], 0xc
	s_mov_b64 s[16:17], 0
	v_mov_b32_e32 v6, s8
	v_mov_b32_e32 v7, 0xff800000
	;; [unrolled: 1-line block ×3, first 2 shown]
	s_waitcnt lgkmcnt(0)
	s_and_b32 s18, s0, 0xffff
	s_lshl_b32 s19, s18, 1
	s_lshl_b32 s20, s18, 3
	v_mov_b32_e32 v9, v1
	v_mov_b32_e32 v10, v0
.LBB163_31:                             ;   Parent Loop BB163_29 Depth=1
                                        ; =>  This Inner Loop Header: Depth=2
	ds_read_b64 v[12:13], v8
	v_add_u32_e32 v10, s18, v10
	v_cmp_le_i32_e64 s[0:1], s7, v10
	s_or_b64 s[16:17], s[0:1], s[16:17]
	v_add_u32_e32 v11, 1, v9
	s_waitcnt lgkmcnt(0)
	v_cmp_gt_f32_e64 s[0:1], v12, v7
	v_cndmask_b32_e64 v7, v7, v12, s[0:1]
	v_cndmask_b32_e64 v6, v6, v9, s[0:1]
	v_cmp_gt_f32_e64 s[0:1], v13, v7
	v_add_u32_e32 v8, s20, v8
	v_cndmask_b32_e64 v7, v7, v13, s[0:1]
	v_add_u32_e32 v9, s19, v9
	v_cndmask_b32_e64 v6, v6, v11, s[0:1]
	s_andn2_b64 exec, exec, s[16:17]
	s_cbranch_execnz .LBB163_31
; %bb.32:                               ;   in Loop: Header=BB163_29 Depth=1
	s_or_b64 exec, exec, s[16:17]
	s_branch .LBB163_28
.LBB163_33:
                                        ; implicit-def: $vgpr3
                                        ; implicit-def: $vgpr2
.LBB163_34:
	v_cmp_gt_i32_e32 vcc, s9, v0
	s_and_saveexec_b64 s[0:1], vcc
	s_cbranch_execz .LBB163_37
; %bb.35:
	s_load_dword s2, s[4:5], 0x38
	s_load_dwordx2 s[0:1], s[4:5], 0x20
	s_ashr_i32 s3, s6, 31
	s_load_dword s4, s[4:5], 0x4c
	v_mov_b32_e32 v4, s13
	s_waitcnt lgkmcnt(0)
	v_mul_f32_e32 v1, s2, v3
	s_mul_i32 s1, s6, s1
	s_mul_hi_u32 s2, s6, s0
	s_add_i32 s1, s2, s1
	s_mul_i32 s3, s3, s0
	s_add_i32 s5, s1, s3
	s_mul_i32 s2, s6, s0
	s_and_b32 s3, s4, 0xffff
	s_mov_b64 s[0:1], 0
	v_mov_b32_e32 v3, s5
	v_mov_b32_e32 v5, s15
.LBB163_36:                             ; =>This Inner Loop Header: Depth=1
	v_ashrrev_i32_e32 v7, 31, v0
	v_add_co_u32_e32 v6, vcc, s2, v0
	v_addc_co_u32_e32 v7, vcc, v3, v7, vcc
	v_add_u32_e32 v0, s3, v0
	v_cmp_le_i32_e32 vcc, s9, v0
	v_lshlrev_b64 v[6:7], 2, v[6:7]
	s_or_b64 s[0:1], vcc, s[0:1]
	v_add_co_u32_e32 v8, vcc, s12, v6
	v_addc_co_u32_e32 v9, vcc, v4, v7, vcc
	v_add_co_u32_e32 v6, vcc, s14, v6
	v_addc_co_u32_e32 v7, vcc, v5, v7, vcc
	global_store_dword v[8:9], v1, off
	global_store_dword v[6:7], v2, off
	s_andn2_b64 exec, exec, s[0:1]
	s_cbranch_execnz .LBB163_36
.LBB163_37:
	s_endpgm
	.section	.rodata,"a",@progbits
	.p2align	6, 0x0
	.amdhsa_kernel _ZN5aiter19grouped_topk_kernelIfDv2_fLi2ELb0ELb0ELb1EEEvPT_PKS2_PfPimiiiif
		.amdhsa_group_segment_fixed_size 0
		.amdhsa_private_segment_fixed_size 0
		.amdhsa_kernarg_size 320
		.amdhsa_user_sgpr_count 6
		.amdhsa_user_sgpr_private_segment_buffer 1
		.amdhsa_user_sgpr_dispatch_ptr 0
		.amdhsa_user_sgpr_queue_ptr 0
		.amdhsa_user_sgpr_kernarg_segment_ptr 1
		.amdhsa_user_sgpr_dispatch_id 0
		.amdhsa_user_sgpr_flat_scratch_init 0
		.amdhsa_user_sgpr_kernarg_preload_length 0
		.amdhsa_user_sgpr_kernarg_preload_offset 0
		.amdhsa_user_sgpr_private_segment_size 0
		.amdhsa_uses_dynamic_stack 0
		.amdhsa_system_sgpr_private_segment_wavefront_offset 0
		.amdhsa_system_sgpr_workgroup_id_x 1
		.amdhsa_system_sgpr_workgroup_id_y 0
		.amdhsa_system_sgpr_workgroup_id_z 0
		.amdhsa_system_sgpr_workgroup_info 0
		.amdhsa_system_vgpr_workitem_id 0
		.amdhsa_next_free_vgpr 14
		.amdhsa_next_free_sgpr 24
		.amdhsa_accum_offset 16
		.amdhsa_reserve_vcc 1
		.amdhsa_reserve_flat_scratch 0
		.amdhsa_float_round_mode_32 0
		.amdhsa_float_round_mode_16_64 0
		.amdhsa_float_denorm_mode_32 3
		.amdhsa_float_denorm_mode_16_64 3
		.amdhsa_dx10_clamp 1
		.amdhsa_ieee_mode 1
		.amdhsa_fp16_overflow 0
		.amdhsa_tg_split 0
		.amdhsa_exception_fp_ieee_invalid_op 0
		.amdhsa_exception_fp_denorm_src 0
		.amdhsa_exception_fp_ieee_div_zero 0
		.amdhsa_exception_fp_ieee_overflow 0
		.amdhsa_exception_fp_ieee_underflow 0
		.amdhsa_exception_fp_ieee_inexact 0
		.amdhsa_exception_int_div_zero 0
	.end_amdhsa_kernel
	.section	.text._ZN5aiter19grouped_topk_kernelIfDv2_fLi2ELb0ELb0ELb1EEEvPT_PKS2_PfPimiiiif,"axG",@progbits,_ZN5aiter19grouped_topk_kernelIfDv2_fLi2ELb0ELb0ELb1EEEvPT_PKS2_PfPimiiiif,comdat
.Lfunc_end163:
	.size	_ZN5aiter19grouped_topk_kernelIfDv2_fLi2ELb0ELb0ELb1EEEvPT_PKS2_PfPimiiiif, .Lfunc_end163-_ZN5aiter19grouped_topk_kernelIfDv2_fLi2ELb0ELb0ELb1EEEvPT_PKS2_PfPimiiiif
                                        ; -- End function
	.section	.AMDGPU.csdata,"",@progbits
; Kernel info:
; codeLenInByte = 2328
; NumSgprs: 28
; NumVgprs: 14
; NumAgprs: 0
; TotalNumVgprs: 14
; ScratchSize: 0
; MemoryBound: 0
; FloatMode: 240
; IeeeMode: 1
; LDSByteSize: 0 bytes/workgroup (compile time only)
; SGPRBlocks: 3
; VGPRBlocks: 1
; NumSGPRsForWavesPerEU: 28
; NumVGPRsForWavesPerEU: 14
; AccumOffset: 16
; Occupancy: 8
; WaveLimiterHint : 0
; COMPUTE_PGM_RSRC2:SCRATCH_EN: 0
; COMPUTE_PGM_RSRC2:USER_SGPR: 6
; COMPUTE_PGM_RSRC2:TRAP_HANDLER: 0
; COMPUTE_PGM_RSRC2:TGID_X_EN: 1
; COMPUTE_PGM_RSRC2:TGID_Y_EN: 0
; COMPUTE_PGM_RSRC2:TGID_Z_EN: 0
; COMPUTE_PGM_RSRC2:TIDIG_COMP_CNT: 0
; COMPUTE_PGM_RSRC3_GFX90A:ACCUM_OFFSET: 3
; COMPUTE_PGM_RSRC3_GFX90A:TG_SPLIT: 0
	.section	.text._ZN5aiter19grouped_topk_kernelIN3c104HalfEDv2_fLi2ELb0ELb0ELb1EEEvPT_PKS4_PfPimiiiif,"axG",@progbits,_ZN5aiter19grouped_topk_kernelIN3c104HalfEDv2_fLi2ELb0ELb0ELb1EEEvPT_PKS4_PfPimiiiif,comdat
	.protected	_ZN5aiter19grouped_topk_kernelIN3c104HalfEDv2_fLi2ELb0ELb0ELb1EEEvPT_PKS4_PfPimiiiif ; -- Begin function _ZN5aiter19grouped_topk_kernelIN3c104HalfEDv2_fLi2ELb0ELb0ELb1EEEvPT_PKS4_PfPimiiiif
	.globl	_ZN5aiter19grouped_topk_kernelIN3c104HalfEDv2_fLi2ELb0ELb0ELb1EEEvPT_PKS4_PfPimiiiif
	.p2align	8
	.type	_ZN5aiter19grouped_topk_kernelIN3c104HalfEDv2_fLi2ELb0ELb0ELb1EEEvPT_PKS4_PfPimiiiif,@function
_ZN5aiter19grouped_topk_kernelIN3c104HalfEDv2_fLi2ELb0ELb0ELb1EEEvPT_PKS4_PfPimiiiif: ; @_ZN5aiter19grouped_topk_kernelIN3c104HalfEDv2_fLi2ELb0ELb0ELb1EEEvPT_PKS4_PfPimiiiif
; %bb.0:
	s_load_dwordx4 s[8:11], s[4:5], 0x28
	s_load_dwordx4 s[12:15], s[4:5], 0x10
	v_mov_b32_e32 v1, 0xff800000
	s_waitcnt lgkmcnt(0)
	v_cmp_gt_i32_e32 vcc, s8, v0
	s_and_saveexec_b64 s[2:3], vcc
	s_cbranch_execz .LBB164_4
; %bb.1:
	s_load_dword s0, s[4:5], 0x4c
	s_load_dwordx2 s[16:17], s[4:5], 0x0
	s_mul_i32 s7, s6, s8
	v_lshl_add_u32 v2, v0, 2, 0
	s_mov_b64 s[18:19], 0
	s_waitcnt lgkmcnt(0)
	s_and_b32 s11, s0, 0xffff
	s_lshl_b32 s20, s11, 2
	v_mov_b32_e32 v1, 0xff800000
	v_mov_b32_e32 v3, s17
	;; [unrolled: 1-line block ×3, first 2 shown]
.LBB164_2:                              ; =>This Inner Loop Header: Depth=1
	v_add_u32_e32 v6, s7, v4
	v_ashrrev_i32_e32 v7, 31, v6
	v_lshlrev_b64 v[6:7], 1, v[6:7]
	v_add_co_u32_e64 v6, s[0:1], s16, v6
	v_addc_co_u32_e64 v7, s[0:1], v3, v7, s[0:1]
	global_load_ushort v5, v[6:7], off
	v_add_u32_e32 v4, s11, v4
	v_cmp_le_i32_e64 s[0:1], s8, v4
	s_or_b64 s[18:19], s[0:1], s[18:19]
	s_waitcnt vmcnt(0)
	v_cvt_f32_f16_e32 v5, v5
	v_cmp_lt_f32_e64 s[0:1], v1, v5
	ds_write_b32 v2, v5
	v_cndmask_b32_e64 v1, v1, v5, s[0:1]
	v_add_u32_e32 v2, s20, v2
	s_andn2_b64 exec, exec, s[18:19]
	s_cbranch_execnz .LBB164_2
; %bb.3:
	s_or_b64 exec, exec, s[18:19]
.LBB164_4:
	s_or_b64 exec, exec, s[2:3]
	v_mov_b32_dpp v2, v1 quad_perm:[1,0,3,2] row_mask:0xf bank_mask:0xf
	v_cmp_lt_f32_e64 s[0:1], v1, v2
	v_cndmask_b32_e64 v1, v1, v2, s[0:1]
	v_bfrev_b32_e32 v3, 0.5
	s_waitcnt lgkmcnt(0)
	v_mov_b32_dpp v2, v1 quad_perm:[2,3,0,1] row_mask:0xf bank_mask:0xf
	v_cmp_lt_f32_e64 s[0:1], v1, v2
	v_cndmask_b32_e64 v1, v1, v2, s[0:1]
	s_barrier
	s_nop 0
	v_mov_b32_dpp v2, v1 row_half_mirror row_mask:0xf bank_mask:0xf
	v_cmp_lt_f32_e64 s[0:1], v1, v2
	v_cndmask_b32_e64 v1, v1, v2, s[0:1]
	s_nop 1
	v_mov_b32_dpp v2, v1 row_mirror row_mask:0xf bank_mask:0xf
	v_cmp_lt_f32_e64 s[0:1], v1, v2
	v_cndmask_b32_e64 v1, v1, v2, s[0:1]
	s_nop 1
	v_mov_b32_dpp v2, v1 row_bcast:15 row_mask:0xf bank_mask:0xf
	v_cmp_lt_f32_e64 s[0:1], v1, v2
	v_cndmask_b32_e64 v1, v1, v2, s[0:1]
	s_nop 1
	v_mov_b32_dpp v2, v1 row_bcast:31 row_mask:0xf bank_mask:0xf
	v_cmp_lt_f32_e64 s[0:1], v1, v2
	v_cndmask_b32_e64 v2, v1, v2, s[0:1]
	v_mbcnt_lo_u32_b32 v1, -1, 0
	v_mbcnt_hi_u32_b32 v1, -1, v1
	v_lshl_or_b32 v1, v1, 2, v3
	ds_bpermute_b32 v3, v1, v2
	v_mov_b32_e32 v2, 0
	s_and_saveexec_b64 s[2:3], vcc
	s_cbranch_execz .LBB164_8
; %bb.5:
	s_load_dword s0, s[4:5], 0x4c
	v_lshl_add_u32 v4, v0, 2, 0
	s_mov_b64 s[16:17], 0
	v_mov_b32_e32 v2, 0
	s_mov_b32 s7, 0x3fb8aa3b
	s_waitcnt lgkmcnt(0)
	s_and_b32 s11, s0, 0xffff
	s_lshl_b32 s18, s11, 2
	s_mov_b32 s19, 0xc2ce8ed0
	s_mov_b32 s20, 0x42b17218
	v_mov_b32_e32 v5, 0x7f800000
	v_mov_b32_e32 v6, v0
.LBB164_6:                              ; =>This Inner Loop Header: Depth=1
	ds_read_b32 v7, v4
	v_add_u32_e32 v6, s11, v6
	s_waitcnt lgkmcnt(0)
	v_sub_f32_e32 v7, v7, v3
	v_mul_f32_e32 v8, 0x3fb8aa3b, v7
	v_fma_f32 v9, v7, s7, -v8
	v_rndne_f32_e32 v10, v8
	v_fmac_f32_e32 v9, 0x32a5705f, v7
	v_sub_f32_e32 v8, v8, v10
	v_add_f32_e32 v8, v8, v9
	v_cvt_i32_f32_e32 v10, v10
	v_exp_f32_e32 v8, v8
	v_cmp_ngt_f32_e64 s[0:1], s19, v7
	v_ldexp_f32 v8, v8, v10
	v_cndmask_b32_e64 v8, 0, v8, s[0:1]
	v_cmp_nlt_f32_e64 s[0:1], s20, v7
	v_cndmask_b32_e64 v7, v5, v8, s[0:1]
	v_cmp_le_i32_e64 s[0:1], s8, v6
	ds_write_b32 v4, v7
	v_add_f32_e32 v2, v2, v7
	s_or_b64 s[16:17], s[0:1], s[16:17]
	v_add_u32_e32 v4, s18, v4
	s_andn2_b64 exec, exec, s[16:17]
	s_cbranch_execnz .LBB164_6
; %bb.7:
	s_or_b64 exec, exec, s[16:17]
.LBB164_8:
	s_or_b64 exec, exec, s[2:3]
	s_waitcnt lgkmcnt(0)
	v_mov_b32_dpp v3, v2 quad_perm:[1,0,3,2] row_mask:0xf bank_mask:0xf
	v_add_f32_e32 v2, v2, v3
	s_barrier
	s_nop 0
	v_mov_b32_dpp v3, v2 quad_perm:[2,3,0,1] row_mask:0xf bank_mask:0xf
	v_add_f32_e32 v2, v2, v3
	s_nop 1
	v_mov_b32_dpp v3, v2 row_half_mirror row_mask:0xf bank_mask:0xf
	v_add_f32_e32 v2, v2, v3
	s_nop 1
	v_mov_b32_dpp v3, v2 row_mirror row_mask:0xf bank_mask:0xf
	v_add_f32_e32 v2, v2, v3
	s_nop 1
	v_mov_b32_dpp v3, v2 row_bcast:15 row_mask:0xf bank_mask:0xf
	v_add_f32_e32 v2, v2, v3
	s_nop 1
	v_mov_b32_dpp v3, v2 row_bcast:31 row_mask:0xf bank_mask:0xf
	v_add_f32_e32 v2, v2, v3
	ds_bpermute_b32 v1, v1, v2
	s_and_saveexec_b64 s[0:1], vcc
	s_cbranch_execz .LBB164_11
; %bb.9:
	s_load_dword s7, s[4:5], 0x4c
	v_lshl_add_u32 v2, v0, 2, 0
	s_mov_b64 s[2:3], 0
	v_mov_b32_e32 v3, v0
	s_waitcnt lgkmcnt(0)
	s_and_b32 s7, s7, 0xffff
	s_lshl_b32 s11, s7, 2
.LBB164_10:                             ; =>This Inner Loop Header: Depth=1
	ds_read_b32 v4, v2
	v_add_u32_e32 v3, s7, v3
	v_cmp_le_i32_e32 vcc, s8, v3
	s_or_b64 s[2:3], vcc, s[2:3]
	s_waitcnt lgkmcnt(0)
	v_div_scale_f32 v5, s[16:17], v1, v1, v4
	v_rcp_f32_e32 v6, v5
	v_div_scale_f32 v7, vcc, v4, v1, v4
	v_fma_f32 v8, -v5, v6, 1.0
	v_fmac_f32_e32 v6, v8, v6
	v_mul_f32_e32 v8, v7, v6
	v_fma_f32 v9, -v5, v8, v7
	v_fmac_f32_e32 v8, v9, v6
	v_fma_f32 v5, -v5, v8, v7
	v_div_fmas_f32 v5, v5, v6, v8
	v_div_fixup_f32 v4, v5, v1, v4
	ds_write_b32 v2, v4
	v_add_u32_e32 v2, s11, v2
	s_andn2_b64 exec, exec, s[2:3]
	s_cbranch_execnz .LBB164_10
.LBB164_11:
	s_or_b64 exec, exec, s[0:1]
	s_lshr_b32 s0, s8, 31
	s_add_i32 s0, s8, s0
	s_ashr_i32 s7, s0, 1
	s_lshl_b32 s0, s8, 2
	s_add_i32 s20, s0, 0
	v_cmp_gt_u32_e32 vcc, 2, v0
	s_waitcnt lgkmcnt(0)
	s_barrier
	s_and_saveexec_b64 s[2:3], vcc
	s_cbranch_execz .LBB164_18
; %bb.12:
	s_load_dword s0, s[4:5], 0x4c
	v_mul_lo_u32 v1, v0, s7
	v_lshl_add_u32 v1, v1, 2, 0
	s_mov_b64 s[16:17], 0
	s_waitcnt lgkmcnt(0)
	s_and_b32 s11, s0, 0xffff
	s_cmp_gt_i32 s8, 1
	s_cselect_b64 s[0:1], -1, 0
	s_mul_i32 s8, s7, s11
	v_cndmask_b32_e64 v2, 0, 1, s[0:1]
	s_lshl_b32 s8, s8, 2
	v_cmp_ne_u32_e64 s[0:1], 1, v2
	v_mov_b32_e32 v2, v0
	s_branch .LBB164_14
.LBB164_13:                             ;   in Loop: Header=BB164_14 Depth=1
	v_lshl_add_u32 v4, v2, 2, s20
	v_add_u32_e32 v2, s11, v2
	v_cmp_lt_u32_e32 vcc, 1, v2
	s_or_b64 s[16:17], vcc, s[16:17]
	v_add_u32_e32 v1, s8, v1
	ds_write_b32 v4, v3
	s_andn2_b64 exec, exec, s[16:17]
	s_cbranch_execz .LBB164_18
.LBB164_14:                             ; =>This Loop Header: Depth=1
                                        ;     Child Loop BB164_16 Depth 2
	s_and_b64 vcc, exec, s[0:1]
	v_mov_b32_e32 v3, 0xff800000
	s_cbranch_vccnz .LBB164_13
; %bb.15:                               ;   in Loop: Header=BB164_14 Depth=1
	v_mul_lo_u32 v4, v2, s7
	v_add_u32_e32 v5, s7, v4
	s_mov_b64 s[18:19], 0
	v_mov_b32_e32 v3, 0xff800000
	v_mov_b32_e32 v6, v1
.LBB164_16:                             ;   Parent Loop BB164_14 Depth=1
                                        ; =>  This Inner Loop Header: Depth=2
	ds_read_b32 v7, v6
	v_add_u32_e32 v4, 1, v4
	v_cmp_ge_i32_e32 vcc, v4, v5
	s_or_b64 s[18:19], vcc, s[18:19]
	v_add_u32_e32 v6, 4, v6
	s_waitcnt lgkmcnt(0)
	v_cmp_gt_f32_e32 vcc, v7, v3
	v_cndmask_b32_e32 v3, v3, v7, vcc
	s_andn2_b64 exec, exec, s[18:19]
	s_cbranch_execnz .LBB164_16
; %bb.17:                               ;   in Loop: Header=BB164_14 Depth=1
	s_or_b64 exec, exec, s[18:19]
	s_branch .LBB164_13
.LBB164_18:
	s_or_b64 exec, exec, s[2:3]
	s_cmp_lt_i32 s10, 1
	s_waitcnt lgkmcnt(0)
	s_barrier
	s_cbranch_scc1 .LBB164_21
; %bb.19:
	v_mov_b32_e32 v1, s20
	s_mov_b32 s0, 0xff800000
	v_mov_b32_e32 v2, 0xff800000
.LBB164_20:                             ; =>This Inner Loop Header: Depth=1
	ds_read2_b32 v[4:5], v1 offset1:1
	s_add_i32 s10, s10, -1
	s_cmp_lg_u32 s10, 0
	s_waitcnt lgkmcnt(0)
	v_cmp_nlg_f32_e32 vcc, s0, v4
	v_cndmask_b32_e64 v3, 0, 1, vcc
	v_cmp_lg_f32_e32 vcc, s0, v4
	v_cndmask_b32_e32 v4, v2, v4, vcc
	v_lshlrev_b32_e32 v3, 1, v3
	v_cmp_ngt_f32_e32 vcc, v5, v4
	v_cndmask_b32_e32 v3, 1, v3, vcc
	v_lshlrev_b32_e32 v3, 2, v3
	v_add_u32_e32 v3, s20, v3
	ds_write_b32 v3, v2
	s_cbranch_scc1 .LBB164_20
.LBB164_21:
	v_cmp_gt_i32_e32 vcc, s7, v0
	v_lshlrev_b32_e32 v1, 1, v0
	v_lshl_add_u32 v4, v0, 3, 0
	s_and_saveexec_b64 s[2:3], vcc
	s_cbranch_execz .LBB164_26
; %bb.22:
	s_abs_i32 s8, s7
	v_cvt_f32_u32_e32 v2, s8
	s_load_dword s0, s[4:5], 0x4c
	s_sub_i32 s1, 0, s8
	s_ashr_i32 s18, s7, 31
	v_rcp_iflag_f32_e32 v2, v2
	v_lshlrev_b32_e32 v5, 1, v0
	s_waitcnt lgkmcnt(0)
	s_and_b32 s19, s0, 0xffff
	v_lshl_add_u32 v6, v0, 3, 0
	v_mul_f32_e32 v2, 0x4f7ffffe, v2
	v_cvt_u32_f32_e32 v2, v2
	s_mov_b64 s[10:11], 0
	s_lshl_b32 s21, s19, 1
	s_lshl_b32 s22, s19, 3
	v_mul_lo_u32 v3, s1, v2
	v_mul_hi_u32 v3, v2, v3
	v_add_u32_e32 v7, v2, v3
	s_mov_b32 s23, 0xff800000
	v_mov_b32_e32 v2, 0xff800000
	v_mov_b32_e32 v8, v0
	s_branch .LBB164_24
.LBB164_23:                             ;   in Loop: Header=BB164_24 Depth=1
	s_or_b64 exec, exec, s[16:17]
	v_add_u32_e32 v8, s19, v8
	v_cmp_le_i32_e64 s[0:1], s7, v8
	v_add_u32_e32 v5, s21, v5
	s_or_b64 s[10:11], s[0:1], s[10:11]
	v_add_u32_e32 v6, s22, v6
	s_andn2_b64 exec, exec, s[10:11]
	s_cbranch_execz .LBB164_26
.LBB164_24:                             ; =>This Inner Loop Header: Depth=1
	v_mul_hi_u32 v3, v5, v7
	v_mul_lo_u32 v9, v3, s8
	v_sub_u32_e32 v9, v5, v9
	v_add_u32_e32 v10, 1, v3
	v_cmp_le_u32_e64 s[0:1], s8, v9
	v_cndmask_b32_e64 v3, v3, v10, s[0:1]
	v_subrev_u32_e32 v10, s8, v9
	v_cndmask_b32_e64 v9, v9, v10, s[0:1]
	v_add_u32_e32 v10, 1, v3
	v_cmp_le_u32_e64 s[0:1], s8, v9
	v_cndmask_b32_e64 v3, v3, v10, s[0:1]
	v_xor_b32_e32 v3, s18, v3
	v_subrev_u32_e32 v3, s18, v3
	v_lshl_add_u32 v3, v3, 2, s20
	ds_read_b32 v3, v3
	s_waitcnt lgkmcnt(0)
	v_cmp_neq_f32_e64 s[0:1], s23, v3
	s_and_saveexec_b64 s[16:17], s[0:1]
	s_cbranch_execz .LBB164_23
; %bb.25:                               ;   in Loop: Header=BB164_24 Depth=1
	v_mov_b32_e32 v3, v2
	ds_write_b64 v6, v[2:3]
	s_branch .LBB164_23
.LBB164_26:
	s_or_b64 exec, exec, s[2:3]
	s_cmp_lt_i32 s9, 1
	s_waitcnt lgkmcnt(0)
	s_barrier
	s_cbranch_scc1 .LBB164_33
; %bb.27:
	s_add_u32 s2, s4, 64
	s_addc_u32 s3, s5, 0
	s_mov_b32 s8, 0
	v_mov_b32_e32 v5, 0xff800000
                                        ; implicit-def: $vgpr3
                                        ; implicit-def: $vgpr2
	s_branch .LBB164_29
.LBB164_28:                             ;   in Loop: Header=BB164_29 Depth=1
	s_or_b64 exec, exec, s[10:11]
	v_mov_b32_dpp v9, v7 quad_perm:[1,0,3,2] row_mask:0xf bank_mask:0xf
	v_cmp_lt_f32_e64 s[0:1], v7, v9
	v_cndmask_b32_e64 v7, v7, v9, s[0:1]
	v_mov_b32_dpp v8, v6 quad_perm:[1,0,3,2] row_mask:0xf bank_mask:0xf
	v_cndmask_b32_e64 v6, v6, v8, s[0:1]
	v_mov_b32_dpp v9, v7 quad_perm:[2,3,0,1] row_mask:0xf bank_mask:0xf
	v_cmp_gt_f32_e64 s[0:1], v9, v7
	v_cndmask_b32_e64 v7, v7, v9, s[0:1]
	v_mov_b32_dpp v8, v6 quad_perm:[2,3,0,1] row_mask:0xf bank_mask:0xf
	v_cndmask_b32_e64 v6, v6, v8, s[0:1]
	v_mov_b32_dpp v9, v7 row_half_mirror row_mask:0xf bank_mask:0xf
	v_cmp_gt_f32_e64 s[0:1], v9, v7
	v_cndmask_b32_e64 v7, v7, v9, s[0:1]
	v_mov_b32_dpp v8, v6 row_half_mirror row_mask:0xf bank_mask:0xf
	v_cndmask_b32_e64 v6, v6, v8, s[0:1]
	v_mov_b32_dpp v9, v7 row_mirror row_mask:0xf bank_mask:0xf
	v_cmp_gt_f32_e64 s[0:1], v9, v7
	v_cndmask_b32_e64 v7, v7, v9, s[0:1]
	v_mov_b32_dpp v8, v6 row_mirror row_mask:0xf bank_mask:0xf
	v_cndmask_b32_e64 v6, v6, v8, s[0:1]
	v_mov_b32_dpp v9, v7 row_bcast:15 row_mask:0xf bank_mask:0xf
	v_cmp_gt_f32_e64 s[0:1], v9, v7
	v_mov_b32_dpp v8, v6 row_bcast:15 row_mask:0xf bank_mask:0xf
	v_cndmask_b32_e64 v7, v7, v9, s[0:1]
	v_cndmask_b32_e64 v6, v6, v8, s[0:1]
	s_nop 0
	v_mov_b32_dpp v9, v7 row_bcast:31 row_mask:0xf bank_mask:0xf
	v_mov_b32_dpp v8, v6 row_bcast:31 row_mask:0xf bank_mask:0xf
	v_cmp_gt_f32_e64 s[0:1], v9, v7
	v_cndmask_b32_e64 v6, v6, v8, s[0:1]
	v_cndmask_b32_e64 v7, v7, v9, s[0:1]
	v_readlane_b32 s0, v6, 63
	s_lshl_b32 s1, s0, 2
	s_add_i32 s1, s1, 0
	v_mov_b32_e32 v6, s1
	v_readlane_b32 s10, v7, 63
	ds_write_b32 v6, v5
	v_mov_b32_e32 v6, s0
	v_cmp_eq_u32_e64 s[0:1], s8, v0
	v_cndmask_b32_e64 v2, v2, v6, s[0:1]
	v_mov_b32_e32 v6, s10
	s_add_i32 s8, s8, 1
	s_cmp_eq_u32 s8, s9
	v_cndmask_b32_e64 v3, v3, v6, s[0:1]
	s_cbranch_scc1 .LBB164_34
.LBB164_29:                             ; =>This Loop Header: Depth=1
                                        ;     Child Loop BB164_31 Depth 2
	v_mov_b32_e32 v6, s8
	v_mov_b32_e32 v7, 0xff800000
	s_and_saveexec_b64 s[10:11], vcc
	s_cbranch_execz .LBB164_28
; %bb.30:                               ;   in Loop: Header=BB164_29 Depth=1
	s_load_dword s0, s[2:3], 0xc
	s_mov_b64 s[16:17], 0
	v_mov_b32_e32 v6, s8
	v_mov_b32_e32 v7, 0xff800000
	;; [unrolled: 1-line block ×3, first 2 shown]
	s_waitcnt lgkmcnt(0)
	s_and_b32 s18, s0, 0xffff
	s_lshl_b32 s19, s18, 1
	s_lshl_b32 s20, s18, 3
	v_mov_b32_e32 v9, v1
	v_mov_b32_e32 v10, v0
.LBB164_31:                             ;   Parent Loop BB164_29 Depth=1
                                        ; =>  This Inner Loop Header: Depth=2
	ds_read_b64 v[12:13], v8
	v_add_u32_e32 v10, s18, v10
	v_cmp_le_i32_e64 s[0:1], s7, v10
	s_or_b64 s[16:17], s[0:1], s[16:17]
	v_add_u32_e32 v11, 1, v9
	s_waitcnt lgkmcnt(0)
	v_cmp_gt_f32_e64 s[0:1], v12, v7
	v_cndmask_b32_e64 v7, v7, v12, s[0:1]
	v_cndmask_b32_e64 v6, v6, v9, s[0:1]
	v_cmp_gt_f32_e64 s[0:1], v13, v7
	v_add_u32_e32 v8, s20, v8
	v_cndmask_b32_e64 v7, v7, v13, s[0:1]
	v_add_u32_e32 v9, s19, v9
	v_cndmask_b32_e64 v6, v6, v11, s[0:1]
	s_andn2_b64 exec, exec, s[16:17]
	s_cbranch_execnz .LBB164_31
; %bb.32:                               ;   in Loop: Header=BB164_29 Depth=1
	s_or_b64 exec, exec, s[16:17]
	s_branch .LBB164_28
.LBB164_33:
                                        ; implicit-def: $vgpr3
                                        ; implicit-def: $vgpr2
.LBB164_34:
	v_cmp_gt_i32_e32 vcc, s9, v0
	s_and_saveexec_b64 s[0:1], vcc
	s_cbranch_execz .LBB164_37
; %bb.35:
	s_load_dword s2, s[4:5], 0x38
	s_load_dwordx2 s[0:1], s[4:5], 0x20
	s_ashr_i32 s3, s6, 31
	s_load_dword s4, s[4:5], 0x4c
	v_mov_b32_e32 v4, s13
	s_waitcnt lgkmcnt(0)
	v_mul_f32_e32 v1, s2, v3
	s_mul_i32 s1, s6, s1
	s_mul_hi_u32 s2, s6, s0
	s_add_i32 s1, s2, s1
	s_mul_i32 s3, s3, s0
	s_add_i32 s5, s1, s3
	s_mul_i32 s2, s6, s0
	s_and_b32 s3, s4, 0xffff
	s_mov_b64 s[0:1], 0
	v_mov_b32_e32 v3, s5
	v_mov_b32_e32 v5, s15
.LBB164_36:                             ; =>This Inner Loop Header: Depth=1
	v_ashrrev_i32_e32 v7, 31, v0
	v_add_co_u32_e32 v6, vcc, s2, v0
	v_addc_co_u32_e32 v7, vcc, v3, v7, vcc
	v_add_u32_e32 v0, s3, v0
	v_cmp_le_i32_e32 vcc, s9, v0
	v_lshlrev_b64 v[6:7], 2, v[6:7]
	s_or_b64 s[0:1], vcc, s[0:1]
	v_add_co_u32_e32 v8, vcc, s12, v6
	v_addc_co_u32_e32 v9, vcc, v4, v7, vcc
	v_add_co_u32_e32 v6, vcc, s14, v6
	v_addc_co_u32_e32 v7, vcc, v5, v7, vcc
	global_store_dword v[8:9], v1, off
	global_store_dword v[6:7], v2, off
	s_andn2_b64 exec, exec, s[0:1]
	s_cbranch_execnz .LBB164_36
.LBB164_37:
	s_endpgm
	.section	.rodata,"a",@progbits
	.p2align	6, 0x0
	.amdhsa_kernel _ZN5aiter19grouped_topk_kernelIN3c104HalfEDv2_fLi2ELb0ELb0ELb1EEEvPT_PKS4_PfPimiiiif
		.amdhsa_group_segment_fixed_size 0
		.amdhsa_private_segment_fixed_size 0
		.amdhsa_kernarg_size 320
		.amdhsa_user_sgpr_count 6
		.amdhsa_user_sgpr_private_segment_buffer 1
		.amdhsa_user_sgpr_dispatch_ptr 0
		.amdhsa_user_sgpr_queue_ptr 0
		.amdhsa_user_sgpr_kernarg_segment_ptr 1
		.amdhsa_user_sgpr_dispatch_id 0
		.amdhsa_user_sgpr_flat_scratch_init 0
		.amdhsa_user_sgpr_kernarg_preload_length 0
		.amdhsa_user_sgpr_kernarg_preload_offset 0
		.amdhsa_user_sgpr_private_segment_size 0
		.amdhsa_uses_dynamic_stack 0
		.amdhsa_system_sgpr_private_segment_wavefront_offset 0
		.amdhsa_system_sgpr_workgroup_id_x 1
		.amdhsa_system_sgpr_workgroup_id_y 0
		.amdhsa_system_sgpr_workgroup_id_z 0
		.amdhsa_system_sgpr_workgroup_info 0
		.amdhsa_system_vgpr_workitem_id 0
		.amdhsa_next_free_vgpr 14
		.amdhsa_next_free_sgpr 24
		.amdhsa_accum_offset 16
		.amdhsa_reserve_vcc 1
		.amdhsa_reserve_flat_scratch 0
		.amdhsa_float_round_mode_32 0
		.amdhsa_float_round_mode_16_64 0
		.amdhsa_float_denorm_mode_32 3
		.amdhsa_float_denorm_mode_16_64 3
		.amdhsa_dx10_clamp 1
		.amdhsa_ieee_mode 1
		.amdhsa_fp16_overflow 0
		.amdhsa_tg_split 0
		.amdhsa_exception_fp_ieee_invalid_op 0
		.amdhsa_exception_fp_denorm_src 0
		.amdhsa_exception_fp_ieee_div_zero 0
		.amdhsa_exception_fp_ieee_overflow 0
		.amdhsa_exception_fp_ieee_underflow 0
		.amdhsa_exception_fp_ieee_inexact 0
		.amdhsa_exception_int_div_zero 0
	.end_amdhsa_kernel
	.section	.text._ZN5aiter19grouped_topk_kernelIN3c104HalfEDv2_fLi2ELb0ELb0ELb1EEEvPT_PKS4_PfPimiiiif,"axG",@progbits,_ZN5aiter19grouped_topk_kernelIN3c104HalfEDv2_fLi2ELb0ELb0ELb1EEEvPT_PKS4_PfPimiiiif,comdat
.Lfunc_end164:
	.size	_ZN5aiter19grouped_topk_kernelIN3c104HalfEDv2_fLi2ELb0ELb0ELb1EEEvPT_PKS4_PfPimiiiif, .Lfunc_end164-_ZN5aiter19grouped_topk_kernelIN3c104HalfEDv2_fLi2ELb0ELb0ELb1EEEvPT_PKS4_PfPimiiiif
                                        ; -- End function
	.section	.AMDGPU.csdata,"",@progbits
; Kernel info:
; codeLenInByte = 2332
; NumSgprs: 28
; NumVgprs: 14
; NumAgprs: 0
; TotalNumVgprs: 14
; ScratchSize: 0
; MemoryBound: 0
; FloatMode: 240
; IeeeMode: 1
; LDSByteSize: 0 bytes/workgroup (compile time only)
; SGPRBlocks: 3
; VGPRBlocks: 1
; NumSGPRsForWavesPerEU: 28
; NumVGPRsForWavesPerEU: 14
; AccumOffset: 16
; Occupancy: 8
; WaveLimiterHint : 0
; COMPUTE_PGM_RSRC2:SCRATCH_EN: 0
; COMPUTE_PGM_RSRC2:USER_SGPR: 6
; COMPUTE_PGM_RSRC2:TRAP_HANDLER: 0
; COMPUTE_PGM_RSRC2:TGID_X_EN: 1
; COMPUTE_PGM_RSRC2:TGID_Y_EN: 0
; COMPUTE_PGM_RSRC2:TGID_Z_EN: 0
; COMPUTE_PGM_RSRC2:TIDIG_COMP_CNT: 0
; COMPUTE_PGM_RSRC3_GFX90A:ACCUM_OFFSET: 3
; COMPUTE_PGM_RSRC3_GFX90A:TG_SPLIT: 0
	.section	.text._ZN5aiter19grouped_topk_kernelIN3c108BFloat16EDv2_fLi2ELb0ELb0ELb1EEEvPT_PKS4_PfPimiiiif,"axG",@progbits,_ZN5aiter19grouped_topk_kernelIN3c108BFloat16EDv2_fLi2ELb0ELb0ELb1EEEvPT_PKS4_PfPimiiiif,comdat
	.protected	_ZN5aiter19grouped_topk_kernelIN3c108BFloat16EDv2_fLi2ELb0ELb0ELb1EEEvPT_PKS4_PfPimiiiif ; -- Begin function _ZN5aiter19grouped_topk_kernelIN3c108BFloat16EDv2_fLi2ELb0ELb0ELb1EEEvPT_PKS4_PfPimiiiif
	.globl	_ZN5aiter19grouped_topk_kernelIN3c108BFloat16EDv2_fLi2ELb0ELb0ELb1EEEvPT_PKS4_PfPimiiiif
	.p2align	8
	.type	_ZN5aiter19grouped_topk_kernelIN3c108BFloat16EDv2_fLi2ELb0ELb0ELb1EEEvPT_PKS4_PfPimiiiif,@function
_ZN5aiter19grouped_topk_kernelIN3c108BFloat16EDv2_fLi2ELb0ELb0ELb1EEEvPT_PKS4_PfPimiiiif: ; @_ZN5aiter19grouped_topk_kernelIN3c108BFloat16EDv2_fLi2ELb0ELb0ELb1EEEvPT_PKS4_PfPimiiiif
; %bb.0:
	s_load_dwordx4 s[8:11], s[4:5], 0x28
	s_load_dwordx4 s[12:15], s[4:5], 0x10
	v_mov_b32_e32 v1, 0xff800000
	s_waitcnt lgkmcnt(0)
	v_cmp_gt_i32_e32 vcc, s8, v0
	s_and_saveexec_b64 s[2:3], vcc
	s_cbranch_execz .LBB165_4
; %bb.1:
	s_load_dword s0, s[4:5], 0x4c
	s_load_dwordx2 s[16:17], s[4:5], 0x0
	s_mul_i32 s7, s6, s8
	v_lshl_add_u32 v2, v0, 2, 0
	s_mov_b64 s[18:19], 0
	s_waitcnt lgkmcnt(0)
	s_and_b32 s11, s0, 0xffff
	s_lshl_b32 s20, s11, 2
	v_mov_b32_e32 v1, 0xff800000
	v_mov_b32_e32 v3, s17
	;; [unrolled: 1-line block ×3, first 2 shown]
.LBB165_2:                              ; =>This Inner Loop Header: Depth=1
	v_add_u32_e32 v6, s7, v4
	v_ashrrev_i32_e32 v7, 31, v6
	v_lshlrev_b64 v[6:7], 1, v[6:7]
	v_add_co_u32_e64 v6, s[0:1], s16, v6
	v_addc_co_u32_e64 v7, s[0:1], v3, v7, s[0:1]
	global_load_ushort v5, v[6:7], off
	v_add_u32_e32 v4, s11, v4
	v_cmp_le_i32_e64 s[0:1], s8, v4
	s_or_b64 s[18:19], s[0:1], s[18:19]
	s_waitcnt vmcnt(0)
	v_lshrrev_b16_e32 v6, 8, v5
	v_and_b32_e32 v5, 0xff, v5
	v_lshlrev_b32_e32 v5, 16, v5
	v_lshl_or_b32 v5, v6, 24, v5
	v_cmp_lt_f32_e64 s[0:1], v1, v5
	ds_write_b32 v2, v5
	v_cndmask_b32_e64 v1, v1, v5, s[0:1]
	v_add_u32_e32 v2, s20, v2
	s_andn2_b64 exec, exec, s[18:19]
	s_cbranch_execnz .LBB165_2
; %bb.3:
	s_or_b64 exec, exec, s[18:19]
.LBB165_4:
	s_or_b64 exec, exec, s[2:3]
	v_mov_b32_dpp v2, v1 quad_perm:[1,0,3,2] row_mask:0xf bank_mask:0xf
	v_cmp_lt_f32_e64 s[0:1], v1, v2
	v_cndmask_b32_e64 v1, v1, v2, s[0:1]
	v_bfrev_b32_e32 v3, 0.5
	s_waitcnt lgkmcnt(0)
	v_mov_b32_dpp v2, v1 quad_perm:[2,3,0,1] row_mask:0xf bank_mask:0xf
	v_cmp_lt_f32_e64 s[0:1], v1, v2
	v_cndmask_b32_e64 v1, v1, v2, s[0:1]
	s_barrier
	s_nop 0
	v_mov_b32_dpp v2, v1 row_half_mirror row_mask:0xf bank_mask:0xf
	v_cmp_lt_f32_e64 s[0:1], v1, v2
	v_cndmask_b32_e64 v1, v1, v2, s[0:1]
	s_nop 1
	v_mov_b32_dpp v2, v1 row_mirror row_mask:0xf bank_mask:0xf
	v_cmp_lt_f32_e64 s[0:1], v1, v2
	v_cndmask_b32_e64 v1, v1, v2, s[0:1]
	s_nop 1
	v_mov_b32_dpp v2, v1 row_bcast:15 row_mask:0xf bank_mask:0xf
	v_cmp_lt_f32_e64 s[0:1], v1, v2
	v_cndmask_b32_e64 v1, v1, v2, s[0:1]
	s_nop 1
	v_mov_b32_dpp v2, v1 row_bcast:31 row_mask:0xf bank_mask:0xf
	v_cmp_lt_f32_e64 s[0:1], v1, v2
	v_cndmask_b32_e64 v2, v1, v2, s[0:1]
	v_mbcnt_lo_u32_b32 v1, -1, 0
	v_mbcnt_hi_u32_b32 v1, -1, v1
	v_lshl_or_b32 v1, v1, 2, v3
	ds_bpermute_b32 v3, v1, v2
	v_mov_b32_e32 v2, 0
	s_and_saveexec_b64 s[2:3], vcc
	s_cbranch_execz .LBB165_8
; %bb.5:
	s_load_dword s0, s[4:5], 0x4c
	v_lshl_add_u32 v4, v0, 2, 0
	s_mov_b64 s[16:17], 0
	v_mov_b32_e32 v2, 0
	s_mov_b32 s7, 0x3fb8aa3b
	s_waitcnt lgkmcnt(0)
	s_and_b32 s11, s0, 0xffff
	s_lshl_b32 s18, s11, 2
	s_mov_b32 s19, 0xc2ce8ed0
	s_mov_b32 s20, 0x42b17218
	v_mov_b32_e32 v5, 0x7f800000
	v_mov_b32_e32 v6, v0
.LBB165_6:                              ; =>This Inner Loop Header: Depth=1
	ds_read_b32 v7, v4
	v_add_u32_e32 v6, s11, v6
	s_waitcnt lgkmcnt(0)
	v_sub_f32_e32 v7, v7, v3
	v_mul_f32_e32 v8, 0x3fb8aa3b, v7
	v_fma_f32 v9, v7, s7, -v8
	v_rndne_f32_e32 v10, v8
	v_fmac_f32_e32 v9, 0x32a5705f, v7
	v_sub_f32_e32 v8, v8, v10
	v_add_f32_e32 v8, v8, v9
	v_cvt_i32_f32_e32 v10, v10
	v_exp_f32_e32 v8, v8
	v_cmp_ngt_f32_e64 s[0:1], s19, v7
	v_ldexp_f32 v8, v8, v10
	v_cndmask_b32_e64 v8, 0, v8, s[0:1]
	v_cmp_nlt_f32_e64 s[0:1], s20, v7
	v_cndmask_b32_e64 v7, v5, v8, s[0:1]
	v_cmp_le_i32_e64 s[0:1], s8, v6
	ds_write_b32 v4, v7
	v_add_f32_e32 v2, v2, v7
	s_or_b64 s[16:17], s[0:1], s[16:17]
	v_add_u32_e32 v4, s18, v4
	s_andn2_b64 exec, exec, s[16:17]
	s_cbranch_execnz .LBB165_6
; %bb.7:
	s_or_b64 exec, exec, s[16:17]
.LBB165_8:
	s_or_b64 exec, exec, s[2:3]
	s_waitcnt lgkmcnt(0)
	v_mov_b32_dpp v3, v2 quad_perm:[1,0,3,2] row_mask:0xf bank_mask:0xf
	v_add_f32_e32 v2, v2, v3
	s_barrier
	s_nop 0
	v_mov_b32_dpp v3, v2 quad_perm:[2,3,0,1] row_mask:0xf bank_mask:0xf
	v_add_f32_e32 v2, v2, v3
	s_nop 1
	v_mov_b32_dpp v3, v2 row_half_mirror row_mask:0xf bank_mask:0xf
	v_add_f32_e32 v2, v2, v3
	s_nop 1
	v_mov_b32_dpp v3, v2 row_mirror row_mask:0xf bank_mask:0xf
	v_add_f32_e32 v2, v2, v3
	s_nop 1
	v_mov_b32_dpp v3, v2 row_bcast:15 row_mask:0xf bank_mask:0xf
	v_add_f32_e32 v2, v2, v3
	s_nop 1
	v_mov_b32_dpp v3, v2 row_bcast:31 row_mask:0xf bank_mask:0xf
	v_add_f32_e32 v2, v2, v3
	ds_bpermute_b32 v1, v1, v2
	s_and_saveexec_b64 s[0:1], vcc
	s_cbranch_execz .LBB165_11
; %bb.9:
	s_load_dword s7, s[4:5], 0x4c
	v_lshl_add_u32 v2, v0, 2, 0
	s_mov_b64 s[2:3], 0
	v_mov_b32_e32 v3, v0
	s_waitcnt lgkmcnt(0)
	s_and_b32 s7, s7, 0xffff
	s_lshl_b32 s11, s7, 2
.LBB165_10:                             ; =>This Inner Loop Header: Depth=1
	ds_read_b32 v4, v2
	v_add_u32_e32 v3, s7, v3
	v_cmp_le_i32_e32 vcc, s8, v3
	s_or_b64 s[2:3], vcc, s[2:3]
	s_waitcnt lgkmcnt(0)
	v_div_scale_f32 v5, s[16:17], v1, v1, v4
	v_rcp_f32_e32 v6, v5
	v_div_scale_f32 v7, vcc, v4, v1, v4
	v_fma_f32 v8, -v5, v6, 1.0
	v_fmac_f32_e32 v6, v8, v6
	v_mul_f32_e32 v8, v7, v6
	v_fma_f32 v9, -v5, v8, v7
	v_fmac_f32_e32 v8, v9, v6
	v_fma_f32 v5, -v5, v8, v7
	v_div_fmas_f32 v5, v5, v6, v8
	v_div_fixup_f32 v4, v5, v1, v4
	ds_write_b32 v2, v4
	v_add_u32_e32 v2, s11, v2
	s_andn2_b64 exec, exec, s[2:3]
	s_cbranch_execnz .LBB165_10
.LBB165_11:
	s_or_b64 exec, exec, s[0:1]
	s_lshr_b32 s0, s8, 31
	s_add_i32 s0, s8, s0
	s_ashr_i32 s7, s0, 1
	s_lshl_b32 s0, s8, 2
	s_add_i32 s20, s0, 0
	v_cmp_gt_u32_e32 vcc, 2, v0
	s_waitcnt lgkmcnt(0)
	s_barrier
	s_and_saveexec_b64 s[2:3], vcc
	s_cbranch_execz .LBB165_18
; %bb.12:
	s_load_dword s0, s[4:5], 0x4c
	v_mul_lo_u32 v1, v0, s7
	v_lshl_add_u32 v1, v1, 2, 0
	s_mov_b64 s[16:17], 0
	s_waitcnt lgkmcnt(0)
	s_and_b32 s11, s0, 0xffff
	s_cmp_gt_i32 s8, 1
	s_cselect_b64 s[0:1], -1, 0
	s_mul_i32 s8, s7, s11
	v_cndmask_b32_e64 v2, 0, 1, s[0:1]
	s_lshl_b32 s8, s8, 2
	v_cmp_ne_u32_e64 s[0:1], 1, v2
	v_mov_b32_e32 v2, v0
	s_branch .LBB165_14
.LBB165_13:                             ;   in Loop: Header=BB165_14 Depth=1
	v_lshl_add_u32 v4, v2, 2, s20
	v_add_u32_e32 v2, s11, v2
	v_cmp_lt_u32_e32 vcc, 1, v2
	s_or_b64 s[16:17], vcc, s[16:17]
	v_add_u32_e32 v1, s8, v1
	ds_write_b32 v4, v3
	s_andn2_b64 exec, exec, s[16:17]
	s_cbranch_execz .LBB165_18
.LBB165_14:                             ; =>This Loop Header: Depth=1
                                        ;     Child Loop BB165_16 Depth 2
	s_and_b64 vcc, exec, s[0:1]
	v_mov_b32_e32 v3, 0xff800000
	s_cbranch_vccnz .LBB165_13
; %bb.15:                               ;   in Loop: Header=BB165_14 Depth=1
	v_mul_lo_u32 v4, v2, s7
	v_add_u32_e32 v5, s7, v4
	s_mov_b64 s[18:19], 0
	v_mov_b32_e32 v3, 0xff800000
	v_mov_b32_e32 v6, v1
.LBB165_16:                             ;   Parent Loop BB165_14 Depth=1
                                        ; =>  This Inner Loop Header: Depth=2
	ds_read_b32 v7, v6
	v_add_u32_e32 v4, 1, v4
	v_cmp_ge_i32_e32 vcc, v4, v5
	s_or_b64 s[18:19], vcc, s[18:19]
	v_add_u32_e32 v6, 4, v6
	s_waitcnt lgkmcnt(0)
	v_cmp_gt_f32_e32 vcc, v7, v3
	v_cndmask_b32_e32 v3, v3, v7, vcc
	s_andn2_b64 exec, exec, s[18:19]
	s_cbranch_execnz .LBB165_16
; %bb.17:                               ;   in Loop: Header=BB165_14 Depth=1
	s_or_b64 exec, exec, s[18:19]
	s_branch .LBB165_13
.LBB165_18:
	s_or_b64 exec, exec, s[2:3]
	s_cmp_lt_i32 s10, 1
	s_waitcnt lgkmcnt(0)
	s_barrier
	s_cbranch_scc1 .LBB165_21
; %bb.19:
	v_mov_b32_e32 v1, s20
	s_mov_b32 s0, 0xff800000
	v_mov_b32_e32 v2, 0xff800000
.LBB165_20:                             ; =>This Inner Loop Header: Depth=1
	ds_read2_b32 v[4:5], v1 offset1:1
	s_add_i32 s10, s10, -1
	s_cmp_lg_u32 s10, 0
	s_waitcnt lgkmcnt(0)
	v_cmp_nlg_f32_e32 vcc, s0, v4
	v_cndmask_b32_e64 v3, 0, 1, vcc
	v_cmp_lg_f32_e32 vcc, s0, v4
	v_cndmask_b32_e32 v4, v2, v4, vcc
	v_lshlrev_b32_e32 v3, 1, v3
	v_cmp_ngt_f32_e32 vcc, v5, v4
	v_cndmask_b32_e32 v3, 1, v3, vcc
	v_lshlrev_b32_e32 v3, 2, v3
	v_add_u32_e32 v3, s20, v3
	ds_write_b32 v3, v2
	s_cbranch_scc1 .LBB165_20
.LBB165_21:
	v_cmp_gt_i32_e32 vcc, s7, v0
	v_lshlrev_b32_e32 v1, 1, v0
	v_lshl_add_u32 v4, v0, 3, 0
	s_and_saveexec_b64 s[2:3], vcc
	s_cbranch_execz .LBB165_26
; %bb.22:
	s_abs_i32 s8, s7
	v_cvt_f32_u32_e32 v2, s8
	s_load_dword s0, s[4:5], 0x4c
	s_sub_i32 s1, 0, s8
	s_ashr_i32 s18, s7, 31
	v_rcp_iflag_f32_e32 v2, v2
	v_lshlrev_b32_e32 v5, 1, v0
	s_waitcnt lgkmcnt(0)
	s_and_b32 s19, s0, 0xffff
	v_lshl_add_u32 v6, v0, 3, 0
	v_mul_f32_e32 v2, 0x4f7ffffe, v2
	v_cvt_u32_f32_e32 v2, v2
	s_mov_b64 s[10:11], 0
	s_lshl_b32 s21, s19, 1
	s_lshl_b32 s22, s19, 3
	v_mul_lo_u32 v3, s1, v2
	v_mul_hi_u32 v3, v2, v3
	v_add_u32_e32 v7, v2, v3
	s_mov_b32 s23, 0xff800000
	v_mov_b32_e32 v2, 0xff800000
	v_mov_b32_e32 v8, v0
	s_branch .LBB165_24
.LBB165_23:                             ;   in Loop: Header=BB165_24 Depth=1
	s_or_b64 exec, exec, s[16:17]
	v_add_u32_e32 v8, s19, v8
	v_cmp_le_i32_e64 s[0:1], s7, v8
	v_add_u32_e32 v5, s21, v5
	s_or_b64 s[10:11], s[0:1], s[10:11]
	v_add_u32_e32 v6, s22, v6
	s_andn2_b64 exec, exec, s[10:11]
	s_cbranch_execz .LBB165_26
.LBB165_24:                             ; =>This Inner Loop Header: Depth=1
	v_mul_hi_u32 v3, v5, v7
	v_mul_lo_u32 v9, v3, s8
	v_sub_u32_e32 v9, v5, v9
	v_add_u32_e32 v10, 1, v3
	v_cmp_le_u32_e64 s[0:1], s8, v9
	v_cndmask_b32_e64 v3, v3, v10, s[0:1]
	v_subrev_u32_e32 v10, s8, v9
	v_cndmask_b32_e64 v9, v9, v10, s[0:1]
	v_add_u32_e32 v10, 1, v3
	v_cmp_le_u32_e64 s[0:1], s8, v9
	v_cndmask_b32_e64 v3, v3, v10, s[0:1]
	v_xor_b32_e32 v3, s18, v3
	v_subrev_u32_e32 v3, s18, v3
	v_lshl_add_u32 v3, v3, 2, s20
	ds_read_b32 v3, v3
	s_waitcnt lgkmcnt(0)
	v_cmp_neq_f32_e64 s[0:1], s23, v3
	s_and_saveexec_b64 s[16:17], s[0:1]
	s_cbranch_execz .LBB165_23
; %bb.25:                               ;   in Loop: Header=BB165_24 Depth=1
	v_mov_b32_e32 v3, v2
	ds_write_b64 v6, v[2:3]
	s_branch .LBB165_23
.LBB165_26:
	s_or_b64 exec, exec, s[2:3]
	s_cmp_lt_i32 s9, 1
	s_waitcnt lgkmcnt(0)
	s_barrier
	s_cbranch_scc1 .LBB165_33
; %bb.27:
	s_add_u32 s2, s4, 64
	s_addc_u32 s3, s5, 0
	s_mov_b32 s8, 0
	v_mov_b32_e32 v5, 0xff800000
                                        ; implicit-def: $vgpr3
                                        ; implicit-def: $vgpr2
	s_branch .LBB165_29
.LBB165_28:                             ;   in Loop: Header=BB165_29 Depth=1
	s_or_b64 exec, exec, s[10:11]
	v_mov_b32_dpp v9, v7 quad_perm:[1,0,3,2] row_mask:0xf bank_mask:0xf
	v_cmp_lt_f32_e64 s[0:1], v7, v9
	v_cndmask_b32_e64 v7, v7, v9, s[0:1]
	v_mov_b32_dpp v8, v6 quad_perm:[1,0,3,2] row_mask:0xf bank_mask:0xf
	v_cndmask_b32_e64 v6, v6, v8, s[0:1]
	v_mov_b32_dpp v9, v7 quad_perm:[2,3,0,1] row_mask:0xf bank_mask:0xf
	v_cmp_gt_f32_e64 s[0:1], v9, v7
	v_cndmask_b32_e64 v7, v7, v9, s[0:1]
	v_mov_b32_dpp v8, v6 quad_perm:[2,3,0,1] row_mask:0xf bank_mask:0xf
	v_cndmask_b32_e64 v6, v6, v8, s[0:1]
	v_mov_b32_dpp v9, v7 row_half_mirror row_mask:0xf bank_mask:0xf
	v_cmp_gt_f32_e64 s[0:1], v9, v7
	v_cndmask_b32_e64 v7, v7, v9, s[0:1]
	v_mov_b32_dpp v8, v6 row_half_mirror row_mask:0xf bank_mask:0xf
	v_cndmask_b32_e64 v6, v6, v8, s[0:1]
	v_mov_b32_dpp v9, v7 row_mirror row_mask:0xf bank_mask:0xf
	v_cmp_gt_f32_e64 s[0:1], v9, v7
	v_cndmask_b32_e64 v7, v7, v9, s[0:1]
	v_mov_b32_dpp v8, v6 row_mirror row_mask:0xf bank_mask:0xf
	v_cndmask_b32_e64 v6, v6, v8, s[0:1]
	v_mov_b32_dpp v9, v7 row_bcast:15 row_mask:0xf bank_mask:0xf
	v_cmp_gt_f32_e64 s[0:1], v9, v7
	v_mov_b32_dpp v8, v6 row_bcast:15 row_mask:0xf bank_mask:0xf
	v_cndmask_b32_e64 v7, v7, v9, s[0:1]
	v_cndmask_b32_e64 v6, v6, v8, s[0:1]
	s_nop 0
	v_mov_b32_dpp v9, v7 row_bcast:31 row_mask:0xf bank_mask:0xf
	v_mov_b32_dpp v8, v6 row_bcast:31 row_mask:0xf bank_mask:0xf
	v_cmp_gt_f32_e64 s[0:1], v9, v7
	v_cndmask_b32_e64 v6, v6, v8, s[0:1]
	v_cndmask_b32_e64 v7, v7, v9, s[0:1]
	v_readlane_b32 s0, v6, 63
	s_lshl_b32 s1, s0, 2
	s_add_i32 s1, s1, 0
	v_mov_b32_e32 v6, s1
	v_readlane_b32 s10, v7, 63
	ds_write_b32 v6, v5
	v_mov_b32_e32 v6, s0
	v_cmp_eq_u32_e64 s[0:1], s8, v0
	v_cndmask_b32_e64 v2, v2, v6, s[0:1]
	v_mov_b32_e32 v6, s10
	s_add_i32 s8, s8, 1
	s_cmp_eq_u32 s8, s9
	v_cndmask_b32_e64 v3, v3, v6, s[0:1]
	s_cbranch_scc1 .LBB165_34
.LBB165_29:                             ; =>This Loop Header: Depth=1
                                        ;     Child Loop BB165_31 Depth 2
	v_mov_b32_e32 v6, s8
	v_mov_b32_e32 v7, 0xff800000
	s_and_saveexec_b64 s[10:11], vcc
	s_cbranch_execz .LBB165_28
; %bb.30:                               ;   in Loop: Header=BB165_29 Depth=1
	s_load_dword s0, s[2:3], 0xc
	s_mov_b64 s[16:17], 0
	v_mov_b32_e32 v6, s8
	v_mov_b32_e32 v7, 0xff800000
	;; [unrolled: 1-line block ×3, first 2 shown]
	s_waitcnt lgkmcnt(0)
	s_and_b32 s18, s0, 0xffff
	s_lshl_b32 s19, s18, 1
	s_lshl_b32 s20, s18, 3
	v_mov_b32_e32 v9, v1
	v_mov_b32_e32 v10, v0
.LBB165_31:                             ;   Parent Loop BB165_29 Depth=1
                                        ; =>  This Inner Loop Header: Depth=2
	ds_read_b64 v[12:13], v8
	v_add_u32_e32 v10, s18, v10
	v_cmp_le_i32_e64 s[0:1], s7, v10
	s_or_b64 s[16:17], s[0:1], s[16:17]
	v_add_u32_e32 v11, 1, v9
	s_waitcnt lgkmcnt(0)
	v_cmp_gt_f32_e64 s[0:1], v12, v7
	v_cndmask_b32_e64 v7, v7, v12, s[0:1]
	v_cndmask_b32_e64 v6, v6, v9, s[0:1]
	v_cmp_gt_f32_e64 s[0:1], v13, v7
	v_add_u32_e32 v8, s20, v8
	v_cndmask_b32_e64 v7, v7, v13, s[0:1]
	v_add_u32_e32 v9, s19, v9
	v_cndmask_b32_e64 v6, v6, v11, s[0:1]
	s_andn2_b64 exec, exec, s[16:17]
	s_cbranch_execnz .LBB165_31
; %bb.32:                               ;   in Loop: Header=BB165_29 Depth=1
	s_or_b64 exec, exec, s[16:17]
	s_branch .LBB165_28
.LBB165_33:
                                        ; implicit-def: $vgpr3
                                        ; implicit-def: $vgpr2
.LBB165_34:
	v_cmp_gt_i32_e32 vcc, s9, v0
	s_and_saveexec_b64 s[0:1], vcc
	s_cbranch_execz .LBB165_37
; %bb.35:
	s_load_dword s2, s[4:5], 0x38
	s_load_dwordx2 s[0:1], s[4:5], 0x20
	s_ashr_i32 s3, s6, 31
	s_load_dword s4, s[4:5], 0x4c
	v_mov_b32_e32 v4, s13
	s_waitcnt lgkmcnt(0)
	v_mul_f32_e32 v1, s2, v3
	s_mul_i32 s1, s6, s1
	s_mul_hi_u32 s2, s6, s0
	s_add_i32 s1, s2, s1
	s_mul_i32 s3, s3, s0
	s_add_i32 s5, s1, s3
	s_mul_i32 s2, s6, s0
	s_and_b32 s3, s4, 0xffff
	s_mov_b64 s[0:1], 0
	v_mov_b32_e32 v3, s5
	v_mov_b32_e32 v5, s15
.LBB165_36:                             ; =>This Inner Loop Header: Depth=1
	v_ashrrev_i32_e32 v7, 31, v0
	v_add_co_u32_e32 v6, vcc, s2, v0
	v_addc_co_u32_e32 v7, vcc, v3, v7, vcc
	v_add_u32_e32 v0, s3, v0
	v_cmp_le_i32_e32 vcc, s9, v0
	v_lshlrev_b64 v[6:7], 2, v[6:7]
	s_or_b64 s[0:1], vcc, s[0:1]
	v_add_co_u32_e32 v8, vcc, s12, v6
	v_addc_co_u32_e32 v9, vcc, v4, v7, vcc
	v_add_co_u32_e32 v6, vcc, s14, v6
	v_addc_co_u32_e32 v7, vcc, v5, v7, vcc
	global_store_dword v[8:9], v1, off
	global_store_dword v[6:7], v2, off
	s_andn2_b64 exec, exec, s[0:1]
	s_cbranch_execnz .LBB165_36
.LBB165_37:
	s_endpgm
	.section	.rodata,"a",@progbits
	.p2align	6, 0x0
	.amdhsa_kernel _ZN5aiter19grouped_topk_kernelIN3c108BFloat16EDv2_fLi2ELb0ELb0ELb1EEEvPT_PKS4_PfPimiiiif
		.amdhsa_group_segment_fixed_size 0
		.amdhsa_private_segment_fixed_size 0
		.amdhsa_kernarg_size 320
		.amdhsa_user_sgpr_count 6
		.amdhsa_user_sgpr_private_segment_buffer 1
		.amdhsa_user_sgpr_dispatch_ptr 0
		.amdhsa_user_sgpr_queue_ptr 0
		.amdhsa_user_sgpr_kernarg_segment_ptr 1
		.amdhsa_user_sgpr_dispatch_id 0
		.amdhsa_user_sgpr_flat_scratch_init 0
		.amdhsa_user_sgpr_kernarg_preload_length 0
		.amdhsa_user_sgpr_kernarg_preload_offset 0
		.amdhsa_user_sgpr_private_segment_size 0
		.amdhsa_uses_dynamic_stack 0
		.amdhsa_system_sgpr_private_segment_wavefront_offset 0
		.amdhsa_system_sgpr_workgroup_id_x 1
		.amdhsa_system_sgpr_workgroup_id_y 0
		.amdhsa_system_sgpr_workgroup_id_z 0
		.amdhsa_system_sgpr_workgroup_info 0
		.amdhsa_system_vgpr_workitem_id 0
		.amdhsa_next_free_vgpr 14
		.amdhsa_next_free_sgpr 24
		.amdhsa_accum_offset 16
		.amdhsa_reserve_vcc 1
		.amdhsa_reserve_flat_scratch 0
		.amdhsa_float_round_mode_32 0
		.amdhsa_float_round_mode_16_64 0
		.amdhsa_float_denorm_mode_32 3
		.amdhsa_float_denorm_mode_16_64 3
		.amdhsa_dx10_clamp 1
		.amdhsa_ieee_mode 1
		.amdhsa_fp16_overflow 0
		.amdhsa_tg_split 0
		.amdhsa_exception_fp_ieee_invalid_op 0
		.amdhsa_exception_fp_denorm_src 0
		.amdhsa_exception_fp_ieee_div_zero 0
		.amdhsa_exception_fp_ieee_overflow 0
		.amdhsa_exception_fp_ieee_underflow 0
		.amdhsa_exception_fp_ieee_inexact 0
		.amdhsa_exception_int_div_zero 0
	.end_amdhsa_kernel
	.section	.text._ZN5aiter19grouped_topk_kernelIN3c108BFloat16EDv2_fLi2ELb0ELb0ELb1EEEvPT_PKS4_PfPimiiiif,"axG",@progbits,_ZN5aiter19grouped_topk_kernelIN3c108BFloat16EDv2_fLi2ELb0ELb0ELb1EEEvPT_PKS4_PfPimiiiif,comdat
.Lfunc_end165:
	.size	_ZN5aiter19grouped_topk_kernelIN3c108BFloat16EDv2_fLi2ELb0ELb0ELb1EEEvPT_PKS4_PfPimiiiif, .Lfunc_end165-_ZN5aiter19grouped_topk_kernelIN3c108BFloat16EDv2_fLi2ELb0ELb0ELb1EEEvPT_PKS4_PfPimiiiif
                                        ; -- End function
	.section	.AMDGPU.csdata,"",@progbits
; Kernel info:
; codeLenInByte = 2352
; NumSgprs: 28
; NumVgprs: 14
; NumAgprs: 0
; TotalNumVgprs: 14
; ScratchSize: 0
; MemoryBound: 0
; FloatMode: 240
; IeeeMode: 1
; LDSByteSize: 0 bytes/workgroup (compile time only)
; SGPRBlocks: 3
; VGPRBlocks: 1
; NumSGPRsForWavesPerEU: 28
; NumVGPRsForWavesPerEU: 14
; AccumOffset: 16
; Occupancy: 8
; WaveLimiterHint : 0
; COMPUTE_PGM_RSRC2:SCRATCH_EN: 0
; COMPUTE_PGM_RSRC2:USER_SGPR: 6
; COMPUTE_PGM_RSRC2:TRAP_HANDLER: 0
; COMPUTE_PGM_RSRC2:TGID_X_EN: 1
; COMPUTE_PGM_RSRC2:TGID_Y_EN: 0
; COMPUTE_PGM_RSRC2:TGID_Z_EN: 0
; COMPUTE_PGM_RSRC2:TIDIG_COMP_CNT: 0
; COMPUTE_PGM_RSRC3_GFX90A:ACCUM_OFFSET: 3
; COMPUTE_PGM_RSRC3_GFX90A:TG_SPLIT: 0
	.section	.text._ZN5aiter19grouped_topk_kernelIfDv2_fLi2ELb0ELb0ELb0EEEvPT_PKS2_PfPimiiiif,"axG",@progbits,_ZN5aiter19grouped_topk_kernelIfDv2_fLi2ELb0ELb0ELb0EEEvPT_PKS2_PfPimiiiif,comdat
	.protected	_ZN5aiter19grouped_topk_kernelIfDv2_fLi2ELb0ELb0ELb0EEEvPT_PKS2_PfPimiiiif ; -- Begin function _ZN5aiter19grouped_topk_kernelIfDv2_fLi2ELb0ELb0ELb0EEEvPT_PKS2_PfPimiiiif
	.globl	_ZN5aiter19grouped_topk_kernelIfDv2_fLi2ELb0ELb0ELb0EEEvPT_PKS2_PfPimiiiif
	.p2align	8
	.type	_ZN5aiter19grouped_topk_kernelIfDv2_fLi2ELb0ELb0ELb0EEEvPT_PKS2_PfPimiiiif,@function
_ZN5aiter19grouped_topk_kernelIfDv2_fLi2ELb0ELb0ELb0EEEvPT_PKS2_PfPimiiiif: ; @_ZN5aiter19grouped_topk_kernelIfDv2_fLi2ELb0ELb0ELb0EEEvPT_PKS2_PfPimiiiif
; %bb.0:
	s_load_dwordx4 s[8:11], s[4:5], 0x28
	s_load_dwordx4 s[12:15], s[4:5], 0x10
	s_waitcnt lgkmcnt(0)
	s_lshr_b32 s0, s8, 31
	s_add_i32 s0, s8, s0
	s_ashr_i32 s7, s0, 1
	v_cmp_gt_i32_e64 s[0:1], s7, v0
	s_and_saveexec_b64 s[16:17], s[0:1]
	s_cbranch_execz .LBB166_3
; %bb.1:
	s_load_dword s11, s[4:5], 0x4c
	s_load_dwordx2 s[2:3], s[4:5], 0x0
	s_mul_i32 s18, s6, s8
	s_ashr_i32 s19, s18, 31
	s_lshl_b64 s[18:19], s[18:19], 2
	s_waitcnt lgkmcnt(0)
	s_and_b32 s11, s11, 0xffff
	s_add_u32 s2, s2, s18
	v_lshlrev_b32_e32 v1, 3, v0
	s_addc_u32 s3, s3, s19
	s_mov_b32 s24, 0
	v_mov_b32_e32 v3, s3
	v_add_co_u32_e32 v2, vcc, s2, v1
	v_addc_co_u32_e32 v3, vcc, 0, v3, vcc
	s_lshl_b32 s20, s11, 3
	v_add_u32_e32 v1, 0, v1
	s_mov_b64 s[18:19], 0
	s_mov_b32 s21, 0xbfb8aa3b
	s_mov_b32 s22, 0x42ce8ed0
	;; [unrolled: 1-line block ×3, first 2 shown]
	v_mov_b32_e32 v4, 0x7f800000
	v_mov_b32_e32 v5, s24
	;; [unrolled: 1-line block ×3, first 2 shown]
.LBB166_2:                              ; =>This Inner Loop Header: Depth=1
	global_load_dwordx2 v[8:9], v[2:3], off
	v_add_co_u32_e32 v2, vcc, s20, v2
	v_add_u32_e32 v6, s11, v6
	v_addc_co_u32_e32 v3, vcc, v3, v5, vcc
	v_cmp_le_i32_e32 vcc, s7, v6
	s_or_b64 s[18:19], vcc, s[18:19]
	s_waitcnt vmcnt(0)
	v_mul_f32_e32 v7, 0xbfb8aa3b, v9
	v_mul_f32_e32 v10, 0xbfb8aa3b, v8
	v_rndne_f32_e32 v11, v7
	v_fma_f32 v12, v9, s21, -v7
	v_rndne_f32_e32 v13, v10
	v_fma_f32 v14, v8, s21, -v10
	v_sub_f32_e32 v7, v7, v11
	v_fmac_f32_e32 v12, 0xb2a5705f, v9
	v_sub_f32_e32 v10, v10, v13
	v_fmac_f32_e32 v14, 0xb2a5705f, v8
	v_add_f32_e32 v7, v7, v12
	v_add_f32_e32 v10, v10, v14
	v_cvt_i32_f32_e32 v11, v11
	v_cvt_i32_f32_e32 v13, v13
	v_exp_f32_e32 v7, v7
	v_exp_f32_e32 v10, v10
	v_cmp_nlt_f32_e32 vcc, s22, v8
	v_cmp_nlt_f32_e64 s[2:3], s22, v9
	v_ldexp_f32 v7, v7, v11
	v_ldexp_f32 v10, v10, v13
	v_cndmask_b32_e64 v7, 0, v7, s[2:3]
	v_cndmask_b32_e32 v10, 0, v10, vcc
	v_cmp_ngt_f32_e32 vcc, s23, v8
	v_cmp_ngt_f32_e64 s[2:3], s23, v9
	v_cndmask_b32_e64 v9, v4, v7, s[2:3]
	v_cndmask_b32_e32 v8, v4, v10, vcc
	v_pk_add_f32 v[8:9], v[8:9], 1.0 op_sel_hi:[1,0]
	v_div_scale_f32 v7, s[2:3], v9, v9, 1.0
	v_div_scale_f32 v11, s[2:3], v8, v8, 1.0
	v_rcp_f32_e32 v13, v7
	v_rcp_f32_e32 v14, v11
	v_div_scale_f32 v10, vcc, 1.0, v9, 1.0
	v_fma_f32 v15, -v7, v13, 1.0
	v_fma_f32 v16, -v11, v14, 1.0
	v_fmac_f32_e32 v13, v15, v13
	v_div_scale_f32 v12, s[2:3], 1.0, v8, 1.0
	v_fmac_f32_e32 v14, v16, v14
	v_mul_f32_e32 v15, v10, v13
	v_mul_f32_e32 v16, v12, v14
	v_fma_f32 v17, -v7, v15, v10
	v_fma_f32 v18, -v11, v16, v12
	v_fmac_f32_e32 v15, v17, v13
	v_fmac_f32_e32 v16, v18, v14
	v_fma_f32 v7, -v7, v15, v10
	v_fma_f32 v10, -v11, v16, v12
	v_div_fmas_f32 v7, v7, v13, v15
	s_mov_b64 vcc, s[2:3]
	v_div_fixup_f32 v9, v7, v9, 1.0
	v_div_fmas_f32 v7, v10, v14, v16
	v_div_fixup_f32 v8, v7, v8, 1.0
	ds_write_b64 v1, v[8:9]
	v_add_u32_e32 v1, s20, v1
	s_andn2_b64 exec, exec, s[18:19]
	s_cbranch_execnz .LBB166_2
.LBB166_3:
	s_or_b64 exec, exec, s[16:17]
	s_lshl_b32 s2, s8, 2
	s_add_i32 s22, s2, 0
	v_cmp_gt_u32_e32 vcc, 2, v0
	s_waitcnt lgkmcnt(0)
	s_barrier
	s_and_saveexec_b64 s[16:17], vcc
	s_cbranch_execz .LBB166_10
; %bb.4:
	s_load_dword s2, s[4:5], 0x4c
	v_mul_lo_u32 v1, v0, s7
	v_lshl_add_u32 v1, v1, 2, 0
	s_mov_b64 s[18:19], 0
	s_waitcnt lgkmcnt(0)
	s_and_b32 s11, s2, 0xffff
	s_cmp_gt_i32 s8, 1
	s_cselect_b64 s[2:3], -1, 0
	s_mul_i32 s8, s7, s11
	v_cndmask_b32_e64 v2, 0, 1, s[2:3]
	s_lshl_b32 s8, s8, 2
	v_cmp_ne_u32_e64 s[2:3], 1, v2
	v_mov_b32_e32 v2, v0
	s_branch .LBB166_6
.LBB166_5:                              ;   in Loop: Header=BB166_6 Depth=1
	v_lshl_add_u32 v4, v2, 2, s22
	v_add_u32_e32 v2, s11, v2
	v_cmp_lt_u32_e32 vcc, 1, v2
	s_or_b64 s[18:19], vcc, s[18:19]
	v_add_u32_e32 v1, s8, v1
	ds_write_b32 v4, v3
	s_andn2_b64 exec, exec, s[18:19]
	s_cbranch_execz .LBB166_10
.LBB166_6:                              ; =>This Loop Header: Depth=1
                                        ;     Child Loop BB166_8 Depth 2
	s_and_b64 vcc, exec, s[2:3]
	v_mov_b32_e32 v3, 0xff800000
	s_cbranch_vccnz .LBB166_5
; %bb.7:                                ;   in Loop: Header=BB166_6 Depth=1
	v_mul_lo_u32 v4, v2, s7
	v_add_u32_e32 v5, s7, v4
	s_mov_b64 s[20:21], 0
	v_mov_b32_e32 v3, 0xff800000
	v_mov_b32_e32 v6, v1
.LBB166_8:                              ;   Parent Loop BB166_6 Depth=1
                                        ; =>  This Inner Loop Header: Depth=2
	ds_read_b32 v7, v6
	v_add_u32_e32 v4, 1, v4
	v_cmp_ge_i32_e32 vcc, v4, v5
	s_or_b64 s[20:21], vcc, s[20:21]
	v_add_u32_e32 v6, 4, v6
	s_waitcnt lgkmcnt(0)
	v_cmp_gt_f32_e32 vcc, v7, v3
	v_cndmask_b32_e32 v3, v3, v7, vcc
	s_andn2_b64 exec, exec, s[20:21]
	s_cbranch_execnz .LBB166_8
; %bb.9:                                ;   in Loop: Header=BB166_6 Depth=1
	s_or_b64 exec, exec, s[20:21]
	s_branch .LBB166_5
.LBB166_10:
	s_or_b64 exec, exec, s[16:17]
	s_cmp_lt_i32 s10, 1
	s_waitcnt lgkmcnt(0)
	s_barrier
	s_cbranch_scc1 .LBB166_13
; %bb.11:
	v_mov_b32_e32 v1, s22
	s_mov_b32 s2, 0xff800000
	v_mov_b32_e32 v2, 0xff800000
.LBB166_12:                             ; =>This Inner Loop Header: Depth=1
	ds_read2_b32 v[4:5], v1 offset1:1
	s_add_i32 s10, s10, -1
	s_cmp_lg_u32 s10, 0
	s_waitcnt lgkmcnt(0)
	v_cmp_nlg_f32_e32 vcc, s2, v4
	v_cndmask_b32_e64 v3, 0, 1, vcc
	v_cmp_lg_f32_e32 vcc, s2, v4
	v_cndmask_b32_e32 v4, v2, v4, vcc
	v_lshlrev_b32_e32 v3, 1, v3
	v_cmp_ngt_f32_e32 vcc, v5, v4
	v_cndmask_b32_e32 v3, 1, v3, vcc
	v_lshlrev_b32_e32 v3, 2, v3
	v_add_u32_e32 v3, s22, v3
	ds_write_b32 v3, v2
	s_cbranch_scc1 .LBB166_12
.LBB166_13:
	v_lshlrev_b32_e32 v1, 1, v0
	v_lshl_add_u32 v4, v0, 3, 0
	s_and_saveexec_b64 s[2:3], s[0:1]
	s_cbranch_execz .LBB166_18
; %bb.14:
	s_abs_i32 s8, s7
	v_cvt_f32_u32_e32 v2, s8
	s_load_dword s16, s[4:5], 0x4c
	s_sub_i32 s17, 0, s8
	s_ashr_i32 s18, s7, 31
	v_rcp_iflag_f32_e32 v2, v2
	v_lshlrev_b32_e32 v5, 1, v0
	s_waitcnt lgkmcnt(0)
	s_and_b32 s19, s16, 0xffff
	v_lshl_add_u32 v6, v0, 3, 0
	v_mul_f32_e32 v2, 0x4f7ffffe, v2
	v_cvt_u32_f32_e32 v2, v2
	s_mov_b64 s[10:11], 0
	s_lshl_b32 s20, s19, 1
	s_lshl_b32 s21, s19, 3
	v_mul_lo_u32 v3, s17, v2
	v_mul_hi_u32 v3, v2, v3
	v_add_u32_e32 v7, v2, v3
	s_mov_b32 s23, 0xff800000
	v_mov_b32_e32 v2, 0xff800000
	v_mov_b32_e32 v8, v0
	s_branch .LBB166_16
.LBB166_15:                             ;   in Loop: Header=BB166_16 Depth=1
	s_or_b64 exec, exec, s[16:17]
	v_add_u32_e32 v8, s19, v8
	v_cmp_le_i32_e32 vcc, s7, v8
	v_add_u32_e32 v5, s20, v5
	s_or_b64 s[10:11], vcc, s[10:11]
	v_add_u32_e32 v6, s21, v6
	s_andn2_b64 exec, exec, s[10:11]
	s_cbranch_execz .LBB166_18
.LBB166_16:                             ; =>This Inner Loop Header: Depth=1
	v_mul_hi_u32 v3, v5, v7
	v_mul_lo_u32 v9, v3, s8
	v_sub_u32_e32 v9, v5, v9
	v_add_u32_e32 v10, 1, v3
	v_cmp_le_u32_e32 vcc, s8, v9
	v_cndmask_b32_e32 v3, v3, v10, vcc
	v_subrev_u32_e32 v10, s8, v9
	v_cndmask_b32_e32 v9, v9, v10, vcc
	v_add_u32_e32 v10, 1, v3
	v_cmp_le_u32_e32 vcc, s8, v9
	v_cndmask_b32_e32 v3, v3, v10, vcc
	v_xor_b32_e32 v3, s18, v3
	v_subrev_u32_e32 v3, s18, v3
	v_lshl_add_u32 v3, v3, 2, s22
	ds_read_b32 v3, v3
	s_waitcnt lgkmcnt(0)
	v_cmp_neq_f32_e32 vcc, s23, v3
	s_and_saveexec_b64 s[16:17], vcc
	s_cbranch_execz .LBB166_15
; %bb.17:                               ;   in Loop: Header=BB166_16 Depth=1
	v_mov_b32_e32 v3, v2
	ds_write_b64 v6, v[2:3]
	s_branch .LBB166_15
.LBB166_18:
	s_or_b64 exec, exec, s[2:3]
	s_cmp_lt_i32 s9, 1
	s_waitcnt lgkmcnt(0)
	s_barrier
	s_cbranch_scc1 .LBB166_25
; %bb.19:
	s_add_u32 s2, s4, 64
	s_addc_u32 s3, s5, 0
	s_mov_b32 s8, 0
	v_mov_b32_e32 v5, 0xff800000
                                        ; implicit-def: $vgpr3
                                        ; implicit-def: $vgpr2
	s_branch .LBB166_21
.LBB166_20:                             ;   in Loop: Header=BB166_21 Depth=1
	s_or_b64 exec, exec, s[10:11]
	v_mov_b32_dpp v9, v7 quad_perm:[1,0,3,2] row_mask:0xf bank_mask:0xf
	v_cmp_lt_f32_e32 vcc, v7, v9
	v_cndmask_b32_e32 v7, v7, v9, vcc
	v_mov_b32_dpp v8, v6 quad_perm:[1,0,3,2] row_mask:0xf bank_mask:0xf
	v_cndmask_b32_e32 v6, v6, v8, vcc
	v_mov_b32_dpp v9, v7 quad_perm:[2,3,0,1] row_mask:0xf bank_mask:0xf
	v_cmp_gt_f32_e32 vcc, v9, v7
	v_cndmask_b32_e32 v7, v7, v9, vcc
	v_mov_b32_dpp v8, v6 quad_perm:[2,3,0,1] row_mask:0xf bank_mask:0xf
	v_cndmask_b32_e32 v6, v6, v8, vcc
	v_mov_b32_dpp v9, v7 row_half_mirror row_mask:0xf bank_mask:0xf
	v_cmp_gt_f32_e32 vcc, v9, v7
	v_cndmask_b32_e32 v7, v7, v9, vcc
	v_mov_b32_dpp v8, v6 row_half_mirror row_mask:0xf bank_mask:0xf
	v_cndmask_b32_e32 v6, v6, v8, vcc
	v_mov_b32_dpp v9, v7 row_mirror row_mask:0xf bank_mask:0xf
	v_cmp_gt_f32_e32 vcc, v9, v7
	v_cndmask_b32_e32 v7, v7, v9, vcc
	v_mov_b32_dpp v8, v6 row_mirror row_mask:0xf bank_mask:0xf
	v_cndmask_b32_e32 v6, v6, v8, vcc
	v_mov_b32_dpp v9, v7 row_bcast:15 row_mask:0xf bank_mask:0xf
	v_cmp_gt_f32_e32 vcc, v9, v7
	v_mov_b32_dpp v8, v6 row_bcast:15 row_mask:0xf bank_mask:0xf
	v_cndmask_b32_e32 v7, v7, v9, vcc
	v_cndmask_b32_e32 v6, v6, v8, vcc
	s_nop 0
	v_mov_b32_dpp v9, v7 row_bcast:31 row_mask:0xf bank_mask:0xf
	v_mov_b32_dpp v8, v6 row_bcast:31 row_mask:0xf bank_mask:0xf
	v_cmp_gt_f32_e32 vcc, v9, v7
	v_cndmask_b32_e32 v6, v6, v8, vcc
	v_readlane_b32 s11, v6, 63
	s_lshl_b32 s16, s11, 2
	s_add_i32 s16, s16, 0
	v_cndmask_b32_e32 v7, v7, v9, vcc
	v_mov_b32_e32 v6, s16
	v_readlane_b32 s10, v7, 63
	ds_write_b32 v6, v5
	v_mov_b32_e32 v6, s11
	v_cmp_eq_u32_e32 vcc, s8, v0
	v_cndmask_b32_e32 v2, v2, v6, vcc
	v_mov_b32_e32 v6, s10
	s_add_i32 s8, s8, 1
	s_cmp_eq_u32 s8, s9
	v_cndmask_b32_e32 v3, v3, v6, vcc
	s_cbranch_scc1 .LBB166_26
.LBB166_21:                             ; =>This Loop Header: Depth=1
                                        ;     Child Loop BB166_23 Depth 2
	v_mov_b32_e32 v6, s8
	v_mov_b32_e32 v7, 0xff800000
	s_and_saveexec_b64 s[10:11], s[0:1]
	s_cbranch_execz .LBB166_20
; %bb.22:                               ;   in Loop: Header=BB166_21 Depth=1
	s_load_dword s18, s[2:3], 0xc
	s_mov_b64 s[16:17], 0
	v_mov_b32_e32 v6, s8
	v_mov_b32_e32 v7, 0xff800000
	;; [unrolled: 1-line block ×3, first 2 shown]
	s_waitcnt lgkmcnt(0)
	s_and_b32 s18, s18, 0xffff
	s_lshl_b32 s19, s18, 1
	s_lshl_b32 s20, s18, 3
	v_mov_b32_e32 v9, v1
	v_mov_b32_e32 v10, v0
.LBB166_23:                             ;   Parent Loop BB166_21 Depth=1
                                        ; =>  This Inner Loop Header: Depth=2
	ds_read_b64 v[12:13], v8
	v_add_u32_e32 v10, s18, v10
	v_cmp_le_i32_e32 vcc, s7, v10
	s_or_b64 s[16:17], vcc, s[16:17]
	v_add_u32_e32 v11, 1, v9
	s_waitcnt lgkmcnt(0)
	v_cmp_gt_f32_e32 vcc, v12, v7
	v_cndmask_b32_e32 v7, v7, v12, vcc
	v_cndmask_b32_e32 v6, v6, v9, vcc
	v_cmp_gt_f32_e32 vcc, v13, v7
	v_add_u32_e32 v8, s20, v8
	v_cndmask_b32_e32 v7, v7, v13, vcc
	v_add_u32_e32 v9, s19, v9
	v_cndmask_b32_e32 v6, v6, v11, vcc
	s_andn2_b64 exec, exec, s[16:17]
	s_cbranch_execnz .LBB166_23
; %bb.24:                               ;   in Loop: Header=BB166_21 Depth=1
	s_or_b64 exec, exec, s[16:17]
	s_branch .LBB166_20
.LBB166_25:
                                        ; implicit-def: $vgpr3
                                        ; implicit-def: $vgpr2
.LBB166_26:
	v_cmp_gt_i32_e32 vcc, s9, v0
	s_and_saveexec_b64 s[0:1], vcc
	s_cbranch_execz .LBB166_29
; %bb.27:
	s_load_dword s2, s[4:5], 0x38
	s_load_dwordx2 s[0:1], s[4:5], 0x20
	s_ashr_i32 s3, s6, 31
	s_load_dword s4, s[4:5], 0x4c
	v_mov_b32_e32 v4, s13
	s_waitcnt lgkmcnt(0)
	v_mul_f32_e32 v1, s2, v3
	s_mul_i32 s1, s6, s1
	s_mul_hi_u32 s2, s6, s0
	s_add_i32 s1, s2, s1
	s_mul_i32 s3, s3, s0
	s_add_i32 s5, s1, s3
	s_mul_i32 s2, s6, s0
	s_and_b32 s3, s4, 0xffff
	s_mov_b64 s[0:1], 0
	v_mov_b32_e32 v3, s5
	v_mov_b32_e32 v5, s15
.LBB166_28:                             ; =>This Inner Loop Header: Depth=1
	v_ashrrev_i32_e32 v7, 31, v0
	v_add_co_u32_e32 v6, vcc, s2, v0
	v_addc_co_u32_e32 v7, vcc, v3, v7, vcc
	v_add_u32_e32 v0, s3, v0
	v_cmp_le_i32_e32 vcc, s9, v0
	v_lshlrev_b64 v[6:7], 2, v[6:7]
	s_or_b64 s[0:1], vcc, s[0:1]
	v_add_co_u32_e32 v8, vcc, s12, v6
	v_addc_co_u32_e32 v9, vcc, v4, v7, vcc
	v_add_co_u32_e32 v6, vcc, s14, v6
	v_addc_co_u32_e32 v7, vcc, v5, v7, vcc
	global_store_dword v[8:9], v1, off
	global_store_dword v[6:7], v2, off
	s_andn2_b64 exec, exec, s[0:1]
	s_cbranch_execnz .LBB166_28
.LBB166_29:
	s_endpgm
	.section	.rodata,"a",@progbits
	.p2align	6, 0x0
	.amdhsa_kernel _ZN5aiter19grouped_topk_kernelIfDv2_fLi2ELb0ELb0ELb0EEEvPT_PKS2_PfPimiiiif
		.amdhsa_group_segment_fixed_size 0
		.amdhsa_private_segment_fixed_size 0
		.amdhsa_kernarg_size 320
		.amdhsa_user_sgpr_count 6
		.amdhsa_user_sgpr_private_segment_buffer 1
		.amdhsa_user_sgpr_dispatch_ptr 0
		.amdhsa_user_sgpr_queue_ptr 0
		.amdhsa_user_sgpr_kernarg_segment_ptr 1
		.amdhsa_user_sgpr_dispatch_id 0
		.amdhsa_user_sgpr_flat_scratch_init 0
		.amdhsa_user_sgpr_kernarg_preload_length 0
		.amdhsa_user_sgpr_kernarg_preload_offset 0
		.amdhsa_user_sgpr_private_segment_size 0
		.amdhsa_uses_dynamic_stack 0
		.amdhsa_system_sgpr_private_segment_wavefront_offset 0
		.amdhsa_system_sgpr_workgroup_id_x 1
		.amdhsa_system_sgpr_workgroup_id_y 0
		.amdhsa_system_sgpr_workgroup_id_z 0
		.amdhsa_system_sgpr_workgroup_info 0
		.amdhsa_system_vgpr_workitem_id 0
		.amdhsa_next_free_vgpr 19
		.amdhsa_next_free_sgpr 25
		.amdhsa_accum_offset 20
		.amdhsa_reserve_vcc 1
		.amdhsa_reserve_flat_scratch 0
		.amdhsa_float_round_mode_32 0
		.amdhsa_float_round_mode_16_64 0
		.amdhsa_float_denorm_mode_32 3
		.amdhsa_float_denorm_mode_16_64 3
		.amdhsa_dx10_clamp 1
		.amdhsa_ieee_mode 1
		.amdhsa_fp16_overflow 0
		.amdhsa_tg_split 0
		.amdhsa_exception_fp_ieee_invalid_op 0
		.amdhsa_exception_fp_denorm_src 0
		.amdhsa_exception_fp_ieee_div_zero 0
		.amdhsa_exception_fp_ieee_overflow 0
		.amdhsa_exception_fp_ieee_underflow 0
		.amdhsa_exception_fp_ieee_inexact 0
		.amdhsa_exception_int_div_zero 0
	.end_amdhsa_kernel
	.section	.text._ZN5aiter19grouped_topk_kernelIfDv2_fLi2ELb0ELb0ELb0EEEvPT_PKS2_PfPimiiiif,"axG",@progbits,_ZN5aiter19grouped_topk_kernelIfDv2_fLi2ELb0ELb0ELb0EEEvPT_PKS2_PfPimiiiif,comdat
.Lfunc_end166:
	.size	_ZN5aiter19grouped_topk_kernelIfDv2_fLi2ELb0ELb0ELb0EEEvPT_PKS2_PfPimiiiif, .Lfunc_end166-_ZN5aiter19grouped_topk_kernelIfDv2_fLi2ELb0ELb0ELb0EEEvPT_PKS2_PfPimiiiif
                                        ; -- End function
	.section	.AMDGPU.csdata,"",@progbits
; Kernel info:
; codeLenInByte = 1780
; NumSgprs: 29
; NumVgprs: 19
; NumAgprs: 0
; TotalNumVgprs: 19
; ScratchSize: 0
; MemoryBound: 0
; FloatMode: 240
; IeeeMode: 1
; LDSByteSize: 0 bytes/workgroup (compile time only)
; SGPRBlocks: 3
; VGPRBlocks: 2
; NumSGPRsForWavesPerEU: 29
; NumVGPRsForWavesPerEU: 19
; AccumOffset: 20
; Occupancy: 8
; WaveLimiterHint : 0
; COMPUTE_PGM_RSRC2:SCRATCH_EN: 0
; COMPUTE_PGM_RSRC2:USER_SGPR: 6
; COMPUTE_PGM_RSRC2:TRAP_HANDLER: 0
; COMPUTE_PGM_RSRC2:TGID_X_EN: 1
; COMPUTE_PGM_RSRC2:TGID_Y_EN: 0
; COMPUTE_PGM_RSRC2:TGID_Z_EN: 0
; COMPUTE_PGM_RSRC2:TIDIG_COMP_CNT: 0
; COMPUTE_PGM_RSRC3_GFX90A:ACCUM_OFFSET: 4
; COMPUTE_PGM_RSRC3_GFX90A:TG_SPLIT: 0
	.section	.text._ZN5aiter19grouped_topk_kernelIN3c104HalfEDv2_fLi2ELb0ELb0ELb0EEEvPT_PKS4_PfPimiiiif,"axG",@progbits,_ZN5aiter19grouped_topk_kernelIN3c104HalfEDv2_fLi2ELb0ELb0ELb0EEEvPT_PKS4_PfPimiiiif,comdat
	.protected	_ZN5aiter19grouped_topk_kernelIN3c104HalfEDv2_fLi2ELb0ELb0ELb0EEEvPT_PKS4_PfPimiiiif ; -- Begin function _ZN5aiter19grouped_topk_kernelIN3c104HalfEDv2_fLi2ELb0ELb0ELb0EEEvPT_PKS4_PfPimiiiif
	.globl	_ZN5aiter19grouped_topk_kernelIN3c104HalfEDv2_fLi2ELb0ELb0ELb0EEEvPT_PKS4_PfPimiiiif
	.p2align	8
	.type	_ZN5aiter19grouped_topk_kernelIN3c104HalfEDv2_fLi2ELb0ELb0ELb0EEEvPT_PKS4_PfPimiiiif,@function
_ZN5aiter19grouped_topk_kernelIN3c104HalfEDv2_fLi2ELb0ELb0ELb0EEEvPT_PKS4_PfPimiiiif: ; @_ZN5aiter19grouped_topk_kernelIN3c104HalfEDv2_fLi2ELb0ELb0ELb0EEEvPT_PKS4_PfPimiiiif
; %bb.0:
	s_load_dwordx4 s[8:11], s[4:5], 0x28
	s_load_dwordx4 s[12:15], s[4:5], 0x10
	v_lshl_add_u32 v1, v0, 3, 0
	s_waitcnt lgkmcnt(0)
	s_lshr_b32 s0, s8, 31
	s_add_i32 s0, s8, s0
	s_ashr_i32 s7, s0, 1
	v_cmp_gt_i32_e64 s[0:1], s7, v0
	s_and_saveexec_b64 s[16:17], s[0:1]
	s_cbranch_execz .LBB167_3
; %bb.1:
	s_load_dword s11, s[4:5], 0x4c
	s_load_dwordx2 s[2:3], s[4:5], 0x0
	s_mul_i32 s18, s6, s8
	s_ashr_i32 s19, s18, 31
	s_lshl_b64 s[18:19], s[18:19], 1
	s_waitcnt lgkmcnt(0)
	s_and_b32 s11, s11, 0xffff
	s_add_u32 s2, s2, s18
	v_lshlrev_b32_e32 v2, 2, v0
	s_addc_u32 s3, s3, s19
	s_mov_b32 s26, 0
	v_mov_b32_e32 v3, s3
	v_add_co_u32_e32 v2, vcc, s2, v2
	v_addc_co_u32_e32 v3, vcc, 0, v3, vcc
	s_lshl_b32 s20, s11, 2
	v_lshl_add_u32 v4, v0, 3, 0
	s_lshl_b32 s21, s11, 3
	s_mov_b64 s[18:19], 0
	s_mov_b32 s22, 0x3fb8aa3b
	s_mov_b32 s23, 0x32a5705f
	;; [unrolled: 1-line block ×4, first 2 shown]
	v_mov_b32_e32 v5, 0x7f800000
	v_mov_b32_e32 v6, s26
	;; [unrolled: 1-line block ×3, first 2 shown]
.LBB167_2:                              ; =>This Inner Loop Header: Depth=1
	global_load_dword v8, v[2:3], off
	v_add_co_u32_e32 v2, vcc, s20, v2
	v_add_u32_e32 v7, s11, v7
	v_addc_co_u32_e32 v3, vcc, v3, v6, vcc
	v_cmp_le_i32_e32 vcc, s7, v7
	s_or_b64 s[18:19], vcc, s[18:19]
	s_waitcnt vmcnt(0)
	v_cvt_f32_f16_e64 v9, -v8
	v_cvt_f32_f16_sdwa v10, -v8 dst_sel:DWORD dst_unused:UNUSED_PAD src0_sel:WORD_1
	v_mul_f32_e32 v11, 0x3fb8aa3b, v9
	v_mul_f32_e32 v12, 0x3fb8aa3b, v10
	v_rndne_f32_e32 v13, v11
	v_fma_mix_f32 v14, -v8, s22, -v11 op_sel_hi:[1,0,0]
	v_rndne_f32_e32 v15, v12
	v_fma_mix_f32 v16, -v8, s22, -v12 op_sel:[1,0,0] op_sel_hi:[1,0,0]
	v_sub_f32_e32 v11, v11, v13
	v_fma_mix_f32 v14, -v8, s23, v14 op_sel_hi:[1,0,0]
	v_sub_f32_e32 v12, v12, v15
	v_fma_mix_f32 v8, -v8, s23, v16 op_sel:[1,0,0] op_sel_hi:[1,0,0]
	v_add_f32_e32 v11, v11, v14
	v_add_f32_e32 v8, v12, v8
	v_cvt_i32_f32_e32 v13, v13
	v_cvt_i32_f32_e32 v15, v15
	v_exp_f32_e32 v11, v11
	v_exp_f32_e32 v8, v8
	v_cmp_ngt_f32_e32 vcc, s24, v10
	v_cmp_ngt_f32_e64 s[2:3], s24, v9
	v_ldexp_f32 v11, v11, v13
	v_ldexp_f32 v8, v8, v15
	v_cndmask_b32_e64 v11, 0, v11, s[2:3]
	v_cndmask_b32_e32 v12, 0, v8, vcc
	v_cmp_nlt_f32_e32 vcc, s25, v10
	v_cmp_nlt_f32_e64 s[2:3], s25, v9
	v_cndmask_b32_e64 v8, v5, v11, s[2:3]
	v_cndmask_b32_e32 v9, v5, v12, vcc
	v_pk_add_f32 v[8:9], v[8:9], 1.0 op_sel_hi:[1,0]
	v_div_scale_f32 v10, s[2:3], v9, v9, 1.0
	v_div_scale_f32 v12, s[2:3], v8, v8, 1.0
	v_rcp_f32_e32 v14, v10
	v_rcp_f32_e32 v15, v12
	v_div_scale_f32 v11, vcc, 1.0, v9, 1.0
	v_fma_f32 v16, -v10, v14, 1.0
	v_fma_f32 v17, -v12, v15, 1.0
	v_fmac_f32_e32 v14, v16, v14
	v_div_scale_f32 v13, s[2:3], 1.0, v8, 1.0
	v_fmac_f32_e32 v15, v17, v15
	v_mul_f32_e32 v16, v11, v14
	v_mul_f32_e32 v17, v13, v15
	v_fma_f32 v18, -v10, v16, v11
	v_fma_f32 v19, -v12, v17, v13
	v_fmac_f32_e32 v16, v18, v14
	v_fmac_f32_e32 v17, v19, v15
	v_fma_f32 v10, -v10, v16, v11
	v_fma_f32 v11, -v12, v17, v13
	v_div_fmas_f32 v10, v10, v14, v16
	s_mov_b64 vcc, s[2:3]
	v_div_fixup_f32 v9, v10, v9, 1.0
	v_div_fmas_f32 v10, v11, v15, v17
	v_div_fixup_f32 v8, v10, v8, 1.0
	ds_write_b64 v4, v[8:9]
	v_add_u32_e32 v4, s21, v4
	s_andn2_b64 exec, exec, s[18:19]
	s_cbranch_execnz .LBB167_2
.LBB167_3:
	s_or_b64 exec, exec, s[16:17]
	s_lshl_b32 s2, s8, 2
	s_add_i32 s22, s2, 0
	v_cmp_gt_u32_e32 vcc, 2, v0
	s_waitcnt lgkmcnt(0)
	s_barrier
	s_and_saveexec_b64 s[16:17], vcc
	s_cbranch_execz .LBB167_10
; %bb.4:
	s_load_dword s2, s[4:5], 0x4c
	v_mul_lo_u32 v2, v0, s7
	v_lshl_add_u32 v2, v2, 2, 0
	s_mov_b64 s[18:19], 0
	s_waitcnt lgkmcnt(0)
	s_and_b32 s11, s2, 0xffff
	s_cmp_gt_i32 s8, 1
	s_cselect_b64 s[2:3], -1, 0
	s_mul_i32 s8, s7, s11
	v_cndmask_b32_e64 v3, 0, 1, s[2:3]
	s_lshl_b32 s8, s8, 2
	v_cmp_ne_u32_e64 s[2:3], 1, v3
	v_mov_b32_e32 v3, v0
	s_branch .LBB167_6
.LBB167_5:                              ;   in Loop: Header=BB167_6 Depth=1
	v_lshl_add_u32 v5, v3, 2, s22
	v_add_u32_e32 v3, s11, v3
	v_cmp_lt_u32_e32 vcc, 1, v3
	s_or_b64 s[18:19], vcc, s[18:19]
	v_add_u32_e32 v2, s8, v2
	ds_write_b32 v5, v4
	s_andn2_b64 exec, exec, s[18:19]
	s_cbranch_execz .LBB167_10
.LBB167_6:                              ; =>This Loop Header: Depth=1
                                        ;     Child Loop BB167_8 Depth 2
	s_and_b64 vcc, exec, s[2:3]
	v_mov_b32_e32 v4, 0xff800000
	s_cbranch_vccnz .LBB167_5
; %bb.7:                                ;   in Loop: Header=BB167_6 Depth=1
	v_mul_lo_u32 v5, v3, s7
	v_add_u32_e32 v6, s7, v5
	s_mov_b64 s[20:21], 0
	v_mov_b32_e32 v4, 0xff800000
	v_mov_b32_e32 v7, v2
.LBB167_8:                              ;   Parent Loop BB167_6 Depth=1
                                        ; =>  This Inner Loop Header: Depth=2
	ds_read_b32 v8, v7
	v_add_u32_e32 v5, 1, v5
	v_cmp_ge_i32_e32 vcc, v5, v6
	s_or_b64 s[20:21], vcc, s[20:21]
	v_add_u32_e32 v7, 4, v7
	s_waitcnt lgkmcnt(0)
	v_cmp_gt_f32_e32 vcc, v8, v4
	v_cndmask_b32_e32 v4, v4, v8, vcc
	s_andn2_b64 exec, exec, s[20:21]
	s_cbranch_execnz .LBB167_8
; %bb.9:                                ;   in Loop: Header=BB167_6 Depth=1
	s_or_b64 exec, exec, s[20:21]
	s_branch .LBB167_5
.LBB167_10:
	s_or_b64 exec, exec, s[16:17]
	s_cmp_lt_i32 s10, 1
	s_waitcnt lgkmcnt(0)
	s_barrier
	s_cbranch_scc1 .LBB167_13
; %bb.11:
	v_mov_b32_e32 v2, s22
	s_mov_b32 s2, 0xff800000
	v_mov_b32_e32 v3, 0xff800000
.LBB167_12:                             ; =>This Inner Loop Header: Depth=1
	ds_read2_b32 v[4:5], v2 offset1:1
	s_add_i32 s10, s10, -1
	s_cmp_lg_u32 s10, 0
	s_waitcnt lgkmcnt(0)
	v_cmp_nlg_f32_e32 vcc, s2, v4
	v_cndmask_b32_e64 v6, 0, 1, vcc
	v_cmp_lg_f32_e32 vcc, s2, v4
	v_cndmask_b32_e32 v4, v3, v4, vcc
	v_lshlrev_b32_e32 v6, 1, v6
	v_cmp_ngt_f32_e32 vcc, v5, v4
	v_cndmask_b32_e32 v4, 1, v6, vcc
	v_lshlrev_b32_e32 v4, 2, v4
	v_add_u32_e32 v4, s22, v4
	ds_write_b32 v4, v3
	s_cbranch_scc1 .LBB167_12
.LBB167_13:
	v_lshlrev_b32_e32 v4, 1, v0
	s_and_saveexec_b64 s[2:3], s[0:1]
	s_cbranch_execz .LBB167_18
; %bb.14:
	s_abs_i32 s8, s7
	v_cvt_f32_u32_e32 v2, s8
	s_load_dword s16, s[4:5], 0x4c
	s_sub_i32 s17, 0, s8
	s_ashr_i32 s18, s7, 31
	v_rcp_iflag_f32_e32 v2, v2
	v_lshlrev_b32_e32 v5, 1, v0
	s_waitcnt lgkmcnt(0)
	s_and_b32 s19, s16, 0xffff
	v_lshl_add_u32 v6, v0, 3, 0
	v_mul_f32_e32 v2, 0x4f7ffffe, v2
	v_cvt_u32_f32_e32 v2, v2
	s_mov_b64 s[10:11], 0
	s_lshl_b32 s20, s19, 1
	s_lshl_b32 s21, s19, 3
	v_mul_lo_u32 v3, s17, v2
	v_mul_hi_u32 v3, v2, v3
	v_add_u32_e32 v7, v2, v3
	s_mov_b32 s23, 0xff800000
	v_mov_b32_e32 v2, 0xff800000
	v_mov_b32_e32 v8, v0
	s_branch .LBB167_16
.LBB167_15:                             ;   in Loop: Header=BB167_16 Depth=1
	s_or_b64 exec, exec, s[16:17]
	v_add_u32_e32 v8, s19, v8
	v_cmp_le_i32_e32 vcc, s7, v8
	v_add_u32_e32 v5, s20, v5
	s_or_b64 s[10:11], vcc, s[10:11]
	v_add_u32_e32 v6, s21, v6
	s_andn2_b64 exec, exec, s[10:11]
	s_cbranch_execz .LBB167_18
.LBB167_16:                             ; =>This Inner Loop Header: Depth=1
	v_mul_hi_u32 v3, v5, v7
	v_mul_lo_u32 v9, v3, s8
	v_sub_u32_e32 v9, v5, v9
	v_add_u32_e32 v10, 1, v3
	v_cmp_le_u32_e32 vcc, s8, v9
	v_cndmask_b32_e32 v3, v3, v10, vcc
	v_subrev_u32_e32 v10, s8, v9
	v_cndmask_b32_e32 v9, v9, v10, vcc
	v_add_u32_e32 v10, 1, v3
	v_cmp_le_u32_e32 vcc, s8, v9
	v_cndmask_b32_e32 v3, v3, v10, vcc
	v_xor_b32_e32 v3, s18, v3
	v_subrev_u32_e32 v3, s18, v3
	v_lshl_add_u32 v3, v3, 2, s22
	ds_read_b32 v3, v3
	s_waitcnt lgkmcnt(0)
	v_cmp_neq_f32_e32 vcc, s23, v3
	s_and_saveexec_b64 s[16:17], vcc
	s_cbranch_execz .LBB167_15
; %bb.17:                               ;   in Loop: Header=BB167_16 Depth=1
	v_mov_b32_e32 v3, v2
	ds_write_b64 v6, v[2:3]
	s_branch .LBB167_15
.LBB167_18:
	s_or_b64 exec, exec, s[2:3]
	s_cmp_lt_i32 s9, 1
	s_waitcnt lgkmcnt(0)
	s_barrier
	s_cbranch_scc1 .LBB167_25
; %bb.19:
	s_add_u32 s2, s4, 64
	s_addc_u32 s3, s5, 0
	s_mov_b32 s8, 0
	v_mov_b32_e32 v5, 0xff800000
                                        ; implicit-def: $vgpr3
                                        ; implicit-def: $vgpr2
	s_branch .LBB167_21
.LBB167_20:                             ;   in Loop: Header=BB167_21 Depth=1
	s_or_b64 exec, exec, s[10:11]
	v_mov_b32_dpp v9, v7 quad_perm:[1,0,3,2] row_mask:0xf bank_mask:0xf
	v_cmp_lt_f32_e32 vcc, v7, v9
	v_cndmask_b32_e32 v7, v7, v9, vcc
	v_mov_b32_dpp v8, v6 quad_perm:[1,0,3,2] row_mask:0xf bank_mask:0xf
	v_cndmask_b32_e32 v6, v6, v8, vcc
	v_mov_b32_dpp v9, v7 quad_perm:[2,3,0,1] row_mask:0xf bank_mask:0xf
	v_cmp_gt_f32_e32 vcc, v9, v7
	v_cndmask_b32_e32 v7, v7, v9, vcc
	v_mov_b32_dpp v8, v6 quad_perm:[2,3,0,1] row_mask:0xf bank_mask:0xf
	v_cndmask_b32_e32 v6, v6, v8, vcc
	v_mov_b32_dpp v9, v7 row_half_mirror row_mask:0xf bank_mask:0xf
	v_cmp_gt_f32_e32 vcc, v9, v7
	v_cndmask_b32_e32 v7, v7, v9, vcc
	v_mov_b32_dpp v8, v6 row_half_mirror row_mask:0xf bank_mask:0xf
	v_cndmask_b32_e32 v6, v6, v8, vcc
	v_mov_b32_dpp v9, v7 row_mirror row_mask:0xf bank_mask:0xf
	v_cmp_gt_f32_e32 vcc, v9, v7
	v_cndmask_b32_e32 v7, v7, v9, vcc
	v_mov_b32_dpp v8, v6 row_mirror row_mask:0xf bank_mask:0xf
	v_cndmask_b32_e32 v6, v6, v8, vcc
	v_mov_b32_dpp v9, v7 row_bcast:15 row_mask:0xf bank_mask:0xf
	v_cmp_gt_f32_e32 vcc, v9, v7
	v_mov_b32_dpp v8, v6 row_bcast:15 row_mask:0xf bank_mask:0xf
	v_cndmask_b32_e32 v7, v7, v9, vcc
	v_cndmask_b32_e32 v6, v6, v8, vcc
	s_nop 0
	v_mov_b32_dpp v9, v7 row_bcast:31 row_mask:0xf bank_mask:0xf
	v_mov_b32_dpp v8, v6 row_bcast:31 row_mask:0xf bank_mask:0xf
	v_cmp_gt_f32_e32 vcc, v9, v7
	v_cndmask_b32_e32 v6, v6, v8, vcc
	v_readlane_b32 s11, v6, 63
	s_lshl_b32 s16, s11, 2
	s_add_i32 s16, s16, 0
	v_cndmask_b32_e32 v7, v7, v9, vcc
	v_mov_b32_e32 v6, s16
	v_readlane_b32 s10, v7, 63
	ds_write_b32 v6, v5
	v_mov_b32_e32 v6, s11
	v_cmp_eq_u32_e32 vcc, s8, v0
	v_cndmask_b32_e32 v2, v2, v6, vcc
	v_mov_b32_e32 v6, s10
	s_add_i32 s8, s8, 1
	s_cmp_eq_u32 s8, s9
	v_cndmask_b32_e32 v3, v3, v6, vcc
	s_cbranch_scc1 .LBB167_26
.LBB167_21:                             ; =>This Loop Header: Depth=1
                                        ;     Child Loop BB167_23 Depth 2
	v_mov_b32_e32 v6, s8
	v_mov_b32_e32 v7, 0xff800000
	s_and_saveexec_b64 s[10:11], s[0:1]
	s_cbranch_execz .LBB167_20
; %bb.22:                               ;   in Loop: Header=BB167_21 Depth=1
	s_load_dword s18, s[2:3], 0xc
	s_mov_b64 s[16:17], 0
	v_mov_b32_e32 v6, s8
	v_mov_b32_e32 v7, 0xff800000
	;; [unrolled: 1-line block ×3, first 2 shown]
	s_waitcnt lgkmcnt(0)
	s_and_b32 s18, s18, 0xffff
	s_lshl_b32 s19, s18, 1
	s_lshl_b32 s20, s18, 3
	v_mov_b32_e32 v9, v4
	v_mov_b32_e32 v10, v0
.LBB167_23:                             ;   Parent Loop BB167_21 Depth=1
                                        ; =>  This Inner Loop Header: Depth=2
	ds_read_b64 v[12:13], v8
	v_add_u32_e32 v10, s18, v10
	v_cmp_le_i32_e32 vcc, s7, v10
	s_or_b64 s[16:17], vcc, s[16:17]
	v_add_u32_e32 v11, 1, v9
	s_waitcnt lgkmcnt(0)
	v_cmp_gt_f32_e32 vcc, v12, v7
	v_cndmask_b32_e32 v7, v7, v12, vcc
	v_cndmask_b32_e32 v6, v6, v9, vcc
	v_cmp_gt_f32_e32 vcc, v13, v7
	v_add_u32_e32 v8, s20, v8
	v_cndmask_b32_e32 v7, v7, v13, vcc
	v_add_u32_e32 v9, s19, v9
	v_cndmask_b32_e32 v6, v6, v11, vcc
	s_andn2_b64 exec, exec, s[16:17]
	s_cbranch_execnz .LBB167_23
; %bb.24:                               ;   in Loop: Header=BB167_21 Depth=1
	s_or_b64 exec, exec, s[16:17]
	s_branch .LBB167_20
.LBB167_25:
                                        ; implicit-def: $vgpr3
                                        ; implicit-def: $vgpr2
.LBB167_26:
	v_cmp_gt_i32_e32 vcc, s9, v0
	s_and_saveexec_b64 s[0:1], vcc
	s_cbranch_execz .LBB167_29
; %bb.27:
	s_load_dword s2, s[4:5], 0x38
	s_load_dwordx2 s[0:1], s[4:5], 0x20
	s_ashr_i32 s3, s6, 31
	s_load_dword s4, s[4:5], 0x4c
	v_mov_b32_e32 v4, s13
	s_waitcnt lgkmcnt(0)
	v_mul_f32_e32 v1, s2, v3
	s_mul_i32 s1, s6, s1
	s_mul_hi_u32 s2, s6, s0
	s_add_i32 s1, s2, s1
	s_mul_i32 s3, s3, s0
	s_add_i32 s5, s1, s3
	s_mul_i32 s2, s6, s0
	s_and_b32 s3, s4, 0xffff
	s_mov_b64 s[0:1], 0
	v_mov_b32_e32 v3, s5
	v_mov_b32_e32 v5, s15
.LBB167_28:                             ; =>This Inner Loop Header: Depth=1
	v_ashrrev_i32_e32 v7, 31, v0
	v_add_co_u32_e32 v6, vcc, s2, v0
	v_addc_co_u32_e32 v7, vcc, v3, v7, vcc
	v_add_u32_e32 v0, s3, v0
	v_cmp_le_i32_e32 vcc, s9, v0
	v_lshlrev_b64 v[6:7], 2, v[6:7]
	s_or_b64 s[0:1], vcc, s[0:1]
	v_add_co_u32_e32 v8, vcc, s12, v6
	v_addc_co_u32_e32 v9, vcc, v4, v7, vcc
	v_add_co_u32_e32 v6, vcc, s14, v6
	v_addc_co_u32_e32 v7, vcc, v5, v7, vcc
	global_store_dword v[8:9], v1, off
	global_store_dword v[6:7], v2, off
	s_andn2_b64 exec, exec, s[0:1]
	s_cbranch_execnz .LBB167_28
.LBB167_29:
	s_endpgm
	.section	.rodata,"a",@progbits
	.p2align	6, 0x0
	.amdhsa_kernel _ZN5aiter19grouped_topk_kernelIN3c104HalfEDv2_fLi2ELb0ELb0ELb0EEEvPT_PKS4_PfPimiiiif
		.amdhsa_group_segment_fixed_size 0
		.amdhsa_private_segment_fixed_size 0
		.amdhsa_kernarg_size 320
		.amdhsa_user_sgpr_count 6
		.amdhsa_user_sgpr_private_segment_buffer 1
		.amdhsa_user_sgpr_dispatch_ptr 0
		.amdhsa_user_sgpr_queue_ptr 0
		.amdhsa_user_sgpr_kernarg_segment_ptr 1
		.amdhsa_user_sgpr_dispatch_id 0
		.amdhsa_user_sgpr_flat_scratch_init 0
		.amdhsa_user_sgpr_kernarg_preload_length 0
		.amdhsa_user_sgpr_kernarg_preload_offset 0
		.amdhsa_user_sgpr_private_segment_size 0
		.amdhsa_uses_dynamic_stack 0
		.amdhsa_system_sgpr_private_segment_wavefront_offset 0
		.amdhsa_system_sgpr_workgroup_id_x 1
		.amdhsa_system_sgpr_workgroup_id_y 0
		.amdhsa_system_sgpr_workgroup_id_z 0
		.amdhsa_system_sgpr_workgroup_info 0
		.amdhsa_system_vgpr_workitem_id 0
		.amdhsa_next_free_vgpr 20
		.amdhsa_next_free_sgpr 27
		.amdhsa_accum_offset 20
		.amdhsa_reserve_vcc 1
		.amdhsa_reserve_flat_scratch 0
		.amdhsa_float_round_mode_32 0
		.amdhsa_float_round_mode_16_64 0
		.amdhsa_float_denorm_mode_32 3
		.amdhsa_float_denorm_mode_16_64 3
		.amdhsa_dx10_clamp 1
		.amdhsa_ieee_mode 1
		.amdhsa_fp16_overflow 0
		.amdhsa_tg_split 0
		.amdhsa_exception_fp_ieee_invalid_op 0
		.amdhsa_exception_fp_denorm_src 0
		.amdhsa_exception_fp_ieee_div_zero 0
		.amdhsa_exception_fp_ieee_overflow 0
		.amdhsa_exception_fp_ieee_underflow 0
		.amdhsa_exception_fp_ieee_inexact 0
		.amdhsa_exception_int_div_zero 0
	.end_amdhsa_kernel
	.section	.text._ZN5aiter19grouped_topk_kernelIN3c104HalfEDv2_fLi2ELb0ELb0ELb0EEEvPT_PKS4_PfPimiiiif,"axG",@progbits,_ZN5aiter19grouped_topk_kernelIN3c104HalfEDv2_fLi2ELb0ELb0ELb0EEEvPT_PKS4_PfPimiiiif,comdat
.Lfunc_end167:
	.size	_ZN5aiter19grouped_topk_kernelIN3c104HalfEDv2_fLi2ELb0ELb0ELb0EEEvPT_PKS4_PfPimiiiif, .Lfunc_end167-_ZN5aiter19grouped_topk_kernelIN3c104HalfEDv2_fLi2ELb0ELb0ELb0EEEvPT_PKS4_PfPimiiiif
                                        ; -- End function
	.section	.AMDGPU.csdata,"",@progbits
; Kernel info:
; codeLenInByte = 1812
; NumSgprs: 31
; NumVgprs: 20
; NumAgprs: 0
; TotalNumVgprs: 20
; ScratchSize: 0
; MemoryBound: 0
; FloatMode: 240
; IeeeMode: 1
; LDSByteSize: 0 bytes/workgroup (compile time only)
; SGPRBlocks: 3
; VGPRBlocks: 2
; NumSGPRsForWavesPerEU: 31
; NumVGPRsForWavesPerEU: 20
; AccumOffset: 20
; Occupancy: 8
; WaveLimiterHint : 0
; COMPUTE_PGM_RSRC2:SCRATCH_EN: 0
; COMPUTE_PGM_RSRC2:USER_SGPR: 6
; COMPUTE_PGM_RSRC2:TRAP_HANDLER: 0
; COMPUTE_PGM_RSRC2:TGID_X_EN: 1
; COMPUTE_PGM_RSRC2:TGID_Y_EN: 0
; COMPUTE_PGM_RSRC2:TGID_Z_EN: 0
; COMPUTE_PGM_RSRC2:TIDIG_COMP_CNT: 0
; COMPUTE_PGM_RSRC3_GFX90A:ACCUM_OFFSET: 4
; COMPUTE_PGM_RSRC3_GFX90A:TG_SPLIT: 0
	.section	.text._ZN5aiter19grouped_topk_kernelIN3c108BFloat16EDv2_fLi2ELb0ELb0ELb0EEEvPT_PKS4_PfPimiiiif,"axG",@progbits,_ZN5aiter19grouped_topk_kernelIN3c108BFloat16EDv2_fLi2ELb0ELb0ELb0EEEvPT_PKS4_PfPimiiiif,comdat
	.protected	_ZN5aiter19grouped_topk_kernelIN3c108BFloat16EDv2_fLi2ELb0ELb0ELb0EEEvPT_PKS4_PfPimiiiif ; -- Begin function _ZN5aiter19grouped_topk_kernelIN3c108BFloat16EDv2_fLi2ELb0ELb0ELb0EEEvPT_PKS4_PfPimiiiif
	.globl	_ZN5aiter19grouped_topk_kernelIN3c108BFloat16EDv2_fLi2ELb0ELb0ELb0EEEvPT_PKS4_PfPimiiiif
	.p2align	8
	.type	_ZN5aiter19grouped_topk_kernelIN3c108BFloat16EDv2_fLi2ELb0ELb0ELb0EEEvPT_PKS4_PfPimiiiif,@function
_ZN5aiter19grouped_topk_kernelIN3c108BFloat16EDv2_fLi2ELb0ELb0ELb0EEEvPT_PKS4_PfPimiiiif: ; @_ZN5aiter19grouped_topk_kernelIN3c108BFloat16EDv2_fLi2ELb0ELb0ELb0EEEvPT_PKS4_PfPimiiiif
; %bb.0:
	s_load_dwordx4 s[8:11], s[4:5], 0x28
	s_load_dwordx4 s[12:15], s[4:5], 0x10
	v_lshl_add_u32 v1, v0, 3, 0
	s_waitcnt lgkmcnt(0)
	s_lshr_b32 s0, s8, 31
	s_add_i32 s0, s8, s0
	s_ashr_i32 s7, s0, 1
	v_cmp_gt_i32_e64 s[0:1], s7, v0
	s_and_saveexec_b64 s[16:17], s[0:1]
	s_cbranch_execz .LBB168_3
; %bb.1:
	s_load_dword s11, s[4:5], 0x4c
	s_load_dwordx2 s[2:3], s[4:5], 0x0
	s_mul_i32 s18, s6, s8
	s_ashr_i32 s19, s18, 31
	s_lshl_b64 s[18:19], s[18:19], 1
	s_waitcnt lgkmcnt(0)
	s_and_b32 s11, s11, 0xffff
	s_add_u32 s2, s2, s18
	v_lshlrev_b32_e32 v2, 2, v0
	s_addc_u32 s3, s3, s19
	s_mov_b32 s25, 0
	v_mov_b32_e32 v3, s3
	v_add_co_u32_e32 v2, vcc, s2, v2
	v_addc_co_u32_e32 v3, vcc, 0, v3, vcc
	s_lshl_b32 s20, s11, 2
	v_lshl_add_u32 v4, v0, 3, 0
	s_lshl_b32 s21, s11, 3
	s_mov_b64 s[18:19], 0
	s_mov_b32 s22, 0xbfb8aa3b
	s_mov_b32 s23, 0x42ce8ed0
	;; [unrolled: 1-line block ×3, first 2 shown]
	v_mov_b32_e32 v5, 0x7f800000
	v_mov_b32_e32 v6, s25
	;; [unrolled: 1-line block ×3, first 2 shown]
.LBB168_2:                              ; =>This Inner Loop Header: Depth=1
	global_load_dword v8, v[2:3], off
	v_add_co_u32_e32 v2, vcc, s20, v2
	v_add_u32_e32 v7, s11, v7
	v_addc_co_u32_e32 v3, vcc, v3, v6, vcc
	v_cmp_le_i32_e32 vcc, s7, v7
	s_or_b64 s[18:19], vcc, s[18:19]
	s_waitcnt vmcnt(0)
	v_cvt_f32_u32_sdwa v9, v8 dst_sel:DWORD dst_unused:UNUSED_PAD src0_sel:WORD_1
	v_cvt_f32_u32_sdwa v8, v8 dst_sel:DWORD dst_unused:UNUSED_PAD src0_sel:WORD_0
	v_mul_f32_e32 v10, 0xbfb8aa3b, v9
	v_mul_f32_e32 v11, 0xbfb8aa3b, v8
	v_fma_f32 v12, v9, s22, -v10
	v_rndne_f32_e32 v13, v10
	v_fma_f32 v14, v8, s22, -v11
	v_rndne_f32_e32 v15, v11
	v_fmac_f32_e32 v12, 0xb2a5705f, v9
	v_sub_f32_e32 v10, v10, v13
	v_fmac_f32_e32 v14, 0xb2a5705f, v8
	v_sub_f32_e32 v11, v11, v15
	v_add_f32_e32 v10, v10, v12
	v_add_f32_e32 v11, v11, v14
	v_cvt_i32_f32_e32 v13, v13
	v_cvt_i32_f32_e32 v15, v15
	v_exp_f32_e32 v10, v10
	v_exp_f32_e32 v11, v11
	v_cmp_nlt_f32_e32 vcc, s23, v8
	v_cmp_nlt_f32_e64 s[2:3], s23, v9
	v_ldexp_f32 v10, v10, v13
	v_ldexp_f32 v11, v11, v15
	v_cndmask_b32_e64 v10, 0, v10, s[2:3]
	v_cndmask_b32_e32 v11, 0, v11, vcc
	v_cmp_ngt_f32_e32 vcc, s24, v8
	v_cmp_ngt_f32_e64 s[2:3], s24, v9
	v_cndmask_b32_e64 v9, v5, v10, s[2:3]
	v_cndmask_b32_e32 v8, v5, v11, vcc
	v_pk_add_f32 v[8:9], v[8:9], 1.0 op_sel_hi:[1,0]
	v_div_scale_f32 v10, s[2:3], v9, v9, 1.0
	v_div_scale_f32 v12, s[2:3], v8, v8, 1.0
	v_rcp_f32_e32 v14, v10
	v_rcp_f32_e32 v15, v12
	v_div_scale_f32 v11, vcc, 1.0, v9, 1.0
	v_fma_f32 v16, -v10, v14, 1.0
	v_fma_f32 v17, -v12, v15, 1.0
	v_fmac_f32_e32 v14, v16, v14
	v_div_scale_f32 v13, s[2:3], 1.0, v8, 1.0
	v_fmac_f32_e32 v15, v17, v15
	v_mul_f32_e32 v16, v11, v14
	v_mul_f32_e32 v17, v13, v15
	v_fma_f32 v18, -v10, v16, v11
	v_fma_f32 v19, -v12, v17, v13
	v_fmac_f32_e32 v16, v18, v14
	v_fmac_f32_e32 v17, v19, v15
	v_fma_f32 v10, -v10, v16, v11
	v_fma_f32 v11, -v12, v17, v13
	v_div_fmas_f32 v10, v10, v14, v16
	s_mov_b64 vcc, s[2:3]
	v_div_fixup_f32 v9, v10, v9, 1.0
	v_div_fmas_f32 v10, v11, v15, v17
	v_div_fixup_f32 v8, v10, v8, 1.0
	ds_write_b64 v4, v[8:9]
	v_add_u32_e32 v4, s21, v4
	s_andn2_b64 exec, exec, s[18:19]
	s_cbranch_execnz .LBB168_2
.LBB168_3:
	s_or_b64 exec, exec, s[16:17]
	s_lshl_b32 s2, s8, 2
	s_add_i32 s22, s2, 0
	v_cmp_gt_u32_e32 vcc, 2, v0
	s_waitcnt lgkmcnt(0)
	s_barrier
	s_and_saveexec_b64 s[16:17], vcc
	s_cbranch_execz .LBB168_10
; %bb.4:
	s_load_dword s2, s[4:5], 0x4c
	v_mul_lo_u32 v2, v0, s7
	v_lshl_add_u32 v2, v2, 2, 0
	s_mov_b64 s[18:19], 0
	s_waitcnt lgkmcnt(0)
	s_and_b32 s11, s2, 0xffff
	s_cmp_gt_i32 s8, 1
	s_cselect_b64 s[2:3], -1, 0
	s_mul_i32 s8, s7, s11
	v_cndmask_b32_e64 v3, 0, 1, s[2:3]
	s_lshl_b32 s8, s8, 2
	v_cmp_ne_u32_e64 s[2:3], 1, v3
	v_mov_b32_e32 v3, v0
	s_branch .LBB168_6
.LBB168_5:                              ;   in Loop: Header=BB168_6 Depth=1
	v_lshl_add_u32 v5, v3, 2, s22
	v_add_u32_e32 v3, s11, v3
	v_cmp_lt_u32_e32 vcc, 1, v3
	s_or_b64 s[18:19], vcc, s[18:19]
	v_add_u32_e32 v2, s8, v2
	ds_write_b32 v5, v4
	s_andn2_b64 exec, exec, s[18:19]
	s_cbranch_execz .LBB168_10
.LBB168_6:                              ; =>This Loop Header: Depth=1
                                        ;     Child Loop BB168_8 Depth 2
	s_and_b64 vcc, exec, s[2:3]
	v_mov_b32_e32 v4, 0xff800000
	s_cbranch_vccnz .LBB168_5
; %bb.7:                                ;   in Loop: Header=BB168_6 Depth=1
	v_mul_lo_u32 v5, v3, s7
	v_add_u32_e32 v6, s7, v5
	s_mov_b64 s[20:21], 0
	v_mov_b32_e32 v4, 0xff800000
	v_mov_b32_e32 v7, v2
.LBB168_8:                              ;   Parent Loop BB168_6 Depth=1
                                        ; =>  This Inner Loop Header: Depth=2
	ds_read_b32 v8, v7
	v_add_u32_e32 v5, 1, v5
	v_cmp_ge_i32_e32 vcc, v5, v6
	s_or_b64 s[20:21], vcc, s[20:21]
	v_add_u32_e32 v7, 4, v7
	s_waitcnt lgkmcnt(0)
	v_cmp_gt_f32_e32 vcc, v8, v4
	v_cndmask_b32_e32 v4, v4, v8, vcc
	s_andn2_b64 exec, exec, s[20:21]
	s_cbranch_execnz .LBB168_8
; %bb.9:                                ;   in Loop: Header=BB168_6 Depth=1
	s_or_b64 exec, exec, s[20:21]
	s_branch .LBB168_5
.LBB168_10:
	s_or_b64 exec, exec, s[16:17]
	s_cmp_lt_i32 s10, 1
	s_waitcnt lgkmcnt(0)
	s_barrier
	s_cbranch_scc1 .LBB168_13
; %bb.11:
	v_mov_b32_e32 v2, s22
	s_mov_b32 s2, 0xff800000
	v_mov_b32_e32 v3, 0xff800000
.LBB168_12:                             ; =>This Inner Loop Header: Depth=1
	ds_read2_b32 v[4:5], v2 offset1:1
	s_add_i32 s10, s10, -1
	s_cmp_lg_u32 s10, 0
	s_waitcnt lgkmcnt(0)
	v_cmp_nlg_f32_e32 vcc, s2, v4
	v_cndmask_b32_e64 v6, 0, 1, vcc
	v_cmp_lg_f32_e32 vcc, s2, v4
	v_cndmask_b32_e32 v4, v3, v4, vcc
	v_lshlrev_b32_e32 v6, 1, v6
	v_cmp_ngt_f32_e32 vcc, v5, v4
	v_cndmask_b32_e32 v4, 1, v6, vcc
	v_lshlrev_b32_e32 v4, 2, v4
	v_add_u32_e32 v4, s22, v4
	ds_write_b32 v4, v3
	s_cbranch_scc1 .LBB168_12
.LBB168_13:
	v_lshlrev_b32_e32 v4, 1, v0
	s_and_saveexec_b64 s[2:3], s[0:1]
	s_cbranch_execz .LBB168_18
; %bb.14:
	s_abs_i32 s8, s7
	v_cvt_f32_u32_e32 v2, s8
	s_load_dword s16, s[4:5], 0x4c
	s_sub_i32 s17, 0, s8
	s_ashr_i32 s18, s7, 31
	v_rcp_iflag_f32_e32 v2, v2
	v_lshlrev_b32_e32 v5, 1, v0
	s_waitcnt lgkmcnt(0)
	s_and_b32 s19, s16, 0xffff
	v_lshl_add_u32 v6, v0, 3, 0
	v_mul_f32_e32 v2, 0x4f7ffffe, v2
	v_cvt_u32_f32_e32 v2, v2
	s_mov_b64 s[10:11], 0
	s_lshl_b32 s20, s19, 1
	s_lshl_b32 s21, s19, 3
	v_mul_lo_u32 v3, s17, v2
	v_mul_hi_u32 v3, v2, v3
	v_add_u32_e32 v7, v2, v3
	s_mov_b32 s23, 0xff800000
	v_mov_b32_e32 v2, 0xff800000
	v_mov_b32_e32 v8, v0
	s_branch .LBB168_16
.LBB168_15:                             ;   in Loop: Header=BB168_16 Depth=1
	s_or_b64 exec, exec, s[16:17]
	v_add_u32_e32 v8, s19, v8
	v_cmp_le_i32_e32 vcc, s7, v8
	v_add_u32_e32 v5, s20, v5
	s_or_b64 s[10:11], vcc, s[10:11]
	v_add_u32_e32 v6, s21, v6
	s_andn2_b64 exec, exec, s[10:11]
	s_cbranch_execz .LBB168_18
.LBB168_16:                             ; =>This Inner Loop Header: Depth=1
	v_mul_hi_u32 v3, v5, v7
	v_mul_lo_u32 v9, v3, s8
	v_sub_u32_e32 v9, v5, v9
	v_add_u32_e32 v10, 1, v3
	v_cmp_le_u32_e32 vcc, s8, v9
	v_cndmask_b32_e32 v3, v3, v10, vcc
	v_subrev_u32_e32 v10, s8, v9
	v_cndmask_b32_e32 v9, v9, v10, vcc
	v_add_u32_e32 v10, 1, v3
	v_cmp_le_u32_e32 vcc, s8, v9
	v_cndmask_b32_e32 v3, v3, v10, vcc
	v_xor_b32_e32 v3, s18, v3
	v_subrev_u32_e32 v3, s18, v3
	v_lshl_add_u32 v3, v3, 2, s22
	ds_read_b32 v3, v3
	s_waitcnt lgkmcnt(0)
	v_cmp_neq_f32_e32 vcc, s23, v3
	s_and_saveexec_b64 s[16:17], vcc
	s_cbranch_execz .LBB168_15
; %bb.17:                               ;   in Loop: Header=BB168_16 Depth=1
	v_mov_b32_e32 v3, v2
	ds_write_b64 v6, v[2:3]
	s_branch .LBB168_15
.LBB168_18:
	s_or_b64 exec, exec, s[2:3]
	s_cmp_lt_i32 s9, 1
	s_waitcnt lgkmcnt(0)
	s_barrier
	s_cbranch_scc1 .LBB168_25
; %bb.19:
	s_add_u32 s2, s4, 64
	s_addc_u32 s3, s5, 0
	s_mov_b32 s8, 0
	v_mov_b32_e32 v5, 0xff800000
                                        ; implicit-def: $vgpr3
                                        ; implicit-def: $vgpr2
	s_branch .LBB168_21
.LBB168_20:                             ;   in Loop: Header=BB168_21 Depth=1
	s_or_b64 exec, exec, s[10:11]
	v_mov_b32_dpp v9, v7 quad_perm:[1,0,3,2] row_mask:0xf bank_mask:0xf
	v_cmp_lt_f32_e32 vcc, v7, v9
	v_cndmask_b32_e32 v7, v7, v9, vcc
	v_mov_b32_dpp v8, v6 quad_perm:[1,0,3,2] row_mask:0xf bank_mask:0xf
	v_cndmask_b32_e32 v6, v6, v8, vcc
	v_mov_b32_dpp v9, v7 quad_perm:[2,3,0,1] row_mask:0xf bank_mask:0xf
	v_cmp_gt_f32_e32 vcc, v9, v7
	v_cndmask_b32_e32 v7, v7, v9, vcc
	v_mov_b32_dpp v8, v6 quad_perm:[2,3,0,1] row_mask:0xf bank_mask:0xf
	v_cndmask_b32_e32 v6, v6, v8, vcc
	v_mov_b32_dpp v9, v7 row_half_mirror row_mask:0xf bank_mask:0xf
	v_cmp_gt_f32_e32 vcc, v9, v7
	v_cndmask_b32_e32 v7, v7, v9, vcc
	v_mov_b32_dpp v8, v6 row_half_mirror row_mask:0xf bank_mask:0xf
	v_cndmask_b32_e32 v6, v6, v8, vcc
	v_mov_b32_dpp v9, v7 row_mirror row_mask:0xf bank_mask:0xf
	v_cmp_gt_f32_e32 vcc, v9, v7
	v_cndmask_b32_e32 v7, v7, v9, vcc
	v_mov_b32_dpp v8, v6 row_mirror row_mask:0xf bank_mask:0xf
	v_cndmask_b32_e32 v6, v6, v8, vcc
	v_mov_b32_dpp v9, v7 row_bcast:15 row_mask:0xf bank_mask:0xf
	v_cmp_gt_f32_e32 vcc, v9, v7
	v_mov_b32_dpp v8, v6 row_bcast:15 row_mask:0xf bank_mask:0xf
	v_cndmask_b32_e32 v7, v7, v9, vcc
	v_cndmask_b32_e32 v6, v6, v8, vcc
	s_nop 0
	v_mov_b32_dpp v9, v7 row_bcast:31 row_mask:0xf bank_mask:0xf
	v_mov_b32_dpp v8, v6 row_bcast:31 row_mask:0xf bank_mask:0xf
	v_cmp_gt_f32_e32 vcc, v9, v7
	v_cndmask_b32_e32 v6, v6, v8, vcc
	v_readlane_b32 s11, v6, 63
	s_lshl_b32 s16, s11, 2
	s_add_i32 s16, s16, 0
	v_cndmask_b32_e32 v7, v7, v9, vcc
	v_mov_b32_e32 v6, s16
	v_readlane_b32 s10, v7, 63
	ds_write_b32 v6, v5
	v_mov_b32_e32 v6, s11
	v_cmp_eq_u32_e32 vcc, s8, v0
	v_cndmask_b32_e32 v2, v2, v6, vcc
	v_mov_b32_e32 v6, s10
	s_add_i32 s8, s8, 1
	s_cmp_eq_u32 s8, s9
	v_cndmask_b32_e32 v3, v3, v6, vcc
	s_cbranch_scc1 .LBB168_26
.LBB168_21:                             ; =>This Loop Header: Depth=1
                                        ;     Child Loop BB168_23 Depth 2
	v_mov_b32_e32 v6, s8
	v_mov_b32_e32 v7, 0xff800000
	s_and_saveexec_b64 s[10:11], s[0:1]
	s_cbranch_execz .LBB168_20
; %bb.22:                               ;   in Loop: Header=BB168_21 Depth=1
	s_load_dword s18, s[2:3], 0xc
	s_mov_b64 s[16:17], 0
	v_mov_b32_e32 v6, s8
	v_mov_b32_e32 v7, 0xff800000
	;; [unrolled: 1-line block ×3, first 2 shown]
	s_waitcnt lgkmcnt(0)
	s_and_b32 s18, s18, 0xffff
	s_lshl_b32 s19, s18, 1
	s_lshl_b32 s20, s18, 3
	v_mov_b32_e32 v9, v4
	v_mov_b32_e32 v10, v0
.LBB168_23:                             ;   Parent Loop BB168_21 Depth=1
                                        ; =>  This Inner Loop Header: Depth=2
	ds_read_b64 v[12:13], v8
	v_add_u32_e32 v10, s18, v10
	v_cmp_le_i32_e32 vcc, s7, v10
	s_or_b64 s[16:17], vcc, s[16:17]
	v_add_u32_e32 v11, 1, v9
	s_waitcnt lgkmcnt(0)
	v_cmp_gt_f32_e32 vcc, v12, v7
	v_cndmask_b32_e32 v7, v7, v12, vcc
	v_cndmask_b32_e32 v6, v6, v9, vcc
	v_cmp_gt_f32_e32 vcc, v13, v7
	v_add_u32_e32 v8, s20, v8
	v_cndmask_b32_e32 v7, v7, v13, vcc
	v_add_u32_e32 v9, s19, v9
	v_cndmask_b32_e32 v6, v6, v11, vcc
	s_andn2_b64 exec, exec, s[16:17]
	s_cbranch_execnz .LBB168_23
; %bb.24:                               ;   in Loop: Header=BB168_21 Depth=1
	s_or_b64 exec, exec, s[16:17]
	s_branch .LBB168_20
.LBB168_25:
                                        ; implicit-def: $vgpr3
                                        ; implicit-def: $vgpr2
.LBB168_26:
	v_cmp_gt_i32_e32 vcc, s9, v0
	s_and_saveexec_b64 s[0:1], vcc
	s_cbranch_execz .LBB168_29
; %bb.27:
	s_load_dword s2, s[4:5], 0x38
	s_load_dwordx2 s[0:1], s[4:5], 0x20
	s_ashr_i32 s3, s6, 31
	s_load_dword s4, s[4:5], 0x4c
	v_mov_b32_e32 v4, s13
	s_waitcnt lgkmcnt(0)
	v_mul_f32_e32 v1, s2, v3
	s_mul_i32 s1, s6, s1
	s_mul_hi_u32 s2, s6, s0
	s_add_i32 s1, s2, s1
	s_mul_i32 s3, s3, s0
	s_add_i32 s5, s1, s3
	s_mul_i32 s2, s6, s0
	s_and_b32 s3, s4, 0xffff
	s_mov_b64 s[0:1], 0
	v_mov_b32_e32 v3, s5
	v_mov_b32_e32 v5, s15
.LBB168_28:                             ; =>This Inner Loop Header: Depth=1
	v_ashrrev_i32_e32 v7, 31, v0
	v_add_co_u32_e32 v6, vcc, s2, v0
	v_addc_co_u32_e32 v7, vcc, v3, v7, vcc
	v_add_u32_e32 v0, s3, v0
	v_cmp_le_i32_e32 vcc, s9, v0
	v_lshlrev_b64 v[6:7], 2, v[6:7]
	s_or_b64 s[0:1], vcc, s[0:1]
	v_add_co_u32_e32 v8, vcc, s12, v6
	v_addc_co_u32_e32 v9, vcc, v4, v7, vcc
	v_add_co_u32_e32 v6, vcc, s14, v6
	v_addc_co_u32_e32 v7, vcc, v5, v7, vcc
	global_store_dword v[8:9], v1, off
	global_store_dword v[6:7], v2, off
	s_andn2_b64 exec, exec, s[0:1]
	s_cbranch_execnz .LBB168_28
.LBB168_29:
	s_endpgm
	.section	.rodata,"a",@progbits
	.p2align	6, 0x0
	.amdhsa_kernel _ZN5aiter19grouped_topk_kernelIN3c108BFloat16EDv2_fLi2ELb0ELb0ELb0EEEvPT_PKS4_PfPimiiiif
		.amdhsa_group_segment_fixed_size 0
		.amdhsa_private_segment_fixed_size 0
		.amdhsa_kernarg_size 320
		.amdhsa_user_sgpr_count 6
		.amdhsa_user_sgpr_private_segment_buffer 1
		.amdhsa_user_sgpr_dispatch_ptr 0
		.amdhsa_user_sgpr_queue_ptr 0
		.amdhsa_user_sgpr_kernarg_segment_ptr 1
		.amdhsa_user_sgpr_dispatch_id 0
		.amdhsa_user_sgpr_flat_scratch_init 0
		.amdhsa_user_sgpr_kernarg_preload_length 0
		.amdhsa_user_sgpr_kernarg_preload_offset 0
		.amdhsa_user_sgpr_private_segment_size 0
		.amdhsa_uses_dynamic_stack 0
		.amdhsa_system_sgpr_private_segment_wavefront_offset 0
		.amdhsa_system_sgpr_workgroup_id_x 1
		.amdhsa_system_sgpr_workgroup_id_y 0
		.amdhsa_system_sgpr_workgroup_id_z 0
		.amdhsa_system_sgpr_workgroup_info 0
		.amdhsa_system_vgpr_workitem_id 0
		.amdhsa_next_free_vgpr 20
		.amdhsa_next_free_sgpr 26
		.amdhsa_accum_offset 20
		.amdhsa_reserve_vcc 1
		.amdhsa_reserve_flat_scratch 0
		.amdhsa_float_round_mode_32 0
		.amdhsa_float_round_mode_16_64 0
		.amdhsa_float_denorm_mode_32 3
		.amdhsa_float_denorm_mode_16_64 3
		.amdhsa_dx10_clamp 1
		.amdhsa_ieee_mode 1
		.amdhsa_fp16_overflow 0
		.amdhsa_tg_split 0
		.amdhsa_exception_fp_ieee_invalid_op 0
		.amdhsa_exception_fp_denorm_src 0
		.amdhsa_exception_fp_ieee_div_zero 0
		.amdhsa_exception_fp_ieee_overflow 0
		.amdhsa_exception_fp_ieee_underflow 0
		.amdhsa_exception_fp_ieee_inexact 0
		.amdhsa_exception_int_div_zero 0
	.end_amdhsa_kernel
	.section	.text._ZN5aiter19grouped_topk_kernelIN3c108BFloat16EDv2_fLi2ELb0ELb0ELb0EEEvPT_PKS4_PfPimiiiif,"axG",@progbits,_ZN5aiter19grouped_topk_kernelIN3c108BFloat16EDv2_fLi2ELb0ELb0ELb0EEEvPT_PKS4_PfPimiiiif,comdat
.Lfunc_end168:
	.size	_ZN5aiter19grouped_topk_kernelIN3c108BFloat16EDv2_fLi2ELb0ELb0ELb0EEEvPT_PKS4_PfPimiiiif, .Lfunc_end168-_ZN5aiter19grouped_topk_kernelIN3c108BFloat16EDv2_fLi2ELb0ELb0ELb0EEEvPT_PKS4_PfPimiiiif
                                        ; -- End function
	.section	.AMDGPU.csdata,"",@progbits
; Kernel info:
; codeLenInByte = 1804
; NumSgprs: 30
; NumVgprs: 20
; NumAgprs: 0
; TotalNumVgprs: 20
; ScratchSize: 0
; MemoryBound: 0
; FloatMode: 240
; IeeeMode: 1
; LDSByteSize: 0 bytes/workgroup (compile time only)
; SGPRBlocks: 3
; VGPRBlocks: 2
; NumSGPRsForWavesPerEU: 30
; NumVGPRsForWavesPerEU: 20
; AccumOffset: 20
; Occupancy: 8
; WaveLimiterHint : 0
; COMPUTE_PGM_RSRC2:SCRATCH_EN: 0
; COMPUTE_PGM_RSRC2:USER_SGPR: 6
; COMPUTE_PGM_RSRC2:TRAP_HANDLER: 0
; COMPUTE_PGM_RSRC2:TGID_X_EN: 1
; COMPUTE_PGM_RSRC2:TGID_Y_EN: 0
; COMPUTE_PGM_RSRC2:TGID_Z_EN: 0
; COMPUTE_PGM_RSRC2:TIDIG_COMP_CNT: 0
; COMPUTE_PGM_RSRC3_GFX90A:ACCUM_OFFSET: 4
; COMPUTE_PGM_RSRC3_GFX90A:TG_SPLIT: 0
	.section	.text._ZN5aiter28grouped_topk_opt_sort_kernelIfDv2_fLi1ELb1ELb1ELb0EEEvPT_PKS2_PfPimiiiif,"axG",@progbits,_ZN5aiter28grouped_topk_opt_sort_kernelIfDv2_fLi1ELb1ELb1ELb0EEEvPT_PKS2_PfPimiiiif,comdat
	.protected	_ZN5aiter28grouped_topk_opt_sort_kernelIfDv2_fLi1ELb1ELb1ELb0EEEvPT_PKS2_PfPimiiiif ; -- Begin function _ZN5aiter28grouped_topk_opt_sort_kernelIfDv2_fLi1ELb1ELb1ELb0EEEvPT_PKS2_PfPimiiiif
	.globl	_ZN5aiter28grouped_topk_opt_sort_kernelIfDv2_fLi1ELb1ELb1ELb0EEEvPT_PKS2_PfPimiiiif
	.p2align	8
	.type	_ZN5aiter28grouped_topk_opt_sort_kernelIfDv2_fLi1ELb1ELb1ELb0EEEvPT_PKS2_PfPimiiiif,@function
_ZN5aiter28grouped_topk_opt_sort_kernelIfDv2_fLi1ELb1ELb1ELb0EEEvPT_PKS2_PfPimiiiif: ; @_ZN5aiter28grouped_topk_opt_sort_kernelIfDv2_fLi1ELb1ELb1ELb0EEEvPT_PKS2_PfPimiiiif
; %bb.0:
	s_load_dword s3, s[4:5], 0x28
	s_load_dwordx4 s[8:11], s[4:5], 0x0
	s_load_dword s2, s[4:5], 0x30
	v_lshlrev_b32_e32 v6, 3, v0
	s_mov_b32 s4, 0xc2fc0000
	s_waitcnt lgkmcnt(0)
	s_mul_i32 s0, s6, s3
	s_ashr_i32 s1, s0, 31
	s_lshl_b64 s[0:1], s[0:1], 2
	s_add_u32 s0, s8, s0
	s_addc_u32 s1, s9, s1
	global_load_dwordx2 v[0:1], v6, s[0:1]
	global_load_dwordx2 v[2:3], v6, s[10:11]
	s_mov_b32 s0, 0x652b82fe
	s_mov_b32 s1, 0xbff71547
	v_mov_b32_e32 v7, 0x42800000
	v_mov_b32_e32 v8, 0x1f800000
	s_cmp_lt_i32 s2, 1
	s_waitcnt vmcnt(1)
	v_cvt_f64_f32_e32 v[4:5], v0
	v_cvt_f64_f32_e32 v[0:1], v1
	v_mul_f64 v[4:5], v[4:5], s[0:1]
	v_mul_f64 v[0:1], v[0:1], s[0:1]
	v_cvt_f32_f64_e32 v4, v[4:5]
	v_cvt_f32_f64_e32 v0, v[0:1]
	v_cmp_gt_f32_e32 vcc, s4, v4
	v_cmp_gt_f32_e64 s[0:1], s4, v0
	v_cndmask_b32_e32 v1, 0, v7, vcc
	v_cndmask_b32_e64 v5, 0, v7, s[0:1]
	v_add_f32_e32 v1, v4, v1
	v_add_f32_e32 v0, v0, v5
	v_exp_f32_e32 v1, v1
	v_exp_f32_e32 v0, v0
	v_cndmask_b32_e32 v4, 1.0, v8, vcc
	v_cndmask_b32_e64 v5, 1.0, v8, s[0:1]
	v_fma_f32 v1, v1, v4, 1.0
	v_fma_f32 v4, v0, v5, 1.0
	v_rcp_f32_e32 v0, v1
	v_rcp_f32_e32 v1, v4
	v_mov_b32_e32 v4, 0xff800000
	v_add_u32_e32 v5, 0, v6
	s_waitcnt vmcnt(0)
	v_pk_add_f32 v[0:1], v[2:3], v[0:1]
	v_cmp_o_f32_e32 vcc, v1, v1
	v_cndmask_b32_e32 v1, v4, v1, vcc
	v_cmp_o_f32_e32 vcc, v0, v0
	v_cndmask_b32_e32 v0, v4, v0, vcc
	ds_write_b64 v5, v[0:1]
	s_cbranch_scc1 .LBB169_7
; %bb.1:
	s_lshl_b32 s0, s3, 2
	s_add_i32 s0, s0, 0
	s_cmp_lt_u32 s2, 8
	s_cbranch_scc1 .LBB169_4
; %bb.2:
	s_and_b32 s1, s2, 0x7ffffff8
	v_mov_b32_e32 v0, s0
	s_mov_b32 s3, 0xff800000
	v_mov_b32_e32 v1, 0xff800000
.LBB169_3:                              ; =>This Inner Loop Header: Depth=1
	ds_read_b32 v2, v0
	s_add_i32 s1, s1, -8
	s_cmp_lg_u32 s1, 0
	s_waitcnt lgkmcnt(0)
	v_cmp_nlg_f32_e32 vcc, s3, v2
	v_cndmask_b32_e64 v2, 0, 1, vcc
	v_lshlrev_b32_e32 v2, 2, v2
	v_add_u32_e32 v2, s0, v2
	ds_write_b32 v2, v1
	ds_read_b32 v2, v0
	s_waitcnt lgkmcnt(0)
	v_cmp_nlg_f32_e32 vcc, s3, v2
	v_cndmask_b32_e64 v2, 0, 1, vcc
	v_lshlrev_b32_e32 v2, 2, v2
	v_add_u32_e32 v2, s0, v2
	ds_write_b32 v2, v1
	ds_read_b32 v2, v0
	;; [unrolled: 7-line block ×7, first 2 shown]
	s_waitcnt lgkmcnt(0)
	v_cmp_nlg_f32_e32 vcc, s3, v2
	v_cndmask_b32_e64 v2, 0, 1, vcc
	v_lshlrev_b32_e32 v2, 2, v2
	v_add_u32_e32 v2, s0, v2
	ds_write_b32 v2, v1
	s_cbranch_scc1 .LBB169_3
.LBB169_4:
	s_and_b32 s1, s2, 7
	s_cmp_eq_u32 s1, 0
	s_cbranch_scc1 .LBB169_7
; %bb.5:
	v_mov_b32_e32 v0, s0
	s_mov_b32 s2, 0xff800000
	v_mov_b32_e32 v1, 0xff800000
.LBB169_6:                              ; =>This Inner Loop Header: Depth=1
	ds_read_b32 v2, v0
	s_add_i32 s1, s1, -1
	s_cmp_lg_u32 s1, 0
	s_waitcnt lgkmcnt(0)
	v_cmp_nlg_f32_e32 vcc, s2, v2
	v_cndmask_b32_e64 v2, 0, 1, vcc
	v_lshlrev_b32_e32 v2, 2, v2
	v_add_u32_e32 v2, s0, v2
	ds_write_b32 v2, v1
	s_cbranch_scc1 .LBB169_6
.LBB169_7:
	s_endpgm
	.section	.rodata,"a",@progbits
	.p2align	6, 0x0
	.amdhsa_kernel _ZN5aiter28grouped_topk_opt_sort_kernelIfDv2_fLi1ELb1ELb1ELb0EEEvPT_PKS2_PfPimiiiif
		.amdhsa_group_segment_fixed_size 0
		.amdhsa_private_segment_fixed_size 0
		.amdhsa_kernarg_size 60
		.amdhsa_user_sgpr_count 6
		.amdhsa_user_sgpr_private_segment_buffer 1
		.amdhsa_user_sgpr_dispatch_ptr 0
		.amdhsa_user_sgpr_queue_ptr 0
		.amdhsa_user_sgpr_kernarg_segment_ptr 1
		.amdhsa_user_sgpr_dispatch_id 0
		.amdhsa_user_sgpr_flat_scratch_init 0
		.amdhsa_user_sgpr_kernarg_preload_length 0
		.amdhsa_user_sgpr_kernarg_preload_offset 0
		.amdhsa_user_sgpr_private_segment_size 0
		.amdhsa_uses_dynamic_stack 0
		.amdhsa_system_sgpr_private_segment_wavefront_offset 0
		.amdhsa_system_sgpr_workgroup_id_x 1
		.amdhsa_system_sgpr_workgroup_id_y 0
		.amdhsa_system_sgpr_workgroup_id_z 0
		.amdhsa_system_sgpr_workgroup_info 0
		.amdhsa_system_vgpr_workitem_id 0
		.amdhsa_next_free_vgpr 9
		.amdhsa_next_free_sgpr 12
		.amdhsa_accum_offset 12
		.amdhsa_reserve_vcc 1
		.amdhsa_reserve_flat_scratch 0
		.amdhsa_float_round_mode_32 0
		.amdhsa_float_round_mode_16_64 0
		.amdhsa_float_denorm_mode_32 3
		.amdhsa_float_denorm_mode_16_64 3
		.amdhsa_dx10_clamp 1
		.amdhsa_ieee_mode 1
		.amdhsa_fp16_overflow 0
		.amdhsa_tg_split 0
		.amdhsa_exception_fp_ieee_invalid_op 0
		.amdhsa_exception_fp_denorm_src 0
		.amdhsa_exception_fp_ieee_div_zero 0
		.amdhsa_exception_fp_ieee_overflow 0
		.amdhsa_exception_fp_ieee_underflow 0
		.amdhsa_exception_fp_ieee_inexact 0
		.amdhsa_exception_int_div_zero 0
	.end_amdhsa_kernel
	.section	.text._ZN5aiter28grouped_topk_opt_sort_kernelIfDv2_fLi1ELb1ELb1ELb0EEEvPT_PKS2_PfPimiiiif,"axG",@progbits,_ZN5aiter28grouped_topk_opt_sort_kernelIfDv2_fLi1ELb1ELb1ELb0EEEvPT_PKS2_PfPimiiiif,comdat
.Lfunc_end169:
	.size	_ZN5aiter28grouped_topk_opt_sort_kernelIfDv2_fLi1ELb1ELb1ELb0EEEvPT_PKS2_PfPimiiiif, .Lfunc_end169-_ZN5aiter28grouped_topk_opt_sort_kernelIfDv2_fLi1ELb1ELb1ELb0EEEvPT_PKS2_PfPimiiiif
                                        ; -- End function
	.section	.AMDGPU.csdata,"",@progbits
; Kernel info:
; codeLenInByte = 740
; NumSgprs: 16
; NumVgprs: 9
; NumAgprs: 0
; TotalNumVgprs: 9
; ScratchSize: 0
; MemoryBound: 0
; FloatMode: 240
; IeeeMode: 1
; LDSByteSize: 0 bytes/workgroup (compile time only)
; SGPRBlocks: 1
; VGPRBlocks: 1
; NumSGPRsForWavesPerEU: 16
; NumVGPRsForWavesPerEU: 9
; AccumOffset: 12
; Occupancy: 8
; WaveLimiterHint : 0
; COMPUTE_PGM_RSRC2:SCRATCH_EN: 0
; COMPUTE_PGM_RSRC2:USER_SGPR: 6
; COMPUTE_PGM_RSRC2:TRAP_HANDLER: 0
; COMPUTE_PGM_RSRC2:TGID_X_EN: 1
; COMPUTE_PGM_RSRC2:TGID_Y_EN: 0
; COMPUTE_PGM_RSRC2:TGID_Z_EN: 0
; COMPUTE_PGM_RSRC2:TIDIG_COMP_CNT: 0
; COMPUTE_PGM_RSRC3_GFX90A:ACCUM_OFFSET: 2
; COMPUTE_PGM_RSRC3_GFX90A:TG_SPLIT: 0
	.section	.text._ZN5aiter28grouped_topk_opt_sort_kernelIN3c104HalfEDv2_fLi1ELb1ELb1ELb0EEEvPT_PKS4_PfPimiiiif,"axG",@progbits,_ZN5aiter28grouped_topk_opt_sort_kernelIN3c104HalfEDv2_fLi1ELb1ELb1ELb0EEEvPT_PKS4_PfPimiiiif,comdat
	.protected	_ZN5aiter28grouped_topk_opt_sort_kernelIN3c104HalfEDv2_fLi1ELb1ELb1ELb0EEEvPT_PKS4_PfPimiiiif ; -- Begin function _ZN5aiter28grouped_topk_opt_sort_kernelIN3c104HalfEDv2_fLi1ELb1ELb1ELb0EEEvPT_PKS4_PfPimiiiif
	.globl	_ZN5aiter28grouped_topk_opt_sort_kernelIN3c104HalfEDv2_fLi1ELb1ELb1ELb0EEEvPT_PKS4_PfPimiiiif
	.p2align	8
	.type	_ZN5aiter28grouped_topk_opt_sort_kernelIN3c104HalfEDv2_fLi1ELb1ELb1ELb0EEEvPT_PKS4_PfPimiiiif,@function
_ZN5aiter28grouped_topk_opt_sort_kernelIN3c104HalfEDv2_fLi1ELb1ELb1ELb0EEEvPT_PKS4_PfPimiiiif: ; @_ZN5aiter28grouped_topk_opt_sort_kernelIN3c104HalfEDv2_fLi1ELb1ELb1ELb0EEEvPT_PKS4_PfPimiiiif
; %bb.0:
	s_load_dword s3, s[4:5], 0x28
	s_load_dwordx4 s[8:11], s[4:5], 0x0
	s_load_dword s2, s[4:5], 0x30
	v_lshlrev_b32_e32 v1, 2, v0
	s_mov_b32 s4, 0xc2fc0000
	s_waitcnt lgkmcnt(0)
	s_mul_i32 s0, s6, s3
	s_ashr_i32 s1, s0, 31
	s_lshl_b64 s[0:1], s[0:1], 1
	s_add_u32 s0, s8, s0
	s_addc_u32 s1, s9, s1
	global_load_dword v2, v1, s[0:1]
	global_load_dword v3, v1, s[10:11]
	s_mov_b32 s0, 0x652b82fe
	s_mov_b32 s1, 0xbff71547
	v_mov_b32_e32 v1, 0x42800000
	v_mov_b32_e32 v8, 0x1f800000
	s_cmp_lt_i32 s2, 1
	s_waitcnt vmcnt(1)
	v_cvt_f32_f16_e32 v4, v2
	v_cvt_f32_f16_sdwa v6, v2 dst_sel:DWORD dst_unused:UNUSED_PAD src0_sel:WORD_1
	s_waitcnt vmcnt(0)
	v_cvt_f32_f16_e32 v2, v3
	v_cvt_f32_f16_sdwa v3, v3 dst_sel:DWORD dst_unused:UNUSED_PAD src0_sel:WORD_1
	v_cvt_f64_f32_e32 v[4:5], v4
	v_cvt_f64_f32_e32 v[6:7], v6
	v_mul_f64 v[4:5], v[4:5], s[0:1]
	v_mul_f64 v[6:7], v[6:7], s[0:1]
	v_cvt_f32_f64_e32 v4, v[4:5]
	v_cvt_f32_f64_e32 v5, v[6:7]
	v_cmp_gt_f32_e32 vcc, s4, v4
	v_cmp_gt_f32_e64 s[0:1], s4, v5
	v_cndmask_b32_e32 v6, 0, v1, vcc
	v_cndmask_b32_e64 v1, 0, v1, s[0:1]
	v_add_f32_e32 v4, v4, v6
	v_add_f32_e32 v1, v5, v1
	v_exp_f32_e32 v4, v4
	v_exp_f32_e32 v1, v1
	v_cndmask_b32_e32 v5, 1.0, v8, vcc
	v_cndmask_b32_e64 v6, 1.0, v8, s[0:1]
	v_fma_f32 v4, v4, v5, 1.0
	v_fma_f32 v1, v1, v6, 1.0
	v_rcp_f32_e32 v4, v4
	v_rcp_f32_e32 v5, v1
	v_lshl_add_u32 v7, v0, 3, 0
	v_mov_b32_e32 v6, 0xff800000
	v_pk_add_f32 v[0:1], v[4:5], v[2:3]
	v_cmp_o_f32_e32 vcc, v1, v1
	v_cndmask_b32_e32 v1, v6, v1, vcc
	v_cmp_o_f32_e32 vcc, v0, v0
	v_cndmask_b32_e32 v0, v6, v0, vcc
	ds_write_b64 v7, v[0:1]
	s_cbranch_scc1 .LBB170_7
; %bb.1:
	s_lshl_b32 s0, s3, 2
	s_add_i32 s0, s0, 0
	s_cmp_lt_u32 s2, 8
	s_cbranch_scc1 .LBB170_4
; %bb.2:
	s_and_b32 s1, s2, 0x7ffffff8
	v_mov_b32_e32 v0, s0
	s_mov_b32 s3, 0xff800000
	v_mov_b32_e32 v1, 0xff800000
.LBB170_3:                              ; =>This Inner Loop Header: Depth=1
	ds_read_b32 v2, v0
	s_add_i32 s1, s1, -8
	s_cmp_lg_u32 s1, 0
	s_waitcnt lgkmcnt(0)
	v_cmp_nlg_f32_e32 vcc, s3, v2
	v_cndmask_b32_e64 v2, 0, 1, vcc
	v_lshlrev_b32_e32 v2, 2, v2
	v_add_u32_e32 v2, s0, v2
	ds_write_b32 v2, v1
	ds_read_b32 v2, v0
	s_waitcnt lgkmcnt(0)
	v_cmp_nlg_f32_e32 vcc, s3, v2
	v_cndmask_b32_e64 v2, 0, 1, vcc
	v_lshlrev_b32_e32 v2, 2, v2
	v_add_u32_e32 v2, s0, v2
	ds_write_b32 v2, v1
	ds_read_b32 v2, v0
	;; [unrolled: 7-line block ×7, first 2 shown]
	s_waitcnt lgkmcnt(0)
	v_cmp_nlg_f32_e32 vcc, s3, v2
	v_cndmask_b32_e64 v2, 0, 1, vcc
	v_lshlrev_b32_e32 v2, 2, v2
	v_add_u32_e32 v2, s0, v2
	ds_write_b32 v2, v1
	s_cbranch_scc1 .LBB170_3
.LBB170_4:
	s_and_b32 s1, s2, 7
	s_cmp_eq_u32 s1, 0
	s_cbranch_scc1 .LBB170_7
; %bb.5:
	v_mov_b32_e32 v0, s0
	s_mov_b32 s2, 0xff800000
	v_mov_b32_e32 v1, 0xff800000
.LBB170_6:                              ; =>This Inner Loop Header: Depth=1
	ds_read_b32 v2, v0
	s_add_i32 s1, s1, -1
	s_cmp_lg_u32 s1, 0
	s_waitcnt lgkmcnt(0)
	v_cmp_nlg_f32_e32 vcc, s2, v2
	v_cndmask_b32_e64 v2, 0, 1, vcc
	v_lshlrev_b32_e32 v2, 2, v2
	v_add_u32_e32 v2, s0, v2
	ds_write_b32 v2, v1
	s_cbranch_scc1 .LBB170_6
.LBB170_7:
	s_endpgm
	.section	.rodata,"a",@progbits
	.p2align	6, 0x0
	.amdhsa_kernel _ZN5aiter28grouped_topk_opt_sort_kernelIN3c104HalfEDv2_fLi1ELb1ELb1ELb0EEEvPT_PKS4_PfPimiiiif
		.amdhsa_group_segment_fixed_size 0
		.amdhsa_private_segment_fixed_size 0
		.amdhsa_kernarg_size 60
		.amdhsa_user_sgpr_count 6
		.amdhsa_user_sgpr_private_segment_buffer 1
		.amdhsa_user_sgpr_dispatch_ptr 0
		.amdhsa_user_sgpr_queue_ptr 0
		.amdhsa_user_sgpr_kernarg_segment_ptr 1
		.amdhsa_user_sgpr_dispatch_id 0
		.amdhsa_user_sgpr_flat_scratch_init 0
		.amdhsa_user_sgpr_kernarg_preload_length 0
		.amdhsa_user_sgpr_kernarg_preload_offset 0
		.amdhsa_user_sgpr_private_segment_size 0
		.amdhsa_uses_dynamic_stack 0
		.amdhsa_system_sgpr_private_segment_wavefront_offset 0
		.amdhsa_system_sgpr_workgroup_id_x 1
		.amdhsa_system_sgpr_workgroup_id_y 0
		.amdhsa_system_sgpr_workgroup_id_z 0
		.amdhsa_system_sgpr_workgroup_info 0
		.amdhsa_system_vgpr_workitem_id 0
		.amdhsa_next_free_vgpr 9
		.amdhsa_next_free_sgpr 12
		.amdhsa_accum_offset 12
		.amdhsa_reserve_vcc 1
		.amdhsa_reserve_flat_scratch 0
		.amdhsa_float_round_mode_32 0
		.amdhsa_float_round_mode_16_64 0
		.amdhsa_float_denorm_mode_32 3
		.amdhsa_float_denorm_mode_16_64 3
		.amdhsa_dx10_clamp 1
		.amdhsa_ieee_mode 1
		.amdhsa_fp16_overflow 0
		.amdhsa_tg_split 0
		.amdhsa_exception_fp_ieee_invalid_op 0
		.amdhsa_exception_fp_denorm_src 0
		.amdhsa_exception_fp_ieee_div_zero 0
		.amdhsa_exception_fp_ieee_overflow 0
		.amdhsa_exception_fp_ieee_underflow 0
		.amdhsa_exception_fp_ieee_inexact 0
		.amdhsa_exception_int_div_zero 0
	.end_amdhsa_kernel
	.section	.text._ZN5aiter28grouped_topk_opt_sort_kernelIN3c104HalfEDv2_fLi1ELb1ELb1ELb0EEEvPT_PKS4_PfPimiiiif,"axG",@progbits,_ZN5aiter28grouped_topk_opt_sort_kernelIN3c104HalfEDv2_fLi1ELb1ELb1ELb0EEEvPT_PKS4_PfPimiiiif,comdat
.Lfunc_end170:
	.size	_ZN5aiter28grouped_topk_opt_sort_kernelIN3c104HalfEDv2_fLi1ELb1ELb1ELb0EEEvPT_PKS4_PfPimiiiif, .Lfunc_end170-_ZN5aiter28grouped_topk_opt_sort_kernelIN3c104HalfEDv2_fLi1ELb1ELb1ELb0EEEvPT_PKS4_PfPimiiiif
                                        ; -- End function
	.section	.AMDGPU.csdata,"",@progbits
; Kernel info:
; codeLenInByte = 768
; NumSgprs: 16
; NumVgprs: 9
; NumAgprs: 0
; TotalNumVgprs: 9
; ScratchSize: 0
; MemoryBound: 0
; FloatMode: 240
; IeeeMode: 1
; LDSByteSize: 0 bytes/workgroup (compile time only)
; SGPRBlocks: 1
; VGPRBlocks: 1
; NumSGPRsForWavesPerEU: 16
; NumVGPRsForWavesPerEU: 9
; AccumOffset: 12
; Occupancy: 8
; WaveLimiterHint : 0
; COMPUTE_PGM_RSRC2:SCRATCH_EN: 0
; COMPUTE_PGM_RSRC2:USER_SGPR: 6
; COMPUTE_PGM_RSRC2:TRAP_HANDLER: 0
; COMPUTE_PGM_RSRC2:TGID_X_EN: 1
; COMPUTE_PGM_RSRC2:TGID_Y_EN: 0
; COMPUTE_PGM_RSRC2:TGID_Z_EN: 0
; COMPUTE_PGM_RSRC2:TIDIG_COMP_CNT: 0
; COMPUTE_PGM_RSRC3_GFX90A:ACCUM_OFFSET: 2
; COMPUTE_PGM_RSRC3_GFX90A:TG_SPLIT: 0
	.section	.text._ZN5aiter28grouped_topk_opt_sort_kernelIN3c108BFloat16EDv2_fLi1ELb1ELb1ELb0EEEvPT_PKS4_PfPimiiiif,"axG",@progbits,_ZN5aiter28grouped_topk_opt_sort_kernelIN3c108BFloat16EDv2_fLi1ELb1ELb1ELb0EEEvPT_PKS4_PfPimiiiif,comdat
	.protected	_ZN5aiter28grouped_topk_opt_sort_kernelIN3c108BFloat16EDv2_fLi1ELb1ELb1ELb0EEEvPT_PKS4_PfPimiiiif ; -- Begin function _ZN5aiter28grouped_topk_opt_sort_kernelIN3c108BFloat16EDv2_fLi1ELb1ELb1ELb0EEEvPT_PKS4_PfPimiiiif
	.globl	_ZN5aiter28grouped_topk_opt_sort_kernelIN3c108BFloat16EDv2_fLi1ELb1ELb1ELb0EEEvPT_PKS4_PfPimiiiif
	.p2align	8
	.type	_ZN5aiter28grouped_topk_opt_sort_kernelIN3c108BFloat16EDv2_fLi1ELb1ELb1ELb0EEEvPT_PKS4_PfPimiiiif,@function
_ZN5aiter28grouped_topk_opt_sort_kernelIN3c108BFloat16EDv2_fLi1ELb1ELb1ELb0EEEvPT_PKS4_PfPimiiiif: ; @_ZN5aiter28grouped_topk_opt_sort_kernelIN3c108BFloat16EDv2_fLi1ELb1ELb1ELb0EEEvPT_PKS4_PfPimiiiif
; %bb.0:
	s_load_dword s3, s[4:5], 0x28
	s_load_dwordx4 s[8:11], s[4:5], 0x0
	s_load_dword s2, s[4:5], 0x30
	v_lshlrev_b32_e32 v1, 2, v0
	s_mov_b32 s4, 0xc2fc0000
	s_waitcnt lgkmcnt(0)
	s_mul_i32 s0, s6, s3
	s_ashr_i32 s1, s0, 31
	s_lshl_b64 s[0:1], s[0:1], 1
	s_add_u32 s0, s8, s0
	s_addc_u32 s1, s9, s1
	global_load_dword v2, v1, s[0:1]
	global_load_dword v4, v1, s[10:11]
	s_mov_b32 s0, 0x652b82fe
	s_mov_b32 s1, 0xbff71547
	v_mov_b32_e32 v1, 0x42800000
	v_mov_b32_e32 v8, 0x1f800000
	s_cmp_lt_i32 s2, 1
	s_waitcnt vmcnt(1)
	v_and_b32_e32 v5, 0xffff, v2
	v_lshrrev_b32_e32 v6, 16, v2
	s_waitcnt vmcnt(0)
	v_cvt_f32_u32_sdwa v3, v4 dst_sel:DWORD dst_unused:UNUSED_PAD src0_sel:WORD_1
	v_cvt_f32_u32_sdwa v2, v4 dst_sel:DWORD dst_unused:UNUSED_PAD src0_sel:WORD_0
	v_cvt_f64_u32_e32 v[4:5], v5
	v_cvt_f64_u32_e32 v[6:7], v6
	v_mul_f64 v[4:5], v[4:5], s[0:1]
	v_mul_f64 v[6:7], v[6:7], s[0:1]
	v_cvt_f32_f64_e32 v4, v[4:5]
	v_cvt_f32_f64_e32 v5, v[6:7]
	v_cmp_gt_f32_e32 vcc, s4, v4
	v_cmp_gt_f32_e64 s[0:1], s4, v5
	v_cndmask_b32_e32 v6, 0, v1, vcc
	v_cndmask_b32_e64 v1, 0, v1, s[0:1]
	v_add_f32_e32 v4, v4, v6
	v_add_f32_e32 v1, v5, v1
	v_exp_f32_e32 v4, v4
	v_exp_f32_e32 v1, v1
	v_cndmask_b32_e32 v5, 1.0, v8, vcc
	v_cndmask_b32_e64 v6, 1.0, v8, s[0:1]
	v_fma_f32 v4, v4, v5, 1.0
	v_fma_f32 v1, v1, v6, 1.0
	v_rcp_f32_e32 v4, v4
	v_rcp_f32_e32 v5, v1
	v_lshl_add_u32 v7, v0, 3, 0
	v_mov_b32_e32 v6, 0xff800000
	v_pk_add_f32 v[0:1], v[4:5], v[2:3]
	v_cmp_o_f32_e32 vcc, v1, v1
	v_cndmask_b32_e32 v1, v6, v1, vcc
	v_cmp_o_f32_e32 vcc, v0, v0
	v_cndmask_b32_e32 v0, v6, v0, vcc
	ds_write_b64 v7, v[0:1]
	s_cbranch_scc1 .LBB171_7
; %bb.1:
	s_lshl_b32 s0, s3, 2
	s_add_i32 s0, s0, 0
	s_cmp_lt_u32 s2, 8
	s_cbranch_scc1 .LBB171_4
; %bb.2:
	s_and_b32 s1, s2, 0x7ffffff8
	v_mov_b32_e32 v0, s0
	s_mov_b32 s3, 0xff800000
	v_mov_b32_e32 v1, 0xff800000
.LBB171_3:                              ; =>This Inner Loop Header: Depth=1
	ds_read_b32 v2, v0
	s_add_i32 s1, s1, -8
	s_cmp_lg_u32 s1, 0
	s_waitcnt lgkmcnt(0)
	v_cmp_nlg_f32_e32 vcc, s3, v2
	v_cndmask_b32_e64 v2, 0, 1, vcc
	v_lshlrev_b32_e32 v2, 2, v2
	v_add_u32_e32 v2, s0, v2
	ds_write_b32 v2, v1
	ds_read_b32 v2, v0
	s_waitcnt lgkmcnt(0)
	v_cmp_nlg_f32_e32 vcc, s3, v2
	v_cndmask_b32_e64 v2, 0, 1, vcc
	v_lshlrev_b32_e32 v2, 2, v2
	v_add_u32_e32 v2, s0, v2
	ds_write_b32 v2, v1
	ds_read_b32 v2, v0
	;; [unrolled: 7-line block ×7, first 2 shown]
	s_waitcnt lgkmcnt(0)
	v_cmp_nlg_f32_e32 vcc, s3, v2
	v_cndmask_b32_e64 v2, 0, 1, vcc
	v_lshlrev_b32_e32 v2, 2, v2
	v_add_u32_e32 v2, s0, v2
	ds_write_b32 v2, v1
	s_cbranch_scc1 .LBB171_3
.LBB171_4:
	s_and_b32 s1, s2, 7
	s_cmp_eq_u32 s1, 0
	s_cbranch_scc1 .LBB171_7
; %bb.5:
	v_mov_b32_e32 v0, s0
	s_mov_b32 s2, 0xff800000
	v_mov_b32_e32 v1, 0xff800000
.LBB171_6:                              ; =>This Inner Loop Header: Depth=1
	ds_read_b32 v2, v0
	s_add_i32 s1, s1, -1
	s_cmp_lg_u32 s1, 0
	s_waitcnt lgkmcnt(0)
	v_cmp_nlg_f32_e32 vcc, s2, v2
	v_cndmask_b32_e64 v2, 0, 1, vcc
	v_lshlrev_b32_e32 v2, 2, v2
	v_add_u32_e32 v2, s0, v2
	ds_write_b32 v2, v1
	s_cbranch_scc1 .LBB171_6
.LBB171_7:
	s_endpgm
	.section	.rodata,"a",@progbits
	.p2align	6, 0x0
	.amdhsa_kernel _ZN5aiter28grouped_topk_opt_sort_kernelIN3c108BFloat16EDv2_fLi1ELb1ELb1ELb0EEEvPT_PKS4_PfPimiiiif
		.amdhsa_group_segment_fixed_size 0
		.amdhsa_private_segment_fixed_size 0
		.amdhsa_kernarg_size 60
		.amdhsa_user_sgpr_count 6
		.amdhsa_user_sgpr_private_segment_buffer 1
		.amdhsa_user_sgpr_dispatch_ptr 0
		.amdhsa_user_sgpr_queue_ptr 0
		.amdhsa_user_sgpr_kernarg_segment_ptr 1
		.amdhsa_user_sgpr_dispatch_id 0
		.amdhsa_user_sgpr_flat_scratch_init 0
		.amdhsa_user_sgpr_kernarg_preload_length 0
		.amdhsa_user_sgpr_kernarg_preload_offset 0
		.amdhsa_user_sgpr_private_segment_size 0
		.amdhsa_uses_dynamic_stack 0
		.amdhsa_system_sgpr_private_segment_wavefront_offset 0
		.amdhsa_system_sgpr_workgroup_id_x 1
		.amdhsa_system_sgpr_workgroup_id_y 0
		.amdhsa_system_sgpr_workgroup_id_z 0
		.amdhsa_system_sgpr_workgroup_info 0
		.amdhsa_system_vgpr_workitem_id 0
		.amdhsa_next_free_vgpr 9
		.amdhsa_next_free_sgpr 12
		.amdhsa_accum_offset 12
		.amdhsa_reserve_vcc 1
		.amdhsa_reserve_flat_scratch 0
		.amdhsa_float_round_mode_32 0
		.amdhsa_float_round_mode_16_64 0
		.amdhsa_float_denorm_mode_32 3
		.amdhsa_float_denorm_mode_16_64 3
		.amdhsa_dx10_clamp 1
		.amdhsa_ieee_mode 1
		.amdhsa_fp16_overflow 0
		.amdhsa_tg_split 0
		.amdhsa_exception_fp_ieee_invalid_op 0
		.amdhsa_exception_fp_denorm_src 0
		.amdhsa_exception_fp_ieee_div_zero 0
		.amdhsa_exception_fp_ieee_overflow 0
		.amdhsa_exception_fp_ieee_underflow 0
		.amdhsa_exception_fp_ieee_inexact 0
		.amdhsa_exception_int_div_zero 0
	.end_amdhsa_kernel
	.section	.text._ZN5aiter28grouped_topk_opt_sort_kernelIN3c108BFloat16EDv2_fLi1ELb1ELb1ELb0EEEvPT_PKS4_PfPimiiiif,"axG",@progbits,_ZN5aiter28grouped_topk_opt_sort_kernelIN3c108BFloat16EDv2_fLi1ELb1ELb1ELb0EEEvPT_PKS4_PfPimiiiif,comdat
.Lfunc_end171:
	.size	_ZN5aiter28grouped_topk_opt_sort_kernelIN3c108BFloat16EDv2_fLi1ELb1ELb1ELb0EEEvPT_PKS4_PfPimiiiif, .Lfunc_end171-_ZN5aiter28grouped_topk_opt_sort_kernelIN3c108BFloat16EDv2_fLi1ELb1ELb1ELb0EEEvPT_PKS4_PfPimiiiif
                                        ; -- End function
	.section	.AMDGPU.csdata,"",@progbits
; Kernel info:
; codeLenInByte = 772
; NumSgprs: 16
; NumVgprs: 9
; NumAgprs: 0
; TotalNumVgprs: 9
; ScratchSize: 0
; MemoryBound: 0
; FloatMode: 240
; IeeeMode: 1
; LDSByteSize: 0 bytes/workgroup (compile time only)
; SGPRBlocks: 1
; VGPRBlocks: 1
; NumSGPRsForWavesPerEU: 16
; NumVGPRsForWavesPerEU: 9
; AccumOffset: 12
; Occupancy: 8
; WaveLimiterHint : 0
; COMPUTE_PGM_RSRC2:SCRATCH_EN: 0
; COMPUTE_PGM_RSRC2:USER_SGPR: 6
; COMPUTE_PGM_RSRC2:TRAP_HANDLER: 0
; COMPUTE_PGM_RSRC2:TGID_X_EN: 1
; COMPUTE_PGM_RSRC2:TGID_Y_EN: 0
; COMPUTE_PGM_RSRC2:TGID_Z_EN: 0
; COMPUTE_PGM_RSRC2:TIDIG_COMP_CNT: 0
; COMPUTE_PGM_RSRC3_GFX90A:ACCUM_OFFSET: 2
; COMPUTE_PGM_RSRC3_GFX90A:TG_SPLIT: 0
	.section	.text._ZN5aiter19grouped_topk_kernelIfDv2_fLi1ELb1ELb1ELb0EEEvPT_PKS2_PfPimiiiif,"axG",@progbits,_ZN5aiter19grouped_topk_kernelIfDv2_fLi1ELb1ELb1ELb0EEEvPT_PKS2_PfPimiiiif,comdat
	.protected	_ZN5aiter19grouped_topk_kernelIfDv2_fLi1ELb1ELb1ELb0EEEvPT_PKS2_PfPimiiiif ; -- Begin function _ZN5aiter19grouped_topk_kernelIfDv2_fLi1ELb1ELb1ELb0EEEvPT_PKS2_PfPimiiiif
	.globl	_ZN5aiter19grouped_topk_kernelIfDv2_fLi1ELb1ELb1ELb0EEEvPT_PKS2_PfPimiiiif
	.p2align	8
	.type	_ZN5aiter19grouped_topk_kernelIfDv2_fLi1ELb1ELb1ELb0EEEvPT_PKS2_PfPimiiiif,@function
_ZN5aiter19grouped_topk_kernelIfDv2_fLi1ELb1ELb1ELb0EEEvPT_PKS2_PfPimiiiif: ; @_ZN5aiter19grouped_topk_kernelIfDv2_fLi1ELb1ELb1ELb0EEEvPT_PKS2_PfPimiiiif
; %bb.0:
	s_load_dwordx2 s[12:13], s[4:5], 0x28
	s_load_dwordx4 s[8:11], s[4:5], 0x8
	s_load_dwordx2 s[14:15], s[4:5], 0x18
	s_waitcnt lgkmcnt(0)
	s_lshr_b32 s0, s12, 31
	s_add_i32 s0, s12, s0
	s_ashr_i32 s7, s0, 1
	v_cmp_gt_i32_e64 s[0:1], s7, v0
	s_and_saveexec_b64 s[16:17], s[0:1]
	s_cbranch_execz .LBB172_3
; %bb.1:
	s_load_dwordx2 s[2:3], s[4:5], 0x0
	s_load_dword s20, s[4:5], 0x4c
	s_mul_i32 s18, s6, s12
	s_ashr_i32 s19, s18, 31
	s_lshl_b64 s[18:19], s[18:19], 2
	s_waitcnt lgkmcnt(0)
	s_add_u32 s12, s2, s18
	s_addc_u32 s2, s3, s19
	s_and_b32 s20, s20, 0xffff
	s_mov_b32 s3, 0
	v_lshlrev_b32_e32 v2, 3, v0
	v_mov_b32_e32 v1, 0
	s_lshl_b32 s21, s20, 3
	v_add_u32_e32 v3, 0, v2
	s_mov_b64 s[18:19], 0
	v_mov_b32_e32 v4, s2
	v_mov_b32_e32 v5, s9
	s_mov_b32 s22, 0xbfb8aa3b
	s_mov_b32 s23, 0x42ce8ed0
	;; [unrolled: 1-line block ×3, first 2 shown]
	v_mov_b32_e32 v6, 0x7f800000
	v_mov_b32_e32 v7, s3
	v_mov_b32_e32 v8, v0
.LBB172_2:                              ; =>This Inner Loop Header: Depth=1
	v_add_co_u32_e32 v10, vcc, s12, v2
	v_addc_co_u32_e32 v11, vcc, v4, v1, vcc
	global_load_dwordx2 v[10:11], v[10:11], off
	v_add_co_u32_e32 v12, vcc, s8, v2
	v_addc_co_u32_e32 v13, vcc, v5, v1, vcc
	global_load_dwordx2 v[12:13], v[12:13], off
	v_add_co_u32_e32 v2, vcc, s21, v2
	v_add_u32_e32 v8, s20, v8
	v_addc_co_u32_e32 v1, vcc, v1, v7, vcc
	v_cmp_le_i32_e32 vcc, s7, v8
	s_or_b64 s[18:19], vcc, s[18:19]
	s_waitcnt vmcnt(1)
	v_mul_f32_e32 v9, 0xbfb8aa3b, v11
	v_mul_f32_e32 v14, 0xbfb8aa3b, v10
	v_fma_f32 v15, v11, s22, -v9
	v_rndne_f32_e32 v16, v9
	v_fma_f32 v17, v10, s22, -v14
	v_rndne_f32_e32 v18, v14
	v_fmac_f32_e32 v15, 0xb2a5705f, v11
	v_sub_f32_e32 v9, v9, v16
	v_fmac_f32_e32 v17, 0xb2a5705f, v10
	v_sub_f32_e32 v14, v14, v18
	v_add_f32_e32 v9, v9, v15
	v_add_f32_e32 v14, v14, v17
	v_cvt_i32_f32_e32 v16, v16
	v_cvt_i32_f32_e32 v18, v18
	v_exp_f32_e32 v9, v9
	v_exp_f32_e32 v14, v14
	v_cmp_nlt_f32_e32 vcc, s23, v10
	v_cmp_nlt_f32_e64 s[2:3], s23, v11
	v_ldexp_f32 v9, v9, v16
	v_ldexp_f32 v14, v14, v18
	v_cndmask_b32_e64 v9, 0, v9, s[2:3]
	v_cndmask_b32_e32 v14, 0, v14, vcc
	v_cmp_ngt_f32_e32 vcc, s24, v10
	v_cmp_ngt_f32_e64 s[2:3], s24, v11
	v_cndmask_b32_e64 v11, v6, v9, s[2:3]
	v_cndmask_b32_e32 v10, v6, v14, vcc
	v_pk_add_f32 v[10:11], v[10:11], 1.0 op_sel_hi:[1,0]
	v_div_scale_f32 v9, s[2:3], v11, v11, 1.0
	v_div_scale_f32 v15, s[2:3], v10, v10, 1.0
	v_rcp_f32_e32 v17, v9
	v_rcp_f32_e32 v18, v15
	v_div_scale_f32 v14, vcc, 1.0, v11, 1.0
	v_fma_f32 v19, -v9, v17, 1.0
	v_fma_f32 v20, -v15, v18, 1.0
	v_fmac_f32_e32 v17, v19, v17
	v_div_scale_f32 v16, s[2:3], 1.0, v10, 1.0
	v_fmac_f32_e32 v18, v20, v18
	v_mul_f32_e32 v19, v14, v17
	v_mul_f32_e32 v20, v16, v18
	v_fma_f32 v21, -v9, v19, v14
	v_fma_f32 v22, -v15, v20, v16
	v_fmac_f32_e32 v19, v21, v17
	v_fmac_f32_e32 v20, v22, v18
	v_fma_f32 v9, -v9, v19, v14
	v_fma_f32 v14, -v15, v20, v16
	v_div_fmas_f32 v9, v9, v17, v19
	s_mov_b64 vcc, s[2:3]
	v_div_fixup_f32 v11, v9, v11, 1.0
	v_div_fmas_f32 v9, v14, v18, v20
	v_div_fixup_f32 v10, v9, v10, 1.0
	s_waitcnt vmcnt(0)
	v_pk_add_f32 v[10:11], v[12:13], v[10:11]
	ds_write_b64 v3, v[10:11]
	v_add_u32_e32 v3, s21, v3
	s_andn2_b64 exec, exec, s[18:19]
	s_cbranch_execnz .LBB172_2
.LBB172_3:
	s_or_b64 exec, exec, s[16:17]
	s_cmp_lt_i32 s13, 1
	s_waitcnt lgkmcnt(0)
	s_barrier
	s_cbranch_scc1 .LBB172_10
; %bb.4:
	s_add_u32 s2, s4, 64
	s_addc_u32 s3, s5, 0
	v_lshlrev_b32_e32 v4, 1, v0
	s_mov_b32 s12, 0
	v_lshl_add_u32 v5, v0, 3, 0
	v_mov_b32_e32 v2, 0
	v_mov_b32_e32 v6, 0xff800000
                                        ; implicit-def: $vgpr3
                                        ; implicit-def: $vgpr1
	s_branch .LBB172_6
.LBB172_5:                              ;   in Loop: Header=BB172_6 Depth=1
	s_or_b64 exec, exec, s[16:17]
	v_mov_b32_dpp v10, v8 quad_perm:[1,0,3,2] row_mask:0xf bank_mask:0xf
	v_cmp_lt_f32_e32 vcc, v8, v10
	v_cndmask_b32_e32 v8, v8, v10, vcc
	v_mov_b32_dpp v9, v7 quad_perm:[1,0,3,2] row_mask:0xf bank_mask:0xf
	v_cndmask_b32_e32 v7, v7, v9, vcc
	v_mov_b32_dpp v10, v8 quad_perm:[2,3,0,1] row_mask:0xf bank_mask:0xf
	v_cmp_gt_f32_e32 vcc, v10, v8
	v_cndmask_b32_e32 v8, v8, v10, vcc
	v_mov_b32_dpp v9, v7 quad_perm:[2,3,0,1] row_mask:0xf bank_mask:0xf
	v_cndmask_b32_e32 v7, v7, v9, vcc
	v_mov_b32_dpp v10, v8 row_half_mirror row_mask:0xf bank_mask:0xf
	v_cmp_gt_f32_e32 vcc, v10, v8
	v_cndmask_b32_e32 v8, v8, v10, vcc
	v_mov_b32_dpp v9, v7 row_half_mirror row_mask:0xf bank_mask:0xf
	v_cndmask_b32_e32 v7, v7, v9, vcc
	v_mov_b32_dpp v10, v8 row_mirror row_mask:0xf bank_mask:0xf
	v_cmp_gt_f32_e32 vcc, v10, v8
	v_cndmask_b32_e32 v8, v8, v10, vcc
	v_mov_b32_dpp v9, v7 row_mirror row_mask:0xf bank_mask:0xf
	v_cndmask_b32_e32 v7, v7, v9, vcc
	v_mov_b32_dpp v10, v8 row_bcast:15 row_mask:0xf bank_mask:0xf
	v_cmp_gt_f32_e32 vcc, v10, v8
	v_mov_b32_dpp v9, v7 row_bcast:15 row_mask:0xf bank_mask:0xf
	v_cndmask_b32_e32 v8, v8, v10, vcc
	v_cndmask_b32_e32 v7, v7, v9, vcc
	s_nop 0
	v_mov_b32_dpp v10, v8 row_bcast:31 row_mask:0xf bank_mask:0xf
	v_mov_b32_dpp v9, v7 row_bcast:31 row_mask:0xf bank_mask:0xf
	v_cmp_gt_f32_e32 vcc, v10, v8
	v_cndmask_b32_e32 v7, v7, v9, vcc
	v_readlane_b32 s16, v7, 63
	s_ashr_i32 s17, s16, 31
	s_lshl_b64 s[18:19], s[16:17], 2
	s_add_u32 s18, s8, s18
	s_addc_u32 s19, s9, s19
	s_load_dword s17, s[18:19], 0x0
	v_cndmask_b32_e32 v7, v8, v10, vcc
	v_readlane_b32 s18, v7, 63
	v_cmp_eq_u32_e32 vcc, s12, v0
	s_add_i32 s12, s12, 1
	s_waitcnt lgkmcnt(0)
	v_mov_b32_e32 v7, s17
	s_lshl_b32 s17, s16, 2
	s_add_i32 s17, s17, 0
	v_mov_b32_e32 v8, s17
	v_sub_f32_e32 v7, s18, v7
	ds_write_b32 v8, v6
	v_mov_b32_e32 v8, s16
	v_cndmask_b32_e32 v1, v1, v8, vcc
	v_cndmask_b32_e32 v3, v3, v7, vcc
	s_cmp_eq_u32 s12, s13
	v_add_f32_e32 v2, v2, v7
	s_cbranch_scc1 .LBB172_11
.LBB172_6:                              ; =>This Loop Header: Depth=1
                                        ;     Child Loop BB172_8 Depth 2
	v_mov_b32_e32 v7, s12
	v_mov_b32_e32 v8, 0xff800000
	s_and_saveexec_b64 s[16:17], s[0:1]
	s_cbranch_execz .LBB172_5
; %bb.7:                                ;   in Loop: Header=BB172_6 Depth=1
	s_load_dword s20, s[2:3], 0xc
	s_mov_b64 s[18:19], 0
	v_mov_b32_e32 v7, s12
	v_mov_b32_e32 v8, 0xff800000
	;; [unrolled: 1-line block ×3, first 2 shown]
	s_waitcnt lgkmcnt(0)
	s_and_b32 s20, s20, 0xffff
	s_lshl_b32 s21, s20, 1
	s_lshl_b32 s22, s20, 3
	v_mov_b32_e32 v10, v4
	v_mov_b32_e32 v11, v0
.LBB172_8:                              ;   Parent Loop BB172_6 Depth=1
                                        ; =>  This Inner Loop Header: Depth=2
	ds_read_b64 v[12:13], v9
	v_add_u32_e32 v11, s20, v11
	v_cmp_le_i32_e32 vcc, s7, v11
	s_or_b64 s[18:19], vcc, s[18:19]
	v_add_u32_e32 v14, 1, v10
	s_waitcnt lgkmcnt(0)
	v_cmp_gt_f32_e32 vcc, v12, v8
	v_cndmask_b32_e32 v8, v8, v12, vcc
	v_cndmask_b32_e32 v7, v7, v10, vcc
	v_cmp_gt_f32_e32 vcc, v13, v8
	v_add_u32_e32 v9, s22, v9
	v_cndmask_b32_e32 v8, v8, v13, vcc
	v_add_u32_e32 v10, s21, v10
	v_cndmask_b32_e32 v7, v7, v14, vcc
	s_andn2_b64 exec, exec, s[18:19]
	s_cbranch_execnz .LBB172_8
; %bb.9:                                ;   in Loop: Header=BB172_6 Depth=1
	s_or_b64 exec, exec, s[18:19]
	s_branch .LBB172_5
.LBB172_10:
	v_mov_b32_e32 v2, 0
                                        ; implicit-def: $vgpr3
                                        ; implicit-def: $vgpr1
.LBB172_11:
	v_cmp_gt_i32_e32 vcc, s13, v0
	s_and_saveexec_b64 s[0:1], vcc
	s_cbranch_execz .LBB172_14
; %bb.12:
	s_load_dword s7, s[4:5], 0x38
	s_load_dwordx2 s[0:1], s[4:5], 0x20
	s_load_dword s8, s[4:5], 0x4c
	s_waitcnt lgkmcnt(0)
	v_div_scale_f32 v4, s[2:3], v2, v2, s7
	v_rcp_f32_e32 v5, v4
	v_div_scale_f32 v6, vcc, s7, v2, s7
	s_ashr_i32 s2, s6, 31
	v_fma_f32 v7, -v4, v5, 1.0
	v_fmac_f32_e32 v5, v7, v5
	v_mul_f32_e32 v7, v6, v5
	v_fma_f32 v8, -v4, v7, v6
	v_fmac_f32_e32 v7, v8, v5
	v_fma_f32 v4, -v4, v7, v6
	s_mul_i32 s1, s6, s1
	s_mul_hi_u32 s3, s6, s0
	v_div_fmas_f32 v4, v4, v5, v7
	s_add_i32 s1, s3, s1
	s_mul_i32 s2, s2, s0
	v_div_fixup_f32 v2, v4, v2, s7
	s_add_i32 s4, s1, s2
	v_mul_f32_e32 v2, v2, v3
	s_mul_i32 s2, s6, s0
	s_and_b32 s3, s8, 0xffff
	s_mov_b64 s[0:1], 0
	v_mov_b32_e32 v3, s4
	v_mov_b32_e32 v4, s11
	;; [unrolled: 1-line block ×3, first 2 shown]
.LBB172_13:                             ; =>This Inner Loop Header: Depth=1
	v_ashrrev_i32_e32 v7, 31, v0
	v_add_co_u32_e32 v6, vcc, s2, v0
	v_addc_co_u32_e32 v7, vcc, v3, v7, vcc
	v_add_u32_e32 v0, s3, v0
	v_cmp_le_i32_e32 vcc, s13, v0
	v_lshlrev_b64 v[6:7], 2, v[6:7]
	s_or_b64 s[0:1], vcc, s[0:1]
	v_add_co_u32_e32 v8, vcc, s10, v6
	v_addc_co_u32_e32 v9, vcc, v4, v7, vcc
	v_add_co_u32_e32 v6, vcc, s14, v6
	v_addc_co_u32_e32 v7, vcc, v5, v7, vcc
	global_store_dword v[8:9], v2, off
	global_store_dword v[6:7], v1, off
	s_andn2_b64 exec, exec, s[0:1]
	s_cbranch_execnz .LBB172_13
.LBB172_14:
	s_endpgm
	.section	.rodata,"a",@progbits
	.p2align	6, 0x0
	.amdhsa_kernel _ZN5aiter19grouped_topk_kernelIfDv2_fLi1ELb1ELb1ELb0EEEvPT_PKS2_PfPimiiiif
		.amdhsa_group_segment_fixed_size 0
		.amdhsa_private_segment_fixed_size 0
		.amdhsa_kernarg_size 320
		.amdhsa_user_sgpr_count 6
		.amdhsa_user_sgpr_private_segment_buffer 1
		.amdhsa_user_sgpr_dispatch_ptr 0
		.amdhsa_user_sgpr_queue_ptr 0
		.amdhsa_user_sgpr_kernarg_segment_ptr 1
		.amdhsa_user_sgpr_dispatch_id 0
		.amdhsa_user_sgpr_flat_scratch_init 0
		.amdhsa_user_sgpr_kernarg_preload_length 0
		.amdhsa_user_sgpr_kernarg_preload_offset 0
		.amdhsa_user_sgpr_private_segment_size 0
		.amdhsa_uses_dynamic_stack 0
		.amdhsa_system_sgpr_private_segment_wavefront_offset 0
		.amdhsa_system_sgpr_workgroup_id_x 1
		.amdhsa_system_sgpr_workgroup_id_y 0
		.amdhsa_system_sgpr_workgroup_id_z 0
		.amdhsa_system_sgpr_workgroup_info 0
		.amdhsa_system_vgpr_workitem_id 0
		.amdhsa_next_free_vgpr 23
		.amdhsa_next_free_sgpr 25
		.amdhsa_accum_offset 24
		.amdhsa_reserve_vcc 1
		.amdhsa_reserve_flat_scratch 0
		.amdhsa_float_round_mode_32 0
		.amdhsa_float_round_mode_16_64 0
		.amdhsa_float_denorm_mode_32 3
		.amdhsa_float_denorm_mode_16_64 3
		.amdhsa_dx10_clamp 1
		.amdhsa_ieee_mode 1
		.amdhsa_fp16_overflow 0
		.amdhsa_tg_split 0
		.amdhsa_exception_fp_ieee_invalid_op 0
		.amdhsa_exception_fp_denorm_src 0
		.amdhsa_exception_fp_ieee_div_zero 0
		.amdhsa_exception_fp_ieee_overflow 0
		.amdhsa_exception_fp_ieee_underflow 0
		.amdhsa_exception_fp_ieee_inexact 0
		.amdhsa_exception_int_div_zero 0
	.end_amdhsa_kernel
	.section	.text._ZN5aiter19grouped_topk_kernelIfDv2_fLi1ELb1ELb1ELb0EEEvPT_PKS2_PfPimiiiif,"axG",@progbits,_ZN5aiter19grouped_topk_kernelIfDv2_fLi1ELb1ELb1ELb0EEEvPT_PKS2_PfPimiiiif,comdat
.Lfunc_end172:
	.size	_ZN5aiter19grouped_topk_kernelIfDv2_fLi1ELb1ELb1ELb0EEEvPT_PKS2_PfPimiiiif, .Lfunc_end172-_ZN5aiter19grouped_topk_kernelIfDv2_fLi1ELb1ELb1ELb0EEEvPT_PKS2_PfPimiiiif
                                        ; -- End function
	.section	.AMDGPU.csdata,"",@progbits
; Kernel info:
; codeLenInByte = 1312
; NumSgprs: 29
; NumVgprs: 23
; NumAgprs: 0
; TotalNumVgprs: 23
; ScratchSize: 0
; MemoryBound: 0
; FloatMode: 240
; IeeeMode: 1
; LDSByteSize: 0 bytes/workgroup (compile time only)
; SGPRBlocks: 3
; VGPRBlocks: 2
; NumSGPRsForWavesPerEU: 29
; NumVGPRsForWavesPerEU: 23
; AccumOffset: 24
; Occupancy: 8
; WaveLimiterHint : 0
; COMPUTE_PGM_RSRC2:SCRATCH_EN: 0
; COMPUTE_PGM_RSRC2:USER_SGPR: 6
; COMPUTE_PGM_RSRC2:TRAP_HANDLER: 0
; COMPUTE_PGM_RSRC2:TGID_X_EN: 1
; COMPUTE_PGM_RSRC2:TGID_Y_EN: 0
; COMPUTE_PGM_RSRC2:TGID_Z_EN: 0
; COMPUTE_PGM_RSRC2:TIDIG_COMP_CNT: 0
; COMPUTE_PGM_RSRC3_GFX90A:ACCUM_OFFSET: 5
; COMPUTE_PGM_RSRC3_GFX90A:TG_SPLIT: 0
	.section	.text._ZN5aiter19grouped_topk_kernelIN3c104HalfEDv2_fLi1ELb1ELb1ELb0EEEvPT_PKS4_PfPimiiiif,"axG",@progbits,_ZN5aiter19grouped_topk_kernelIN3c104HalfEDv2_fLi1ELb1ELb1ELb0EEEvPT_PKS4_PfPimiiiif,comdat
	.protected	_ZN5aiter19grouped_topk_kernelIN3c104HalfEDv2_fLi1ELb1ELb1ELb0EEEvPT_PKS4_PfPimiiiif ; -- Begin function _ZN5aiter19grouped_topk_kernelIN3c104HalfEDv2_fLi1ELb1ELb1ELb0EEEvPT_PKS4_PfPimiiiif
	.globl	_ZN5aiter19grouped_topk_kernelIN3c104HalfEDv2_fLi1ELb1ELb1ELb0EEEvPT_PKS4_PfPimiiiif
	.p2align	8
	.type	_ZN5aiter19grouped_topk_kernelIN3c104HalfEDv2_fLi1ELb1ELb1ELb0EEEvPT_PKS4_PfPimiiiif,@function
_ZN5aiter19grouped_topk_kernelIN3c104HalfEDv2_fLi1ELb1ELb1ELb0EEEvPT_PKS4_PfPimiiiif: ; @_ZN5aiter19grouped_topk_kernelIN3c104HalfEDv2_fLi1ELb1ELb1ELb0EEEvPT_PKS4_PfPimiiiif
; %bb.0:
	s_load_dwordx2 s[12:13], s[4:5], 0x28
	s_load_dwordx4 s[8:11], s[4:5], 0x8
	s_load_dwordx2 s[14:15], s[4:5], 0x18
	v_lshl_add_u32 v3, v0, 3, 0
	s_waitcnt lgkmcnt(0)
	s_lshr_b32 s0, s12, 31
	s_add_i32 s0, s12, s0
	s_ashr_i32 s7, s0, 1
	v_cmp_gt_i32_e64 s[0:1], s7, v0
	s_and_saveexec_b64 s[16:17], s[0:1]
	s_cbranch_execz .LBB173_3
; %bb.1:
	s_load_dwordx2 s[2:3], s[4:5], 0x0
	s_load_dword s20, s[4:5], 0x4c
	s_mul_i32 s18, s6, s12
	s_ashr_i32 s19, s18, 31
	s_lshl_b64 s[18:19], s[18:19], 1
	s_waitcnt lgkmcnt(0)
	s_add_u32 s12, s2, s18
	s_addc_u32 s2, s3, s19
	s_and_b32 s20, s20, 0xffff
	s_mov_b32 s3, 0
	v_lshlrev_b32_e32 v2, 2, v0
	v_mov_b32_e32 v1, 0
	s_lshl_b32 s21, s20, 2
	v_lshl_add_u32 v4, v0, 3, 0
	s_lshl_b32 s22, s20, 3
	s_mov_b64 s[18:19], 0
	v_mov_b32_e32 v5, s2
	v_mov_b32_e32 v6, s9
	s_mov_b32 s23, 0x3fb8aa3b
	s_mov_b32 s24, 0x32a5705f
	;; [unrolled: 1-line block ×4, first 2 shown]
	v_mov_b32_e32 v7, 0x7f800000
	v_mov_b32_e32 v8, s3
	;; [unrolled: 1-line block ×3, first 2 shown]
.LBB173_2:                              ; =>This Inner Loop Header: Depth=1
	v_add_co_u32_e32 v10, vcc, s12, v2
	v_addc_co_u32_e32 v11, vcc, v5, v1, vcc
	v_add_co_u32_e32 v12, vcc, s8, v2
	v_addc_co_u32_e32 v13, vcc, v6, v1, vcc
	global_load_dword v14, v[10:11], off
	global_load_dword v15, v[12:13], off
	v_add_co_u32_e32 v2, vcc, s21, v2
	v_add_u32_e32 v9, s20, v9
	v_addc_co_u32_e32 v1, vcc, v1, v8, vcc
	v_cmp_le_i32_e32 vcc, s7, v9
	s_or_b64 s[18:19], vcc, s[18:19]
	s_waitcnt vmcnt(1)
	v_cvt_f32_f16_e64 v12, -v14
	v_cvt_f32_f16_sdwa v13, -v14 dst_sel:DWORD dst_unused:UNUSED_PAD src0_sel:WORD_1
	s_waitcnt vmcnt(0)
	v_cvt_f32_f16_e32 v10, v15
	v_cvt_f32_f16_sdwa v11, v15 dst_sel:DWORD dst_unused:UNUSED_PAD src0_sel:WORD_1
	v_mul_f32_e32 v15, 0x3fb8aa3b, v12
	v_mul_f32_e32 v16, 0x3fb8aa3b, v13
	v_fma_mix_f32 v17, -v14, s23, -v15 op_sel_hi:[1,0,0]
	v_rndne_f32_e32 v18, v15
	v_fma_mix_f32 v19, -v14, s23, -v16 op_sel:[1,0,0] op_sel_hi:[1,0,0]
	v_rndne_f32_e32 v20, v16
	v_fma_mix_f32 v17, -v14, s24, v17 op_sel_hi:[1,0,0]
	v_sub_f32_e32 v15, v15, v18
	v_fma_mix_f32 v14, -v14, s24, v19 op_sel:[1,0,0] op_sel_hi:[1,0,0]
	v_sub_f32_e32 v16, v16, v20
	v_add_f32_e32 v15, v15, v17
	v_add_f32_e32 v14, v16, v14
	v_cvt_i32_f32_e32 v18, v18
	v_cvt_i32_f32_e32 v19, v20
	v_exp_f32_e32 v15, v15
	v_exp_f32_e32 v14, v14
	v_cmp_ngt_f32_e32 vcc, s25, v13
	v_cmp_ngt_f32_e64 s[2:3], s25, v12
	v_ldexp_f32 v15, v15, v18
	v_ldexp_f32 v14, v14, v19
	v_cndmask_b32_e64 v15, 0, v15, s[2:3]
	v_cndmask_b32_e32 v14, 0, v14, vcc
	v_cmp_nlt_f32_e32 vcc, s26, v13
	v_cmp_nlt_f32_e64 s[2:3], s26, v12
	v_cndmask_b32_e64 v12, v7, v15, s[2:3]
	v_cndmask_b32_e32 v13, v7, v14, vcc
	v_pk_add_f32 v[12:13], v[12:13], 1.0 op_sel_hi:[1,0]
	v_div_scale_f32 v14, s[2:3], v13, v13, 1.0
	v_div_scale_f32 v16, s[2:3], v12, v12, 1.0
	v_rcp_f32_e32 v18, v14
	v_rcp_f32_e32 v19, v16
	v_div_scale_f32 v15, vcc, 1.0, v13, 1.0
	v_fma_f32 v20, -v14, v18, 1.0
	v_fma_f32 v21, -v16, v19, 1.0
	v_fmac_f32_e32 v18, v20, v18
	v_div_scale_f32 v17, s[2:3], 1.0, v12, 1.0
	v_fmac_f32_e32 v19, v21, v19
	v_mul_f32_e32 v20, v15, v18
	v_mul_f32_e32 v21, v17, v19
	v_fma_f32 v22, -v14, v20, v15
	v_fma_f32 v23, -v16, v21, v17
	v_fmac_f32_e32 v20, v22, v18
	v_fmac_f32_e32 v21, v23, v19
	v_fma_f32 v14, -v14, v20, v15
	v_fma_f32 v15, -v16, v21, v17
	v_div_fmas_f32 v14, v14, v18, v20
	s_mov_b64 vcc, s[2:3]
	v_div_fixup_f32 v13, v14, v13, 1.0
	v_div_fmas_f32 v14, v15, v19, v21
	v_div_fixup_f32 v12, v14, v12, 1.0
	v_pk_add_f32 v[10:11], v[12:13], v[10:11]
	ds_write_b64 v4, v[10:11]
	v_add_u32_e32 v4, s22, v4
	s_andn2_b64 exec, exec, s[18:19]
	s_cbranch_execnz .LBB173_2
.LBB173_3:
	s_or_b64 exec, exec, s[16:17]
	s_cmp_lt_i32 s13, 1
	s_waitcnt lgkmcnt(0)
	s_barrier
	s_cbranch_scc1 .LBB173_10
; %bb.4:
	s_add_u32 s2, s4, 64
	s_addc_u32 s3, s5, 0
	v_lshlrev_b32_e32 v5, 1, v0
	s_mov_b32 s12, 0
	v_mov_b32_e32 v6, 0
	v_mov_b32_e32 v7, 0xff800000
	;; [unrolled: 1-line block ×3, first 2 shown]
                                        ; implicit-def: $vgpr2
                                        ; implicit-def: $vgpr1
	s_branch .LBB173_6
.LBB173_5:                              ;   in Loop: Header=BB173_6 Depth=1
	s_or_b64 exec, exec, s[16:17]
	v_mov_b32_dpp v11, v9 quad_perm:[1,0,3,2] row_mask:0xf bank_mask:0xf
	v_cmp_lt_f32_e32 vcc, v9, v11
	v_cndmask_b32_e32 v9, v9, v11, vcc
	v_mov_b32_dpp v10, v8 quad_perm:[1,0,3,2] row_mask:0xf bank_mask:0xf
	v_cndmask_b32_e32 v8, v8, v10, vcc
	v_mov_b32_dpp v11, v9 quad_perm:[2,3,0,1] row_mask:0xf bank_mask:0xf
	v_cmp_gt_f32_e32 vcc, v11, v9
	v_cndmask_b32_e32 v9, v9, v11, vcc
	v_mov_b32_dpp v10, v8 quad_perm:[2,3,0,1] row_mask:0xf bank_mask:0xf
	v_cndmask_b32_e32 v8, v8, v10, vcc
	v_mov_b32_dpp v11, v9 row_half_mirror row_mask:0xf bank_mask:0xf
	v_cmp_gt_f32_e32 vcc, v11, v9
	v_cndmask_b32_e32 v9, v9, v11, vcc
	v_mov_b32_dpp v10, v8 row_half_mirror row_mask:0xf bank_mask:0xf
	v_cndmask_b32_e32 v8, v8, v10, vcc
	v_mov_b32_dpp v11, v9 row_mirror row_mask:0xf bank_mask:0xf
	v_cmp_gt_f32_e32 vcc, v11, v9
	v_cndmask_b32_e32 v9, v9, v11, vcc
	v_mov_b32_dpp v10, v8 row_mirror row_mask:0xf bank_mask:0xf
	v_cndmask_b32_e32 v8, v8, v10, vcc
	v_mov_b32_dpp v11, v9 row_bcast:15 row_mask:0xf bank_mask:0xf
	v_cmp_gt_f32_e32 vcc, v11, v9
	v_mov_b32_dpp v10, v8 row_bcast:15 row_mask:0xf bank_mask:0xf
	v_cndmask_b32_e32 v9, v9, v11, vcc
	v_cndmask_b32_e32 v8, v8, v10, vcc
	s_nop 0
	v_mov_b32_dpp v11, v9 row_bcast:31 row_mask:0xf bank_mask:0xf
	v_mov_b32_dpp v10, v8 row_bcast:31 row_mask:0xf bank_mask:0xf
	v_cmp_gt_f32_e32 vcc, v11, v9
	v_cndmask_b32_e32 v8, v8, v10, vcc
	v_readlane_b32 s16, v8, 63
	s_ashr_i32 s17, s16, 31
	s_lshl_b64 s[18:19], s[16:17], 1
	s_add_u32 s18, s8, s18
	s_addc_u32 s19, s9, s19
	global_load_ushort v8, v6, s[18:19]
	v_cndmask_b32_e32 v9, v9, v11, vcc
	v_readlane_b32 s17, v9, 63
	v_mov_b32_e32 v9, s16
	s_lshl_b32 s16, s16, 2
	v_cmp_eq_u32_e32 vcc, s12, v0
	s_add_i32 s12, s12, 1
	s_add_i32 s16, s16, 0
	v_cndmask_b32_e32 v1, v1, v9, vcc
	v_mov_b32_e32 v9, s16
	s_cmp_eq_u32 s12, s13
	ds_write_b32 v9, v7
	s_waitcnt vmcnt(0)
	v_cvt_f32_f16_e32 v8, v8
	v_sub_f32_e32 v8, s17, v8
	v_cndmask_b32_e32 v2, v2, v8, vcc
	v_add_f32_e32 v4, v4, v8
	s_cbranch_scc1 .LBB173_11
.LBB173_6:                              ; =>This Loop Header: Depth=1
                                        ;     Child Loop BB173_8 Depth 2
	v_mov_b32_e32 v8, s12
	v_mov_b32_e32 v9, 0xff800000
	s_and_saveexec_b64 s[16:17], s[0:1]
	s_cbranch_execz .LBB173_5
; %bb.7:                                ;   in Loop: Header=BB173_6 Depth=1
	s_load_dword s20, s[2:3], 0xc
	s_mov_b64 s[18:19], 0
	v_mov_b32_e32 v8, s12
	v_mov_b32_e32 v9, 0xff800000
	;; [unrolled: 1-line block ×3, first 2 shown]
	s_waitcnt lgkmcnt(0)
	s_and_b32 s20, s20, 0xffff
	s_lshl_b32 s21, s20, 1
	s_lshl_b32 s22, s20, 3
	v_mov_b32_e32 v11, v5
	v_mov_b32_e32 v12, v0
.LBB173_8:                              ;   Parent Loop BB173_6 Depth=1
                                        ; =>  This Inner Loop Header: Depth=2
	ds_read_b64 v[14:15], v10
	v_add_u32_e32 v12, s20, v12
	v_cmp_le_i32_e32 vcc, s7, v12
	s_or_b64 s[18:19], vcc, s[18:19]
	v_add_u32_e32 v13, 1, v11
	s_waitcnt lgkmcnt(0)
	v_cmp_gt_f32_e32 vcc, v14, v9
	v_cndmask_b32_e32 v9, v9, v14, vcc
	v_cndmask_b32_e32 v8, v8, v11, vcc
	v_cmp_gt_f32_e32 vcc, v15, v9
	v_add_u32_e32 v10, s22, v10
	v_cndmask_b32_e32 v9, v9, v15, vcc
	v_add_u32_e32 v11, s21, v11
	v_cndmask_b32_e32 v8, v8, v13, vcc
	s_andn2_b64 exec, exec, s[18:19]
	s_cbranch_execnz .LBB173_8
; %bb.9:                                ;   in Loop: Header=BB173_6 Depth=1
	s_or_b64 exec, exec, s[18:19]
	s_branch .LBB173_5
.LBB173_10:
	v_mov_b32_e32 v4, 0
                                        ; implicit-def: $vgpr2
                                        ; implicit-def: $vgpr1
.LBB173_11:
	v_cmp_gt_i32_e32 vcc, s13, v0
	s_and_saveexec_b64 s[0:1], vcc
	s_cbranch_execz .LBB173_14
; %bb.12:
	s_load_dword s7, s[4:5], 0x38
	s_load_dwordx2 s[0:1], s[4:5], 0x20
	s_load_dword s8, s[4:5], 0x4c
	s_waitcnt lgkmcnt(0)
	v_div_scale_f32 v3, s[2:3], v4, v4, s7
	v_rcp_f32_e32 v5, v3
	v_div_scale_f32 v6, vcc, s7, v4, s7
	s_ashr_i32 s2, s6, 31
	v_fma_f32 v7, -v3, v5, 1.0
	v_fmac_f32_e32 v5, v7, v5
	v_mul_f32_e32 v7, v6, v5
	v_fma_f32 v8, -v3, v7, v6
	v_fmac_f32_e32 v7, v8, v5
	v_fma_f32 v3, -v3, v7, v6
	s_mul_i32 s1, s6, s1
	s_mul_hi_u32 s3, s6, s0
	v_div_fmas_f32 v3, v3, v5, v7
	s_add_i32 s1, s3, s1
	s_mul_i32 s2, s2, s0
	v_div_fixup_f32 v3, v3, v4, s7
	s_add_i32 s4, s1, s2
	v_mul_f32_e32 v2, v3, v2
	s_mul_i32 s2, s6, s0
	s_and_b32 s3, s8, 0xffff
	s_mov_b64 s[0:1], 0
	v_mov_b32_e32 v3, s4
	v_mov_b32_e32 v4, s11
	;; [unrolled: 1-line block ×3, first 2 shown]
.LBB173_13:                             ; =>This Inner Loop Header: Depth=1
	v_ashrrev_i32_e32 v7, 31, v0
	v_add_co_u32_e32 v6, vcc, s2, v0
	v_addc_co_u32_e32 v7, vcc, v3, v7, vcc
	v_add_u32_e32 v0, s3, v0
	v_cmp_le_i32_e32 vcc, s13, v0
	v_lshlrev_b64 v[6:7], 2, v[6:7]
	s_or_b64 s[0:1], vcc, s[0:1]
	v_add_co_u32_e32 v8, vcc, s10, v6
	v_addc_co_u32_e32 v9, vcc, v4, v7, vcc
	v_add_co_u32_e32 v6, vcc, s14, v6
	v_addc_co_u32_e32 v7, vcc, v5, v7, vcc
	global_store_dword v[8:9], v2, off
	global_store_dword v[6:7], v1, off
	s_andn2_b64 exec, exec, s[0:1]
	s_cbranch_execnz .LBB173_13
.LBB173_14:
	s_endpgm
	.section	.rodata,"a",@progbits
	.p2align	6, 0x0
	.amdhsa_kernel _ZN5aiter19grouped_topk_kernelIN3c104HalfEDv2_fLi1ELb1ELb1ELb0EEEvPT_PKS4_PfPimiiiif
		.amdhsa_group_segment_fixed_size 0
		.amdhsa_private_segment_fixed_size 0
		.amdhsa_kernarg_size 320
		.amdhsa_user_sgpr_count 6
		.amdhsa_user_sgpr_private_segment_buffer 1
		.amdhsa_user_sgpr_dispatch_ptr 0
		.amdhsa_user_sgpr_queue_ptr 0
		.amdhsa_user_sgpr_kernarg_segment_ptr 1
		.amdhsa_user_sgpr_dispatch_id 0
		.amdhsa_user_sgpr_flat_scratch_init 0
		.amdhsa_user_sgpr_kernarg_preload_length 0
		.amdhsa_user_sgpr_kernarg_preload_offset 0
		.amdhsa_user_sgpr_private_segment_size 0
		.amdhsa_uses_dynamic_stack 0
		.amdhsa_system_sgpr_private_segment_wavefront_offset 0
		.amdhsa_system_sgpr_workgroup_id_x 1
		.amdhsa_system_sgpr_workgroup_id_y 0
		.amdhsa_system_sgpr_workgroup_id_z 0
		.amdhsa_system_sgpr_workgroup_info 0
		.amdhsa_system_vgpr_workitem_id 0
		.amdhsa_next_free_vgpr 24
		.amdhsa_next_free_sgpr 27
		.amdhsa_accum_offset 24
		.amdhsa_reserve_vcc 1
		.amdhsa_reserve_flat_scratch 0
		.amdhsa_float_round_mode_32 0
		.amdhsa_float_round_mode_16_64 0
		.amdhsa_float_denorm_mode_32 3
		.amdhsa_float_denorm_mode_16_64 3
		.amdhsa_dx10_clamp 1
		.amdhsa_ieee_mode 1
		.amdhsa_fp16_overflow 0
		.amdhsa_tg_split 0
		.amdhsa_exception_fp_ieee_invalid_op 0
		.amdhsa_exception_fp_denorm_src 0
		.amdhsa_exception_fp_ieee_div_zero 0
		.amdhsa_exception_fp_ieee_overflow 0
		.amdhsa_exception_fp_ieee_underflow 0
		.amdhsa_exception_fp_ieee_inexact 0
		.amdhsa_exception_int_div_zero 0
	.end_amdhsa_kernel
	.section	.text._ZN5aiter19grouped_topk_kernelIN3c104HalfEDv2_fLi1ELb1ELb1ELb0EEEvPT_PKS4_PfPimiiiif,"axG",@progbits,_ZN5aiter19grouped_topk_kernelIN3c104HalfEDv2_fLi1ELb1ELb1ELb0EEEvPT_PKS4_PfPimiiiif,comdat
.Lfunc_end173:
	.size	_ZN5aiter19grouped_topk_kernelIN3c104HalfEDv2_fLi1ELb1ELb1ELb0EEEvPT_PKS4_PfPimiiiif, .Lfunc_end173-_ZN5aiter19grouped_topk_kernelIN3c104HalfEDv2_fLi1ELb1ELb1ELb0EEEvPT_PKS4_PfPimiiiif
                                        ; -- End function
	.section	.AMDGPU.csdata,"",@progbits
; Kernel info:
; codeLenInByte = 1360
; NumSgprs: 31
; NumVgprs: 24
; NumAgprs: 0
; TotalNumVgprs: 24
; ScratchSize: 0
; MemoryBound: 0
; FloatMode: 240
; IeeeMode: 1
; LDSByteSize: 0 bytes/workgroup (compile time only)
; SGPRBlocks: 3
; VGPRBlocks: 2
; NumSGPRsForWavesPerEU: 31
; NumVGPRsForWavesPerEU: 24
; AccumOffset: 24
; Occupancy: 8
; WaveLimiterHint : 0
; COMPUTE_PGM_RSRC2:SCRATCH_EN: 0
; COMPUTE_PGM_RSRC2:USER_SGPR: 6
; COMPUTE_PGM_RSRC2:TRAP_HANDLER: 0
; COMPUTE_PGM_RSRC2:TGID_X_EN: 1
; COMPUTE_PGM_RSRC2:TGID_Y_EN: 0
; COMPUTE_PGM_RSRC2:TGID_Z_EN: 0
; COMPUTE_PGM_RSRC2:TIDIG_COMP_CNT: 0
; COMPUTE_PGM_RSRC3_GFX90A:ACCUM_OFFSET: 5
; COMPUTE_PGM_RSRC3_GFX90A:TG_SPLIT: 0
	.section	.text._ZN5aiter19grouped_topk_kernelIN3c108BFloat16EDv2_fLi1ELb1ELb1ELb0EEEvPT_PKS4_PfPimiiiif,"axG",@progbits,_ZN5aiter19grouped_topk_kernelIN3c108BFloat16EDv2_fLi1ELb1ELb1ELb0EEEvPT_PKS4_PfPimiiiif,comdat
	.protected	_ZN5aiter19grouped_topk_kernelIN3c108BFloat16EDv2_fLi1ELb1ELb1ELb0EEEvPT_PKS4_PfPimiiiif ; -- Begin function _ZN5aiter19grouped_topk_kernelIN3c108BFloat16EDv2_fLi1ELb1ELb1ELb0EEEvPT_PKS4_PfPimiiiif
	.globl	_ZN5aiter19grouped_topk_kernelIN3c108BFloat16EDv2_fLi1ELb1ELb1ELb0EEEvPT_PKS4_PfPimiiiif
	.p2align	8
	.type	_ZN5aiter19grouped_topk_kernelIN3c108BFloat16EDv2_fLi1ELb1ELb1ELb0EEEvPT_PKS4_PfPimiiiif,@function
_ZN5aiter19grouped_topk_kernelIN3c108BFloat16EDv2_fLi1ELb1ELb1ELb0EEEvPT_PKS4_PfPimiiiif: ; @_ZN5aiter19grouped_topk_kernelIN3c108BFloat16EDv2_fLi1ELb1ELb1ELb0EEEvPT_PKS4_PfPimiiiif
; %bb.0:
	s_load_dwordx2 s[12:13], s[4:5], 0x28
	s_load_dwordx4 s[8:11], s[4:5], 0x8
	s_load_dwordx2 s[14:15], s[4:5], 0x18
	v_lshl_add_u32 v3, v0, 3, 0
	s_waitcnt lgkmcnt(0)
	s_lshr_b32 s0, s12, 31
	s_add_i32 s0, s12, s0
	s_ashr_i32 s7, s0, 1
	v_cmp_gt_i32_e64 s[0:1], s7, v0
	s_and_saveexec_b64 s[16:17], s[0:1]
	s_cbranch_execz .LBB174_3
; %bb.1:
	s_load_dwordx2 s[2:3], s[4:5], 0x0
	s_load_dword s20, s[4:5], 0x4c
	s_mul_i32 s18, s6, s12
	s_ashr_i32 s19, s18, 31
	s_lshl_b64 s[18:19], s[18:19], 1
	s_waitcnt lgkmcnt(0)
	s_add_u32 s12, s2, s18
	s_addc_u32 s2, s3, s19
	s_and_b32 s20, s20, 0xffff
	s_mov_b32 s3, 0
	v_lshlrev_b32_e32 v2, 2, v0
	v_mov_b32_e32 v1, 0
	s_lshl_b32 s21, s20, 2
	v_lshl_add_u32 v4, v0, 3, 0
	s_lshl_b32 s22, s20, 3
	s_mov_b64 s[18:19], 0
	v_mov_b32_e32 v5, s2
	v_mov_b32_e32 v6, s9
	s_mov_b32 s23, 0xbfb8aa3b
	s_mov_b32 s24, 0x42ce8ed0
	;; [unrolled: 1-line block ×3, first 2 shown]
	v_mov_b32_e32 v7, 0x7f800000
	v_mov_b32_e32 v8, s3
	;; [unrolled: 1-line block ×3, first 2 shown]
.LBB174_2:                              ; =>This Inner Loop Header: Depth=1
	v_add_co_u32_e32 v10, vcc, s12, v2
	v_addc_co_u32_e32 v11, vcc, v5, v1, vcc
	v_add_co_u32_e32 v12, vcc, s8, v2
	v_addc_co_u32_e32 v13, vcc, v6, v1, vcc
	global_load_dword v14, v[10:11], off
	global_load_dword v15, v[12:13], off
	v_add_co_u32_e32 v2, vcc, s21, v2
	v_add_u32_e32 v9, s20, v9
	v_addc_co_u32_e32 v1, vcc, v1, v8, vcc
	v_cmp_le_i32_e32 vcc, s7, v9
	s_or_b64 s[18:19], vcc, s[18:19]
	s_waitcnt vmcnt(1)
	v_cvt_f32_u32_sdwa v12, v14 dst_sel:DWORD dst_unused:UNUSED_PAD src0_sel:WORD_1
	v_cvt_f32_u32_sdwa v13, v14 dst_sel:DWORD dst_unused:UNUSED_PAD src0_sel:WORD_0
	s_waitcnt vmcnt(0)
	v_cvt_f32_u32_sdwa v11, v15 dst_sel:DWORD dst_unused:UNUSED_PAD src0_sel:WORD_1
	v_cvt_f32_u32_sdwa v10, v15 dst_sel:DWORD dst_unused:UNUSED_PAD src0_sel:WORD_0
	v_mul_f32_e32 v14, 0xbfb8aa3b, v12
	v_mul_f32_e32 v15, 0xbfb8aa3b, v13
	v_fma_f32 v16, v12, s23, -v14
	v_rndne_f32_e32 v17, v14
	v_fma_f32 v18, v13, s23, -v15
	v_rndne_f32_e32 v19, v15
	v_fmac_f32_e32 v16, 0xb2a5705f, v12
	v_sub_f32_e32 v14, v14, v17
	v_fmac_f32_e32 v18, 0xb2a5705f, v13
	v_sub_f32_e32 v15, v15, v19
	v_add_f32_e32 v14, v14, v16
	v_add_f32_e32 v15, v15, v18
	v_cvt_i32_f32_e32 v17, v17
	v_cvt_i32_f32_e32 v19, v19
	v_exp_f32_e32 v14, v14
	v_exp_f32_e32 v15, v15
	v_cmp_nlt_f32_e32 vcc, s24, v13
	v_cmp_nlt_f32_e64 s[2:3], s24, v12
	v_ldexp_f32 v14, v14, v17
	v_ldexp_f32 v15, v15, v19
	v_cndmask_b32_e64 v14, 0, v14, s[2:3]
	v_cndmask_b32_e32 v15, 0, v15, vcc
	v_cmp_ngt_f32_e32 vcc, s25, v13
	v_cmp_ngt_f32_e64 s[2:3], s25, v12
	v_cndmask_b32_e64 v13, v7, v14, s[2:3]
	v_cndmask_b32_e32 v12, v7, v15, vcc
	v_pk_add_f32 v[12:13], v[12:13], 1.0 op_sel_hi:[1,0]
	v_div_scale_f32 v14, s[2:3], v13, v13, 1.0
	v_div_scale_f32 v16, s[2:3], v12, v12, 1.0
	v_rcp_f32_e32 v18, v14
	v_rcp_f32_e32 v19, v16
	v_div_scale_f32 v15, vcc, 1.0, v13, 1.0
	v_fma_f32 v20, -v14, v18, 1.0
	v_fma_f32 v21, -v16, v19, 1.0
	v_fmac_f32_e32 v18, v20, v18
	v_div_scale_f32 v17, s[2:3], 1.0, v12, 1.0
	v_fmac_f32_e32 v19, v21, v19
	v_mul_f32_e32 v20, v15, v18
	v_mul_f32_e32 v21, v17, v19
	v_fma_f32 v22, -v14, v20, v15
	v_fma_f32 v23, -v16, v21, v17
	v_fmac_f32_e32 v20, v22, v18
	v_fmac_f32_e32 v21, v23, v19
	v_fma_f32 v14, -v14, v20, v15
	v_fma_f32 v15, -v16, v21, v17
	v_div_fmas_f32 v14, v14, v18, v20
	s_mov_b64 vcc, s[2:3]
	v_div_fixup_f32 v13, v14, v13, 1.0
	v_div_fmas_f32 v14, v15, v19, v21
	v_div_fixup_f32 v12, v14, v12, 1.0
	v_pk_add_f32 v[10:11], v[12:13], v[10:11]
	ds_write_b64 v4, v[10:11]
	v_add_u32_e32 v4, s22, v4
	s_andn2_b64 exec, exec, s[18:19]
	s_cbranch_execnz .LBB174_2
.LBB174_3:
	s_or_b64 exec, exec, s[16:17]
	s_cmp_lt_i32 s13, 1
	s_waitcnt lgkmcnt(0)
	s_barrier
	s_cbranch_scc1 .LBB174_10
; %bb.4:
	s_add_u32 s2, s4, 64
	s_addc_u32 s3, s5, 0
	v_lshlrev_b32_e32 v5, 1, v0
	s_mov_b32 s12, 0
	v_mov_b32_e32 v6, 0
	v_mov_b32_e32 v7, 0xff800000
	;; [unrolled: 1-line block ×3, first 2 shown]
                                        ; implicit-def: $vgpr2
                                        ; implicit-def: $vgpr1
	s_branch .LBB174_6
.LBB174_5:                              ;   in Loop: Header=BB174_6 Depth=1
	s_or_b64 exec, exec, s[16:17]
	v_mov_b32_dpp v11, v9 quad_perm:[1,0,3,2] row_mask:0xf bank_mask:0xf
	v_cmp_lt_f32_e32 vcc, v9, v11
	v_cndmask_b32_e32 v9, v9, v11, vcc
	v_mov_b32_dpp v10, v8 quad_perm:[1,0,3,2] row_mask:0xf bank_mask:0xf
	v_cndmask_b32_e32 v8, v8, v10, vcc
	v_mov_b32_dpp v11, v9 quad_perm:[2,3,0,1] row_mask:0xf bank_mask:0xf
	v_cmp_gt_f32_e32 vcc, v11, v9
	v_cndmask_b32_e32 v9, v9, v11, vcc
	v_mov_b32_dpp v10, v8 quad_perm:[2,3,0,1] row_mask:0xf bank_mask:0xf
	v_cndmask_b32_e32 v8, v8, v10, vcc
	v_mov_b32_dpp v11, v9 row_half_mirror row_mask:0xf bank_mask:0xf
	v_cmp_gt_f32_e32 vcc, v11, v9
	v_cndmask_b32_e32 v9, v9, v11, vcc
	v_mov_b32_dpp v10, v8 row_half_mirror row_mask:0xf bank_mask:0xf
	v_cndmask_b32_e32 v8, v8, v10, vcc
	v_mov_b32_dpp v11, v9 row_mirror row_mask:0xf bank_mask:0xf
	v_cmp_gt_f32_e32 vcc, v11, v9
	v_cndmask_b32_e32 v9, v9, v11, vcc
	v_mov_b32_dpp v10, v8 row_mirror row_mask:0xf bank_mask:0xf
	v_cndmask_b32_e32 v8, v8, v10, vcc
	v_mov_b32_dpp v11, v9 row_bcast:15 row_mask:0xf bank_mask:0xf
	v_cmp_gt_f32_e32 vcc, v11, v9
	v_mov_b32_dpp v10, v8 row_bcast:15 row_mask:0xf bank_mask:0xf
	v_cndmask_b32_e32 v9, v9, v11, vcc
	v_cndmask_b32_e32 v8, v8, v10, vcc
	s_nop 0
	v_mov_b32_dpp v11, v9 row_bcast:31 row_mask:0xf bank_mask:0xf
	v_mov_b32_dpp v10, v8 row_bcast:31 row_mask:0xf bank_mask:0xf
	v_cmp_gt_f32_e32 vcc, v11, v9
	v_cndmask_b32_e32 v8, v8, v10, vcc
	v_readlane_b32 s16, v8, 63
	s_ashr_i32 s17, s16, 31
	s_lshl_b64 s[18:19], s[16:17], 1
	s_add_u32 s18, s8, s18
	s_addc_u32 s19, s9, s19
	global_load_ushort v8, v6, s[18:19]
	v_cndmask_b32_e32 v9, v9, v11, vcc
	v_readlane_b32 s17, v9, 63
	v_mov_b32_e32 v9, s16
	s_lshl_b32 s16, s16, 2
	v_cmp_eq_u32_e32 vcc, s12, v0
	s_add_i32 s16, s16, 0
	v_cndmask_b32_e32 v1, v1, v9, vcc
	v_mov_b32_e32 v9, s16
	ds_write_b32 v9, v7
	s_add_i32 s12, s12, 1
	s_cmp_eq_u32 s12, s13
	s_waitcnt vmcnt(0)
	v_and_b32_e32 v9, 0xff, v8
	v_lshlrev_b32_e32 v8, 16, v8
	v_lshlrev_b32_e32 v9, 16, v9
	v_and_b32_e32 v8, 0xff000000, v8
	v_or_b32_e32 v8, v9, v8
	v_sub_f32_e32 v8, s17, v8
	v_cndmask_b32_e32 v2, v2, v8, vcc
	v_add_f32_e32 v4, v4, v8
	s_cbranch_scc1 .LBB174_11
.LBB174_6:                              ; =>This Loop Header: Depth=1
                                        ;     Child Loop BB174_8 Depth 2
	v_mov_b32_e32 v8, s12
	v_mov_b32_e32 v9, 0xff800000
	s_and_saveexec_b64 s[16:17], s[0:1]
	s_cbranch_execz .LBB174_5
; %bb.7:                                ;   in Loop: Header=BB174_6 Depth=1
	s_load_dword s20, s[2:3], 0xc
	s_mov_b64 s[18:19], 0
	v_mov_b32_e32 v8, s12
	v_mov_b32_e32 v9, 0xff800000
	;; [unrolled: 1-line block ×3, first 2 shown]
	s_waitcnt lgkmcnt(0)
	s_and_b32 s20, s20, 0xffff
	s_lshl_b32 s21, s20, 1
	s_lshl_b32 s22, s20, 3
	v_mov_b32_e32 v11, v5
	v_mov_b32_e32 v12, v0
.LBB174_8:                              ;   Parent Loop BB174_6 Depth=1
                                        ; =>  This Inner Loop Header: Depth=2
	ds_read_b64 v[14:15], v10
	v_add_u32_e32 v12, s20, v12
	v_cmp_le_i32_e32 vcc, s7, v12
	s_or_b64 s[18:19], vcc, s[18:19]
	v_add_u32_e32 v13, 1, v11
	s_waitcnt lgkmcnt(0)
	v_cmp_gt_f32_e32 vcc, v14, v9
	v_cndmask_b32_e32 v9, v9, v14, vcc
	v_cndmask_b32_e32 v8, v8, v11, vcc
	v_cmp_gt_f32_e32 vcc, v15, v9
	v_add_u32_e32 v10, s22, v10
	v_cndmask_b32_e32 v9, v9, v15, vcc
	v_add_u32_e32 v11, s21, v11
	v_cndmask_b32_e32 v8, v8, v13, vcc
	s_andn2_b64 exec, exec, s[18:19]
	s_cbranch_execnz .LBB174_8
; %bb.9:                                ;   in Loop: Header=BB174_6 Depth=1
	s_or_b64 exec, exec, s[18:19]
	s_branch .LBB174_5
.LBB174_10:
	v_mov_b32_e32 v4, 0
                                        ; implicit-def: $vgpr2
                                        ; implicit-def: $vgpr1
.LBB174_11:
	v_cmp_gt_i32_e32 vcc, s13, v0
	s_and_saveexec_b64 s[0:1], vcc
	s_cbranch_execz .LBB174_14
; %bb.12:
	s_load_dword s7, s[4:5], 0x38
	s_load_dwordx2 s[0:1], s[4:5], 0x20
	s_load_dword s8, s[4:5], 0x4c
	s_waitcnt lgkmcnt(0)
	v_div_scale_f32 v3, s[2:3], v4, v4, s7
	v_rcp_f32_e32 v5, v3
	v_div_scale_f32 v6, vcc, s7, v4, s7
	s_ashr_i32 s2, s6, 31
	v_fma_f32 v7, -v3, v5, 1.0
	v_fmac_f32_e32 v5, v7, v5
	v_mul_f32_e32 v7, v6, v5
	v_fma_f32 v8, -v3, v7, v6
	v_fmac_f32_e32 v7, v8, v5
	v_fma_f32 v3, -v3, v7, v6
	s_mul_i32 s1, s6, s1
	s_mul_hi_u32 s3, s6, s0
	v_div_fmas_f32 v3, v3, v5, v7
	s_add_i32 s1, s3, s1
	s_mul_i32 s2, s2, s0
	v_div_fixup_f32 v3, v3, v4, s7
	s_add_i32 s4, s1, s2
	v_mul_f32_e32 v2, v3, v2
	s_mul_i32 s2, s6, s0
	s_and_b32 s3, s8, 0xffff
	s_mov_b64 s[0:1], 0
	v_mov_b32_e32 v3, s4
	v_mov_b32_e32 v4, s11
	;; [unrolled: 1-line block ×3, first 2 shown]
.LBB174_13:                             ; =>This Inner Loop Header: Depth=1
	v_ashrrev_i32_e32 v7, 31, v0
	v_add_co_u32_e32 v6, vcc, s2, v0
	v_addc_co_u32_e32 v7, vcc, v3, v7, vcc
	v_add_u32_e32 v0, s3, v0
	v_cmp_le_i32_e32 vcc, s13, v0
	v_lshlrev_b64 v[6:7], 2, v[6:7]
	s_or_b64 s[0:1], vcc, s[0:1]
	v_add_co_u32_e32 v8, vcc, s10, v6
	v_addc_co_u32_e32 v9, vcc, v4, v7, vcc
	v_add_co_u32_e32 v6, vcc, s14, v6
	v_addc_co_u32_e32 v7, vcc, v5, v7, vcc
	global_store_dword v[8:9], v2, off
	global_store_dword v[6:7], v1, off
	s_andn2_b64 exec, exec, s[0:1]
	s_cbranch_execnz .LBB174_13
.LBB174_14:
	s_endpgm
	.section	.rodata,"a",@progbits
	.p2align	6, 0x0
	.amdhsa_kernel _ZN5aiter19grouped_topk_kernelIN3c108BFloat16EDv2_fLi1ELb1ELb1ELb0EEEvPT_PKS4_PfPimiiiif
		.amdhsa_group_segment_fixed_size 0
		.amdhsa_private_segment_fixed_size 0
		.amdhsa_kernarg_size 320
		.amdhsa_user_sgpr_count 6
		.amdhsa_user_sgpr_private_segment_buffer 1
		.amdhsa_user_sgpr_dispatch_ptr 0
		.amdhsa_user_sgpr_queue_ptr 0
		.amdhsa_user_sgpr_kernarg_segment_ptr 1
		.amdhsa_user_sgpr_dispatch_id 0
		.amdhsa_user_sgpr_flat_scratch_init 0
		.amdhsa_user_sgpr_kernarg_preload_length 0
		.amdhsa_user_sgpr_kernarg_preload_offset 0
		.amdhsa_user_sgpr_private_segment_size 0
		.amdhsa_uses_dynamic_stack 0
		.amdhsa_system_sgpr_private_segment_wavefront_offset 0
		.amdhsa_system_sgpr_workgroup_id_x 1
		.amdhsa_system_sgpr_workgroup_id_y 0
		.amdhsa_system_sgpr_workgroup_id_z 0
		.amdhsa_system_sgpr_workgroup_info 0
		.amdhsa_system_vgpr_workitem_id 0
		.amdhsa_next_free_vgpr 24
		.amdhsa_next_free_sgpr 26
		.amdhsa_accum_offset 24
		.amdhsa_reserve_vcc 1
		.amdhsa_reserve_flat_scratch 0
		.amdhsa_float_round_mode_32 0
		.amdhsa_float_round_mode_16_64 0
		.amdhsa_float_denorm_mode_32 3
		.amdhsa_float_denorm_mode_16_64 3
		.amdhsa_dx10_clamp 1
		.amdhsa_ieee_mode 1
		.amdhsa_fp16_overflow 0
		.amdhsa_tg_split 0
		.amdhsa_exception_fp_ieee_invalid_op 0
		.amdhsa_exception_fp_denorm_src 0
		.amdhsa_exception_fp_ieee_div_zero 0
		.amdhsa_exception_fp_ieee_overflow 0
		.amdhsa_exception_fp_ieee_underflow 0
		.amdhsa_exception_fp_ieee_inexact 0
		.amdhsa_exception_int_div_zero 0
	.end_amdhsa_kernel
	.section	.text._ZN5aiter19grouped_topk_kernelIN3c108BFloat16EDv2_fLi1ELb1ELb1ELb0EEEvPT_PKS4_PfPimiiiif,"axG",@progbits,_ZN5aiter19grouped_topk_kernelIN3c108BFloat16EDv2_fLi1ELb1ELb1ELb0EEEvPT_PKS4_PfPimiiiif,comdat
.Lfunc_end174:
	.size	_ZN5aiter19grouped_topk_kernelIN3c108BFloat16EDv2_fLi1ELb1ELb1ELb0EEEvPT_PKS4_PfPimiiiif, .Lfunc_end174-_ZN5aiter19grouped_topk_kernelIN3c108BFloat16EDv2_fLi1ELb1ELb1ELb0EEEvPT_PKS4_PfPimiiiif
                                        ; -- End function
	.section	.AMDGPU.csdata,"",@progbits
; Kernel info:
; codeLenInByte = 1380
; NumSgprs: 30
; NumVgprs: 24
; NumAgprs: 0
; TotalNumVgprs: 24
; ScratchSize: 0
; MemoryBound: 0
; FloatMode: 240
; IeeeMode: 1
; LDSByteSize: 0 bytes/workgroup (compile time only)
; SGPRBlocks: 3
; VGPRBlocks: 2
; NumSGPRsForWavesPerEU: 30
; NumVGPRsForWavesPerEU: 24
; AccumOffset: 24
; Occupancy: 8
; WaveLimiterHint : 0
; COMPUTE_PGM_RSRC2:SCRATCH_EN: 0
; COMPUTE_PGM_RSRC2:USER_SGPR: 6
; COMPUTE_PGM_RSRC2:TRAP_HANDLER: 0
; COMPUTE_PGM_RSRC2:TGID_X_EN: 1
; COMPUTE_PGM_RSRC2:TGID_Y_EN: 0
; COMPUTE_PGM_RSRC2:TGID_Z_EN: 0
; COMPUTE_PGM_RSRC2:TIDIG_COMP_CNT: 0
; COMPUTE_PGM_RSRC3_GFX90A:ACCUM_OFFSET: 5
; COMPUTE_PGM_RSRC3_GFX90A:TG_SPLIT: 0
	.section	.text._ZN5aiter19grouped_topk_kernelIfDv2_fLi1ELb1ELb0ELb1EEEvPT_PKS2_PfPimiiiif,"axG",@progbits,_ZN5aiter19grouped_topk_kernelIfDv2_fLi1ELb1ELb0ELb1EEEvPT_PKS2_PfPimiiiif,comdat
	.protected	_ZN5aiter19grouped_topk_kernelIfDv2_fLi1ELb1ELb0ELb1EEEvPT_PKS2_PfPimiiiif ; -- Begin function _ZN5aiter19grouped_topk_kernelIfDv2_fLi1ELb1ELb0ELb1EEEvPT_PKS2_PfPimiiiif
	.globl	_ZN5aiter19grouped_topk_kernelIfDv2_fLi1ELb1ELb0ELb1EEEvPT_PKS2_PfPimiiiif
	.p2align	8
	.type	_ZN5aiter19grouped_topk_kernelIfDv2_fLi1ELb1ELb0ELb1EEEvPT_PKS2_PfPimiiiif,@function
_ZN5aiter19grouped_topk_kernelIfDv2_fLi1ELb1ELb0ELb1EEEvPT_PKS2_PfPimiiiif: ; @_ZN5aiter19grouped_topk_kernelIfDv2_fLi1ELb1ELb0ELb1EEEvPT_PKS2_PfPimiiiif
; %bb.0:
	s_load_dwordx2 s[2:3], s[4:5], 0x28
	s_load_dwordx4 s[8:11], s[4:5], 0x10
	v_mov_b32_e32 v1, 0xff800000
	s_waitcnt lgkmcnt(0)
	v_cmp_gt_i32_e32 vcc, s2, v0
	s_and_saveexec_b64 s[12:13], vcc
	s_cbranch_execz .LBB175_4
; %bb.1:
	s_load_dword s0, s[4:5], 0x4c
	s_load_dwordx2 s[14:15], s[4:5], 0x0
	s_mul_i32 s7, s6, s2
	v_lshl_add_u32 v2, v0, 2, 0
	s_mov_b64 s[16:17], 0
	s_waitcnt lgkmcnt(0)
	s_and_b32 s18, s0, 0xffff
	s_lshl_b32 s19, s18, 2
	v_mov_b32_e32 v1, 0xff800000
	v_mov_b32_e32 v3, s15
	;; [unrolled: 1-line block ×3, first 2 shown]
.LBB175_2:                              ; =>This Inner Loop Header: Depth=1
	v_add_u32_e32 v6, s7, v4
	v_ashrrev_i32_e32 v7, 31, v6
	v_lshlrev_b64 v[6:7], 2, v[6:7]
	v_add_co_u32_e64 v6, s[0:1], s14, v6
	v_addc_co_u32_e64 v7, s[0:1], v3, v7, s[0:1]
	global_load_dword v5, v[6:7], off
	v_add_u32_e32 v4, s18, v4
	v_cmp_le_i32_e64 s[0:1], s2, v4
	s_or_b64 s[16:17], s[0:1], s[16:17]
	s_waitcnt vmcnt(0)
	v_cmp_gt_f32_e64 s[0:1], v5, v1
	ds_write_b32 v2, v5
	v_cndmask_b32_e64 v1, v1, v5, s[0:1]
	v_add_u32_e32 v2, s19, v2
	s_andn2_b64 exec, exec, s[16:17]
	s_cbranch_execnz .LBB175_2
; %bb.3:
	s_or_b64 exec, exec, s[16:17]
.LBB175_4:
	s_or_b64 exec, exec, s[12:13]
	v_mov_b32_dpp v2, v1 quad_perm:[1,0,3,2] row_mask:0xf bank_mask:0xf
	v_cmp_lt_f32_e64 s[0:1], v1, v2
	v_cndmask_b32_e64 v1, v1, v2, s[0:1]
	v_bfrev_b32_e32 v3, 0.5
	s_waitcnt lgkmcnt(0)
	v_mov_b32_dpp v2, v1 quad_perm:[2,3,0,1] row_mask:0xf bank_mask:0xf
	v_cmp_lt_f32_e64 s[0:1], v1, v2
	v_cndmask_b32_e64 v1, v1, v2, s[0:1]
	s_barrier
	s_nop 0
	v_mov_b32_dpp v2, v1 row_half_mirror row_mask:0xf bank_mask:0xf
	v_cmp_lt_f32_e64 s[0:1], v1, v2
	v_cndmask_b32_e64 v1, v1, v2, s[0:1]
	s_nop 1
	v_mov_b32_dpp v2, v1 row_mirror row_mask:0xf bank_mask:0xf
	v_cmp_lt_f32_e64 s[0:1], v1, v2
	v_cndmask_b32_e64 v1, v1, v2, s[0:1]
	s_nop 1
	v_mov_b32_dpp v2, v1 row_bcast:15 row_mask:0xf bank_mask:0xf
	v_cmp_lt_f32_e64 s[0:1], v1, v2
	v_cndmask_b32_e64 v1, v1, v2, s[0:1]
	s_nop 1
	v_mov_b32_dpp v2, v1 row_bcast:31 row_mask:0xf bank_mask:0xf
	v_cmp_lt_f32_e64 s[0:1], v1, v2
	v_cndmask_b32_e64 v2, v1, v2, s[0:1]
	v_mbcnt_lo_u32_b32 v1, -1, 0
	v_mbcnt_hi_u32_b32 v1, -1, v1
	v_lshl_or_b32 v1, v1, 2, v3
	ds_bpermute_b32 v3, v1, v2
	v_mov_b32_e32 v2, 0
	s_and_saveexec_b64 s[12:13], vcc
	s_cbranch_execz .LBB175_8
; %bb.5:
	s_load_dword s0, s[4:5], 0x4c
	v_lshl_add_u32 v4, v0, 2, 0
	s_mov_b64 s[14:15], 0
	v_mov_b32_e32 v2, 0
	s_mov_b32 s7, 0x3fb8aa3b
	s_waitcnt lgkmcnt(0)
	s_and_b32 s16, s0, 0xffff
	s_lshl_b32 s17, s16, 2
	s_mov_b32 s18, 0xc2ce8ed0
	s_mov_b32 s19, 0x42b17218
	v_mov_b32_e32 v5, 0x7f800000
	v_mov_b32_e32 v6, v0
.LBB175_6:                              ; =>This Inner Loop Header: Depth=1
	ds_read_b32 v7, v4
	v_add_u32_e32 v6, s16, v6
	s_waitcnt lgkmcnt(0)
	v_sub_f32_e32 v7, v7, v3
	v_mul_f32_e32 v8, 0x3fb8aa3b, v7
	v_fma_f32 v9, v7, s7, -v8
	v_rndne_f32_e32 v10, v8
	v_fmac_f32_e32 v9, 0x32a5705f, v7
	v_sub_f32_e32 v8, v8, v10
	v_add_f32_e32 v8, v8, v9
	v_cvt_i32_f32_e32 v10, v10
	v_exp_f32_e32 v8, v8
	v_cmp_ngt_f32_e64 s[0:1], s18, v7
	v_ldexp_f32 v8, v8, v10
	v_cndmask_b32_e64 v8, 0, v8, s[0:1]
	v_cmp_nlt_f32_e64 s[0:1], s19, v7
	v_cndmask_b32_e64 v7, v5, v8, s[0:1]
	v_cmp_le_i32_e64 s[0:1], s2, v6
	ds_write_b32 v4, v7
	v_add_f32_e32 v2, v2, v7
	s_or_b64 s[14:15], s[0:1], s[14:15]
	v_add_u32_e32 v4, s17, v4
	s_andn2_b64 exec, exec, s[14:15]
	s_cbranch_execnz .LBB175_6
; %bb.7:
	s_or_b64 exec, exec, s[14:15]
.LBB175_8:
	s_or_b64 exec, exec, s[12:13]
	s_waitcnt lgkmcnt(0)
	v_mov_b32_dpp v3, v2 quad_perm:[1,0,3,2] row_mask:0xf bank_mask:0xf
	v_add_f32_e32 v2, v2, v3
	s_barrier
	s_nop 0
	v_mov_b32_dpp v3, v2 quad_perm:[2,3,0,1] row_mask:0xf bank_mask:0xf
	v_add_f32_e32 v2, v2, v3
	s_nop 1
	v_mov_b32_dpp v3, v2 row_half_mirror row_mask:0xf bank_mask:0xf
	v_add_f32_e32 v2, v2, v3
	s_nop 1
	v_mov_b32_dpp v3, v2 row_mirror row_mask:0xf bank_mask:0xf
	v_add_f32_e32 v2, v2, v3
	s_nop 1
	v_mov_b32_dpp v3, v2 row_bcast:15 row_mask:0xf bank_mask:0xf
	v_add_f32_e32 v2, v2, v3
	s_nop 1
	v_mov_b32_dpp v3, v2 row_bcast:31 row_mask:0xf bank_mask:0xf
	v_add_f32_e32 v2, v2, v3
	ds_bpermute_b32 v1, v1, v2
	s_and_saveexec_b64 s[0:1], vcc
	s_cbranch_execz .LBB175_11
; %bb.9:
	s_load_dword s7, s[4:5], 0x4c
	v_lshl_add_u32 v2, v0, 2, 0
	s_mov_b64 s[12:13], 0
	v_mov_b32_e32 v3, v0
	s_waitcnt lgkmcnt(0)
	s_and_b32 s7, s7, 0xffff
	s_lshl_b32 s14, s7, 2
.LBB175_10:                             ; =>This Inner Loop Header: Depth=1
	ds_read_b32 v4, v2
	v_add_u32_e32 v3, s7, v3
	v_cmp_le_i32_e32 vcc, s2, v3
	s_or_b64 s[12:13], vcc, s[12:13]
	s_waitcnt lgkmcnt(0)
	v_div_scale_f32 v5, s[16:17], v1, v1, v4
	v_rcp_f32_e32 v6, v5
	v_div_scale_f32 v7, vcc, v4, v1, v4
	v_fma_f32 v8, -v5, v6, 1.0
	v_fmac_f32_e32 v6, v8, v6
	v_mul_f32_e32 v8, v7, v6
	v_fma_f32 v9, -v5, v8, v7
	v_fmac_f32_e32 v8, v9, v6
	v_fma_f32 v5, -v5, v8, v7
	v_div_fmas_f32 v5, v5, v6, v8
	v_div_fixup_f32 v4, v5, v1, v4
	ds_write_b32 v2, v4
	v_add_u32_e32 v2, s14, v2
	s_andn2_b64 exec, exec, s[12:13]
	s_cbranch_execnz .LBB175_10
.LBB175_11:
	s_or_b64 exec, exec, s[0:1]
	s_cmp_lt_i32 s3, 1
	s_waitcnt lgkmcnt(0)
	s_barrier
	s_cbranch_scc1 .LBB175_18
; %bb.12:
	s_lshr_b32 s0, s2, 31
	s_add_i32 s0, s2, s0
	s_ashr_i32 s2, s0, 1
	s_add_u32 s12, s4, 64
	v_cmp_gt_i32_e32 vcc, s2, v0
	s_addc_u32 s13, s5, 0
	v_lshlrev_b32_e32 v4, 1, v0
	s_mov_b32 s7, 0
	v_lshl_add_u32 v5, v0, 3, 0
	v_mov_b32_e32 v2, 0
	v_mov_b32_e32 v6, 0xff800000
                                        ; implicit-def: $vgpr3
                                        ; implicit-def: $vgpr1
	s_branch .LBB175_14
.LBB175_13:                             ;   in Loop: Header=BB175_14 Depth=1
	s_or_b64 exec, exec, s[14:15]
	v_mov_b32_dpp v10, v8 quad_perm:[1,0,3,2] row_mask:0xf bank_mask:0xf
	v_cmp_lt_f32_e64 s[0:1], v8, v10
	v_cndmask_b32_e64 v8, v8, v10, s[0:1]
	v_mov_b32_dpp v9, v7 quad_perm:[1,0,3,2] row_mask:0xf bank_mask:0xf
	v_cndmask_b32_e64 v7, v7, v9, s[0:1]
	v_mov_b32_dpp v10, v8 quad_perm:[2,3,0,1] row_mask:0xf bank_mask:0xf
	v_cmp_gt_f32_e64 s[0:1], v10, v8
	v_cndmask_b32_e64 v8, v8, v10, s[0:1]
	v_mov_b32_dpp v9, v7 quad_perm:[2,3,0,1] row_mask:0xf bank_mask:0xf
	v_cndmask_b32_e64 v7, v7, v9, s[0:1]
	v_mov_b32_dpp v10, v8 row_half_mirror row_mask:0xf bank_mask:0xf
	v_cmp_gt_f32_e64 s[0:1], v10, v8
	v_cndmask_b32_e64 v8, v8, v10, s[0:1]
	v_mov_b32_dpp v9, v7 row_half_mirror row_mask:0xf bank_mask:0xf
	v_cndmask_b32_e64 v7, v7, v9, s[0:1]
	v_mov_b32_dpp v10, v8 row_mirror row_mask:0xf bank_mask:0xf
	v_cmp_gt_f32_e64 s[0:1], v10, v8
	v_cndmask_b32_e64 v8, v8, v10, s[0:1]
	v_mov_b32_dpp v9, v7 row_mirror row_mask:0xf bank_mask:0xf
	v_cndmask_b32_e64 v7, v7, v9, s[0:1]
	v_mov_b32_dpp v10, v8 row_bcast:15 row_mask:0xf bank_mask:0xf
	v_cmp_gt_f32_e64 s[0:1], v10, v8
	v_mov_b32_dpp v9, v7 row_bcast:15 row_mask:0xf bank_mask:0xf
	v_cndmask_b32_e64 v8, v8, v10, s[0:1]
	v_cndmask_b32_e64 v7, v7, v9, s[0:1]
	s_nop 0
	v_mov_b32_dpp v10, v8 row_bcast:31 row_mask:0xf bank_mask:0xf
	v_mov_b32_dpp v9, v7 row_bcast:31 row_mask:0xf bank_mask:0xf
	v_cmp_gt_f32_e64 s[0:1], v10, v8
	v_cndmask_b32_e64 v7, v7, v9, s[0:1]
	v_cndmask_b32_e64 v8, v8, v10, s[0:1]
	v_readlane_b32 s0, v7, 63
	s_lshl_b32 s1, s0, 2
	s_add_i32 s1, s1, 0
	v_mov_b32_e32 v7, s1
	v_readlane_b32 s14, v8, 63
	ds_write_b32 v7, v6
	v_mov_b32_e32 v7, s0
	v_cmp_eq_u32_e64 s[0:1], s7, v0
	v_cndmask_b32_e64 v1, v1, v7, s[0:1]
	v_mov_b32_e32 v7, s14
	s_add_i32 s7, s7, 1
	v_cndmask_b32_e64 v3, v3, v7, s[0:1]
	s_cmp_eq_u32 s7, s3
	v_add_f32_e32 v2, s14, v2
	s_cbranch_scc1 .LBB175_19
.LBB175_14:                             ; =>This Loop Header: Depth=1
                                        ;     Child Loop BB175_16 Depth 2
	v_mov_b32_e32 v7, s7
	v_mov_b32_e32 v8, 0xff800000
	s_and_saveexec_b64 s[14:15], vcc
	s_cbranch_execz .LBB175_13
; %bb.15:                               ;   in Loop: Header=BB175_14 Depth=1
	s_load_dword s0, s[12:13], 0xc
	s_mov_b64 s[16:17], 0
	v_mov_b32_e32 v7, s7
	v_mov_b32_e32 v8, 0xff800000
	;; [unrolled: 1-line block ×3, first 2 shown]
	s_waitcnt lgkmcnt(0)
	s_and_b32 s18, s0, 0xffff
	s_lshl_b32 s19, s18, 1
	s_lshl_b32 s20, s18, 3
	v_mov_b32_e32 v10, v4
	v_mov_b32_e32 v11, v0
.LBB175_16:                             ;   Parent Loop BB175_14 Depth=1
                                        ; =>  This Inner Loop Header: Depth=2
	ds_read_b64 v[12:13], v9
	v_add_u32_e32 v11, s18, v11
	v_cmp_le_i32_e64 s[0:1], s2, v11
	s_or_b64 s[16:17], s[0:1], s[16:17]
	v_add_u32_e32 v14, 1, v10
	s_waitcnt lgkmcnt(0)
	v_cmp_gt_f32_e64 s[0:1], v12, v8
	v_cndmask_b32_e64 v8, v8, v12, s[0:1]
	v_cndmask_b32_e64 v7, v7, v10, s[0:1]
	v_cmp_gt_f32_e64 s[0:1], v13, v8
	v_add_u32_e32 v9, s20, v9
	v_cndmask_b32_e64 v8, v8, v13, s[0:1]
	v_add_u32_e32 v10, s19, v10
	v_cndmask_b32_e64 v7, v7, v14, s[0:1]
	s_andn2_b64 exec, exec, s[16:17]
	s_cbranch_execnz .LBB175_16
; %bb.17:                               ;   in Loop: Header=BB175_14 Depth=1
	s_or_b64 exec, exec, s[16:17]
	s_branch .LBB175_13
.LBB175_18:
	v_mov_b32_e32 v2, 0
                                        ; implicit-def: $vgpr3
                                        ; implicit-def: $vgpr1
.LBB175_19:
	v_cmp_gt_i32_e32 vcc, s3, v0
	s_and_saveexec_b64 s[0:1], vcc
	s_cbranch_execz .LBB175_22
; %bb.20:
	s_load_dword s2, s[4:5], 0x38
	s_load_dwordx2 s[0:1], s[4:5], 0x20
	s_load_dword s7, s[4:5], 0x4c
	s_waitcnt lgkmcnt(0)
	v_div_scale_f32 v4, s[4:5], v2, v2, s2
	v_rcp_f32_e32 v5, v4
	v_div_scale_f32 v6, vcc, s2, v2, s2
	s_ashr_i32 s4, s6, 31
	v_fma_f32 v7, -v4, v5, 1.0
	v_fmac_f32_e32 v5, v7, v5
	v_mul_f32_e32 v7, v6, v5
	v_fma_f32 v8, -v4, v7, v6
	v_fmac_f32_e32 v7, v8, v5
	v_fma_f32 v4, -v4, v7, v6
	v_div_fmas_f32 v4, v4, v5, v7
	v_div_fixup_f32 v2, v4, v2, s2
	s_mul_i32 s1, s6, s1
	s_mul_hi_u32 s2, s6, s0
	s_add_i32 s1, s2, s1
	s_mul_i32 s4, s4, s0
	s_add_i32 s5, s1, s4
	v_mul_f32_e32 v2, v2, v3
	s_mul_i32 s2, s6, s0
	s_and_b32 s4, s7, 0xffff
	s_mov_b64 s[0:1], 0
	v_mov_b32_e32 v3, s5
	v_mov_b32_e32 v4, s9
	;; [unrolled: 1-line block ×3, first 2 shown]
.LBB175_21:                             ; =>This Inner Loop Header: Depth=1
	v_ashrrev_i32_e32 v7, 31, v0
	v_add_co_u32_e32 v6, vcc, s2, v0
	v_addc_co_u32_e32 v7, vcc, v3, v7, vcc
	v_add_u32_e32 v0, s4, v0
	v_cmp_le_i32_e32 vcc, s3, v0
	v_lshlrev_b64 v[6:7], 2, v[6:7]
	s_or_b64 s[0:1], vcc, s[0:1]
	v_add_co_u32_e32 v8, vcc, s8, v6
	v_addc_co_u32_e32 v9, vcc, v4, v7, vcc
	v_add_co_u32_e32 v6, vcc, s10, v6
	v_addc_co_u32_e32 v7, vcc, v5, v7, vcc
	global_store_dword v[8:9], v2, off
	global_store_dword v[6:7], v1, off
	s_andn2_b64 exec, exec, s[0:1]
	s_cbranch_execnz .LBB175_21
.LBB175_22:
	s_endpgm
	.section	.rodata,"a",@progbits
	.p2align	6, 0x0
	.amdhsa_kernel _ZN5aiter19grouped_topk_kernelIfDv2_fLi1ELb1ELb0ELb1EEEvPT_PKS2_PfPimiiiif
		.amdhsa_group_segment_fixed_size 0
		.amdhsa_private_segment_fixed_size 0
		.amdhsa_kernarg_size 320
		.amdhsa_user_sgpr_count 6
		.amdhsa_user_sgpr_private_segment_buffer 1
		.amdhsa_user_sgpr_dispatch_ptr 0
		.amdhsa_user_sgpr_queue_ptr 0
		.amdhsa_user_sgpr_kernarg_segment_ptr 1
		.amdhsa_user_sgpr_dispatch_id 0
		.amdhsa_user_sgpr_flat_scratch_init 0
		.amdhsa_user_sgpr_kernarg_preload_length 0
		.amdhsa_user_sgpr_kernarg_preload_offset 0
		.amdhsa_user_sgpr_private_segment_size 0
		.amdhsa_uses_dynamic_stack 0
		.amdhsa_system_sgpr_private_segment_wavefront_offset 0
		.amdhsa_system_sgpr_workgroup_id_x 1
		.amdhsa_system_sgpr_workgroup_id_y 0
		.amdhsa_system_sgpr_workgroup_id_z 0
		.amdhsa_system_sgpr_workgroup_info 0
		.amdhsa_system_vgpr_workitem_id 0
		.amdhsa_next_free_vgpr 15
		.amdhsa_next_free_sgpr 21
		.amdhsa_accum_offset 16
		.amdhsa_reserve_vcc 1
		.amdhsa_reserve_flat_scratch 0
		.amdhsa_float_round_mode_32 0
		.amdhsa_float_round_mode_16_64 0
		.amdhsa_float_denorm_mode_32 3
		.amdhsa_float_denorm_mode_16_64 3
		.amdhsa_dx10_clamp 1
		.amdhsa_ieee_mode 1
		.amdhsa_fp16_overflow 0
		.amdhsa_tg_split 0
		.amdhsa_exception_fp_ieee_invalid_op 0
		.amdhsa_exception_fp_denorm_src 0
		.amdhsa_exception_fp_ieee_div_zero 0
		.amdhsa_exception_fp_ieee_overflow 0
		.amdhsa_exception_fp_ieee_underflow 0
		.amdhsa_exception_fp_ieee_inexact 0
		.amdhsa_exception_int_div_zero 0
	.end_amdhsa_kernel
	.section	.text._ZN5aiter19grouped_topk_kernelIfDv2_fLi1ELb1ELb0ELb1EEEvPT_PKS2_PfPimiiiif,"axG",@progbits,_ZN5aiter19grouped_topk_kernelIfDv2_fLi1ELb1ELb0ELb1EEEvPT_PKS2_PfPimiiiif,comdat
.Lfunc_end175:
	.size	_ZN5aiter19grouped_topk_kernelIfDv2_fLi1ELb1ELb0ELb1EEEvPT_PKS2_PfPimiiiif, .Lfunc_end175-_ZN5aiter19grouped_topk_kernelIfDv2_fLi1ELb1ELb0ELb1EEEvPT_PKS2_PfPimiiiif
                                        ; -- End function
	.section	.AMDGPU.csdata,"",@progbits
; Kernel info:
; codeLenInByte = 1756
; NumSgprs: 25
; NumVgprs: 15
; NumAgprs: 0
; TotalNumVgprs: 15
; ScratchSize: 0
; MemoryBound: 0
; FloatMode: 240
; IeeeMode: 1
; LDSByteSize: 0 bytes/workgroup (compile time only)
; SGPRBlocks: 3
; VGPRBlocks: 1
; NumSGPRsForWavesPerEU: 25
; NumVGPRsForWavesPerEU: 15
; AccumOffset: 16
; Occupancy: 8
; WaveLimiterHint : 0
; COMPUTE_PGM_RSRC2:SCRATCH_EN: 0
; COMPUTE_PGM_RSRC2:USER_SGPR: 6
; COMPUTE_PGM_RSRC2:TRAP_HANDLER: 0
; COMPUTE_PGM_RSRC2:TGID_X_EN: 1
; COMPUTE_PGM_RSRC2:TGID_Y_EN: 0
; COMPUTE_PGM_RSRC2:TGID_Z_EN: 0
; COMPUTE_PGM_RSRC2:TIDIG_COMP_CNT: 0
; COMPUTE_PGM_RSRC3_GFX90A:ACCUM_OFFSET: 3
; COMPUTE_PGM_RSRC3_GFX90A:TG_SPLIT: 0
	.section	.text._ZN5aiter19grouped_topk_kernelIN3c104HalfEDv2_fLi1ELb1ELb0ELb1EEEvPT_PKS4_PfPimiiiif,"axG",@progbits,_ZN5aiter19grouped_topk_kernelIN3c104HalfEDv2_fLi1ELb1ELb0ELb1EEEvPT_PKS4_PfPimiiiif,comdat
	.protected	_ZN5aiter19grouped_topk_kernelIN3c104HalfEDv2_fLi1ELb1ELb0ELb1EEEvPT_PKS4_PfPimiiiif ; -- Begin function _ZN5aiter19grouped_topk_kernelIN3c104HalfEDv2_fLi1ELb1ELb0ELb1EEEvPT_PKS4_PfPimiiiif
	.globl	_ZN5aiter19grouped_topk_kernelIN3c104HalfEDv2_fLi1ELb1ELb0ELb1EEEvPT_PKS4_PfPimiiiif
	.p2align	8
	.type	_ZN5aiter19grouped_topk_kernelIN3c104HalfEDv2_fLi1ELb1ELb0ELb1EEEvPT_PKS4_PfPimiiiif,@function
_ZN5aiter19grouped_topk_kernelIN3c104HalfEDv2_fLi1ELb1ELb0ELb1EEEvPT_PKS4_PfPimiiiif: ; @_ZN5aiter19grouped_topk_kernelIN3c104HalfEDv2_fLi1ELb1ELb0ELb1EEEvPT_PKS4_PfPimiiiif
; %bb.0:
	s_load_dwordx2 s[2:3], s[4:5], 0x28
	s_load_dwordx4 s[8:11], s[4:5], 0x10
	v_mov_b32_e32 v1, 0xff800000
	s_waitcnt lgkmcnt(0)
	v_cmp_gt_i32_e32 vcc, s2, v0
	s_and_saveexec_b64 s[12:13], vcc
	s_cbranch_execz .LBB176_4
; %bb.1:
	s_load_dword s0, s[4:5], 0x4c
	s_load_dwordx2 s[14:15], s[4:5], 0x0
	s_mul_i32 s7, s6, s2
	v_lshl_add_u32 v2, v0, 2, 0
	s_mov_b64 s[16:17], 0
	s_waitcnt lgkmcnt(0)
	s_and_b32 s18, s0, 0xffff
	s_lshl_b32 s19, s18, 2
	v_mov_b32_e32 v1, 0xff800000
	v_mov_b32_e32 v3, s15
	;; [unrolled: 1-line block ×3, first 2 shown]
.LBB176_2:                              ; =>This Inner Loop Header: Depth=1
	v_add_u32_e32 v6, s7, v4
	v_ashrrev_i32_e32 v7, 31, v6
	v_lshlrev_b64 v[6:7], 1, v[6:7]
	v_add_co_u32_e64 v6, s[0:1], s14, v6
	v_addc_co_u32_e64 v7, s[0:1], v3, v7, s[0:1]
	global_load_ushort v5, v[6:7], off
	v_add_u32_e32 v4, s18, v4
	v_cmp_le_i32_e64 s[0:1], s2, v4
	s_or_b64 s[16:17], s[0:1], s[16:17]
	s_waitcnt vmcnt(0)
	v_cvt_f32_f16_e32 v5, v5
	v_cmp_lt_f32_e64 s[0:1], v1, v5
	ds_write_b32 v2, v5
	v_cndmask_b32_e64 v1, v1, v5, s[0:1]
	v_add_u32_e32 v2, s19, v2
	s_andn2_b64 exec, exec, s[16:17]
	s_cbranch_execnz .LBB176_2
; %bb.3:
	s_or_b64 exec, exec, s[16:17]
.LBB176_4:
	s_or_b64 exec, exec, s[12:13]
	v_mov_b32_dpp v2, v1 quad_perm:[1,0,3,2] row_mask:0xf bank_mask:0xf
	v_cmp_lt_f32_e64 s[0:1], v1, v2
	v_cndmask_b32_e64 v1, v1, v2, s[0:1]
	v_bfrev_b32_e32 v3, 0.5
	s_waitcnt lgkmcnt(0)
	v_mov_b32_dpp v2, v1 quad_perm:[2,3,0,1] row_mask:0xf bank_mask:0xf
	v_cmp_lt_f32_e64 s[0:1], v1, v2
	v_cndmask_b32_e64 v1, v1, v2, s[0:1]
	s_barrier
	s_nop 0
	v_mov_b32_dpp v2, v1 row_half_mirror row_mask:0xf bank_mask:0xf
	v_cmp_lt_f32_e64 s[0:1], v1, v2
	v_cndmask_b32_e64 v1, v1, v2, s[0:1]
	s_nop 1
	v_mov_b32_dpp v2, v1 row_mirror row_mask:0xf bank_mask:0xf
	v_cmp_lt_f32_e64 s[0:1], v1, v2
	v_cndmask_b32_e64 v1, v1, v2, s[0:1]
	s_nop 1
	v_mov_b32_dpp v2, v1 row_bcast:15 row_mask:0xf bank_mask:0xf
	v_cmp_lt_f32_e64 s[0:1], v1, v2
	v_cndmask_b32_e64 v1, v1, v2, s[0:1]
	s_nop 1
	v_mov_b32_dpp v2, v1 row_bcast:31 row_mask:0xf bank_mask:0xf
	v_cmp_lt_f32_e64 s[0:1], v1, v2
	v_cndmask_b32_e64 v2, v1, v2, s[0:1]
	v_mbcnt_lo_u32_b32 v1, -1, 0
	v_mbcnt_hi_u32_b32 v1, -1, v1
	v_lshl_or_b32 v1, v1, 2, v3
	ds_bpermute_b32 v3, v1, v2
	v_mov_b32_e32 v2, 0
	s_and_saveexec_b64 s[12:13], vcc
	s_cbranch_execz .LBB176_8
; %bb.5:
	s_load_dword s0, s[4:5], 0x4c
	v_lshl_add_u32 v4, v0, 2, 0
	s_mov_b64 s[14:15], 0
	v_mov_b32_e32 v2, 0
	s_mov_b32 s7, 0x3fb8aa3b
	s_waitcnt lgkmcnt(0)
	s_and_b32 s16, s0, 0xffff
	s_lshl_b32 s17, s16, 2
	s_mov_b32 s18, 0xc2ce8ed0
	s_mov_b32 s19, 0x42b17218
	v_mov_b32_e32 v5, 0x7f800000
	v_mov_b32_e32 v6, v0
.LBB176_6:                              ; =>This Inner Loop Header: Depth=1
	ds_read_b32 v7, v4
	v_add_u32_e32 v6, s16, v6
	s_waitcnt lgkmcnt(0)
	v_sub_f32_e32 v7, v7, v3
	v_mul_f32_e32 v8, 0x3fb8aa3b, v7
	v_fma_f32 v9, v7, s7, -v8
	v_rndne_f32_e32 v10, v8
	v_fmac_f32_e32 v9, 0x32a5705f, v7
	v_sub_f32_e32 v8, v8, v10
	v_add_f32_e32 v8, v8, v9
	v_cvt_i32_f32_e32 v10, v10
	v_exp_f32_e32 v8, v8
	v_cmp_ngt_f32_e64 s[0:1], s18, v7
	v_ldexp_f32 v8, v8, v10
	v_cndmask_b32_e64 v8, 0, v8, s[0:1]
	v_cmp_nlt_f32_e64 s[0:1], s19, v7
	v_cndmask_b32_e64 v7, v5, v8, s[0:1]
	v_cmp_le_i32_e64 s[0:1], s2, v6
	ds_write_b32 v4, v7
	v_add_f32_e32 v2, v2, v7
	s_or_b64 s[14:15], s[0:1], s[14:15]
	v_add_u32_e32 v4, s17, v4
	s_andn2_b64 exec, exec, s[14:15]
	s_cbranch_execnz .LBB176_6
; %bb.7:
	s_or_b64 exec, exec, s[14:15]
.LBB176_8:
	s_or_b64 exec, exec, s[12:13]
	s_waitcnt lgkmcnt(0)
	v_mov_b32_dpp v3, v2 quad_perm:[1,0,3,2] row_mask:0xf bank_mask:0xf
	v_add_f32_e32 v2, v2, v3
	s_barrier
	s_nop 0
	v_mov_b32_dpp v3, v2 quad_perm:[2,3,0,1] row_mask:0xf bank_mask:0xf
	v_add_f32_e32 v2, v2, v3
	s_nop 1
	v_mov_b32_dpp v3, v2 row_half_mirror row_mask:0xf bank_mask:0xf
	v_add_f32_e32 v2, v2, v3
	s_nop 1
	v_mov_b32_dpp v3, v2 row_mirror row_mask:0xf bank_mask:0xf
	v_add_f32_e32 v2, v2, v3
	s_nop 1
	v_mov_b32_dpp v3, v2 row_bcast:15 row_mask:0xf bank_mask:0xf
	v_add_f32_e32 v2, v2, v3
	s_nop 1
	v_mov_b32_dpp v3, v2 row_bcast:31 row_mask:0xf bank_mask:0xf
	v_add_f32_e32 v2, v2, v3
	ds_bpermute_b32 v1, v1, v2
	s_and_saveexec_b64 s[0:1], vcc
	s_cbranch_execz .LBB176_11
; %bb.9:
	s_load_dword s7, s[4:5], 0x4c
	v_lshl_add_u32 v2, v0, 2, 0
	s_mov_b64 s[12:13], 0
	v_mov_b32_e32 v3, v0
	s_waitcnt lgkmcnt(0)
	s_and_b32 s7, s7, 0xffff
	s_lshl_b32 s14, s7, 2
.LBB176_10:                             ; =>This Inner Loop Header: Depth=1
	ds_read_b32 v4, v2
	v_add_u32_e32 v3, s7, v3
	v_cmp_le_i32_e32 vcc, s2, v3
	s_or_b64 s[12:13], vcc, s[12:13]
	s_waitcnt lgkmcnt(0)
	v_div_scale_f32 v5, s[16:17], v1, v1, v4
	v_rcp_f32_e32 v6, v5
	v_div_scale_f32 v7, vcc, v4, v1, v4
	v_fma_f32 v8, -v5, v6, 1.0
	v_fmac_f32_e32 v6, v8, v6
	v_mul_f32_e32 v8, v7, v6
	v_fma_f32 v9, -v5, v8, v7
	v_fmac_f32_e32 v8, v9, v6
	v_fma_f32 v5, -v5, v8, v7
	v_div_fmas_f32 v5, v5, v6, v8
	v_div_fixup_f32 v4, v5, v1, v4
	ds_write_b32 v2, v4
	v_add_u32_e32 v2, s14, v2
	s_andn2_b64 exec, exec, s[12:13]
	s_cbranch_execnz .LBB176_10
.LBB176_11:
	s_or_b64 exec, exec, s[0:1]
	s_cmp_lt_i32 s3, 1
	s_waitcnt lgkmcnt(0)
	s_barrier
	s_cbranch_scc1 .LBB176_18
; %bb.12:
	s_lshr_b32 s0, s2, 31
	s_add_i32 s0, s2, s0
	s_ashr_i32 s2, s0, 1
	s_add_u32 s12, s4, 64
	v_cmp_gt_i32_e32 vcc, s2, v0
	s_addc_u32 s13, s5, 0
	v_lshlrev_b32_e32 v4, 1, v0
	s_mov_b32 s7, 0
	v_lshl_add_u32 v5, v0, 3, 0
	v_mov_b32_e32 v2, 0
	v_mov_b32_e32 v6, 0xff800000
                                        ; implicit-def: $vgpr3
                                        ; implicit-def: $vgpr1
	s_branch .LBB176_14
.LBB176_13:                             ;   in Loop: Header=BB176_14 Depth=1
	s_or_b64 exec, exec, s[14:15]
	v_mov_b32_dpp v10, v8 quad_perm:[1,0,3,2] row_mask:0xf bank_mask:0xf
	v_cmp_lt_f32_e64 s[0:1], v8, v10
	v_cndmask_b32_e64 v8, v8, v10, s[0:1]
	v_mov_b32_dpp v9, v7 quad_perm:[1,0,3,2] row_mask:0xf bank_mask:0xf
	v_cndmask_b32_e64 v7, v7, v9, s[0:1]
	v_mov_b32_dpp v10, v8 quad_perm:[2,3,0,1] row_mask:0xf bank_mask:0xf
	v_cmp_gt_f32_e64 s[0:1], v10, v8
	v_cndmask_b32_e64 v8, v8, v10, s[0:1]
	v_mov_b32_dpp v9, v7 quad_perm:[2,3,0,1] row_mask:0xf bank_mask:0xf
	v_cndmask_b32_e64 v7, v7, v9, s[0:1]
	v_mov_b32_dpp v10, v8 row_half_mirror row_mask:0xf bank_mask:0xf
	v_cmp_gt_f32_e64 s[0:1], v10, v8
	v_cndmask_b32_e64 v8, v8, v10, s[0:1]
	v_mov_b32_dpp v9, v7 row_half_mirror row_mask:0xf bank_mask:0xf
	v_cndmask_b32_e64 v7, v7, v9, s[0:1]
	v_mov_b32_dpp v10, v8 row_mirror row_mask:0xf bank_mask:0xf
	v_cmp_gt_f32_e64 s[0:1], v10, v8
	v_cndmask_b32_e64 v8, v8, v10, s[0:1]
	v_mov_b32_dpp v9, v7 row_mirror row_mask:0xf bank_mask:0xf
	v_cndmask_b32_e64 v7, v7, v9, s[0:1]
	v_mov_b32_dpp v10, v8 row_bcast:15 row_mask:0xf bank_mask:0xf
	v_cmp_gt_f32_e64 s[0:1], v10, v8
	v_mov_b32_dpp v9, v7 row_bcast:15 row_mask:0xf bank_mask:0xf
	v_cndmask_b32_e64 v8, v8, v10, s[0:1]
	v_cndmask_b32_e64 v7, v7, v9, s[0:1]
	s_nop 0
	v_mov_b32_dpp v10, v8 row_bcast:31 row_mask:0xf bank_mask:0xf
	v_mov_b32_dpp v9, v7 row_bcast:31 row_mask:0xf bank_mask:0xf
	v_cmp_gt_f32_e64 s[0:1], v10, v8
	v_cndmask_b32_e64 v7, v7, v9, s[0:1]
	v_cndmask_b32_e64 v8, v8, v10, s[0:1]
	v_readlane_b32 s0, v7, 63
	s_lshl_b32 s1, s0, 2
	s_add_i32 s1, s1, 0
	v_mov_b32_e32 v7, s1
	v_readlane_b32 s14, v8, 63
	ds_write_b32 v7, v6
	v_mov_b32_e32 v7, s0
	v_cmp_eq_u32_e64 s[0:1], s7, v0
	v_cndmask_b32_e64 v1, v1, v7, s[0:1]
	v_mov_b32_e32 v7, s14
	s_add_i32 s7, s7, 1
	v_cndmask_b32_e64 v3, v3, v7, s[0:1]
	s_cmp_eq_u32 s7, s3
	v_add_f32_e32 v2, s14, v2
	s_cbranch_scc1 .LBB176_19
.LBB176_14:                             ; =>This Loop Header: Depth=1
                                        ;     Child Loop BB176_16 Depth 2
	v_mov_b32_e32 v7, s7
	v_mov_b32_e32 v8, 0xff800000
	s_and_saveexec_b64 s[14:15], vcc
	s_cbranch_execz .LBB176_13
; %bb.15:                               ;   in Loop: Header=BB176_14 Depth=1
	s_load_dword s0, s[12:13], 0xc
	s_mov_b64 s[16:17], 0
	v_mov_b32_e32 v7, s7
	v_mov_b32_e32 v8, 0xff800000
	;; [unrolled: 1-line block ×3, first 2 shown]
	s_waitcnt lgkmcnt(0)
	s_and_b32 s18, s0, 0xffff
	s_lshl_b32 s19, s18, 1
	s_lshl_b32 s20, s18, 3
	v_mov_b32_e32 v10, v4
	v_mov_b32_e32 v11, v0
.LBB176_16:                             ;   Parent Loop BB176_14 Depth=1
                                        ; =>  This Inner Loop Header: Depth=2
	ds_read_b64 v[12:13], v9
	v_add_u32_e32 v11, s18, v11
	v_cmp_le_i32_e64 s[0:1], s2, v11
	s_or_b64 s[16:17], s[0:1], s[16:17]
	v_add_u32_e32 v14, 1, v10
	s_waitcnt lgkmcnt(0)
	v_cmp_gt_f32_e64 s[0:1], v12, v8
	v_cndmask_b32_e64 v8, v8, v12, s[0:1]
	v_cndmask_b32_e64 v7, v7, v10, s[0:1]
	v_cmp_gt_f32_e64 s[0:1], v13, v8
	v_add_u32_e32 v9, s20, v9
	v_cndmask_b32_e64 v8, v8, v13, s[0:1]
	v_add_u32_e32 v10, s19, v10
	v_cndmask_b32_e64 v7, v7, v14, s[0:1]
	s_andn2_b64 exec, exec, s[16:17]
	s_cbranch_execnz .LBB176_16
; %bb.17:                               ;   in Loop: Header=BB176_14 Depth=1
	s_or_b64 exec, exec, s[16:17]
	s_branch .LBB176_13
.LBB176_18:
	v_mov_b32_e32 v2, 0
                                        ; implicit-def: $vgpr3
                                        ; implicit-def: $vgpr1
.LBB176_19:
	v_cmp_gt_i32_e32 vcc, s3, v0
	s_and_saveexec_b64 s[0:1], vcc
	s_cbranch_execz .LBB176_22
; %bb.20:
	s_load_dword s2, s[4:5], 0x38
	s_load_dwordx2 s[0:1], s[4:5], 0x20
	s_load_dword s7, s[4:5], 0x4c
	s_waitcnt lgkmcnt(0)
	v_div_scale_f32 v4, s[4:5], v2, v2, s2
	v_rcp_f32_e32 v5, v4
	v_div_scale_f32 v6, vcc, s2, v2, s2
	s_ashr_i32 s4, s6, 31
	v_fma_f32 v7, -v4, v5, 1.0
	v_fmac_f32_e32 v5, v7, v5
	v_mul_f32_e32 v7, v6, v5
	v_fma_f32 v8, -v4, v7, v6
	v_fmac_f32_e32 v7, v8, v5
	v_fma_f32 v4, -v4, v7, v6
	v_div_fmas_f32 v4, v4, v5, v7
	v_div_fixup_f32 v2, v4, v2, s2
	s_mul_i32 s1, s6, s1
	s_mul_hi_u32 s2, s6, s0
	s_add_i32 s1, s2, s1
	s_mul_i32 s4, s4, s0
	s_add_i32 s5, s1, s4
	v_mul_f32_e32 v2, v2, v3
	s_mul_i32 s2, s6, s0
	s_and_b32 s4, s7, 0xffff
	s_mov_b64 s[0:1], 0
	v_mov_b32_e32 v3, s5
	v_mov_b32_e32 v4, s9
	;; [unrolled: 1-line block ×3, first 2 shown]
.LBB176_21:                             ; =>This Inner Loop Header: Depth=1
	v_ashrrev_i32_e32 v7, 31, v0
	v_add_co_u32_e32 v6, vcc, s2, v0
	v_addc_co_u32_e32 v7, vcc, v3, v7, vcc
	v_add_u32_e32 v0, s4, v0
	v_cmp_le_i32_e32 vcc, s3, v0
	v_lshlrev_b64 v[6:7], 2, v[6:7]
	s_or_b64 s[0:1], vcc, s[0:1]
	v_add_co_u32_e32 v8, vcc, s8, v6
	v_addc_co_u32_e32 v9, vcc, v4, v7, vcc
	v_add_co_u32_e32 v6, vcc, s10, v6
	v_addc_co_u32_e32 v7, vcc, v5, v7, vcc
	global_store_dword v[8:9], v2, off
	global_store_dword v[6:7], v1, off
	s_andn2_b64 exec, exec, s[0:1]
	s_cbranch_execnz .LBB176_21
.LBB176_22:
	s_endpgm
	.section	.rodata,"a",@progbits
	.p2align	6, 0x0
	.amdhsa_kernel _ZN5aiter19grouped_topk_kernelIN3c104HalfEDv2_fLi1ELb1ELb0ELb1EEEvPT_PKS4_PfPimiiiif
		.amdhsa_group_segment_fixed_size 0
		.amdhsa_private_segment_fixed_size 0
		.amdhsa_kernarg_size 320
		.amdhsa_user_sgpr_count 6
		.amdhsa_user_sgpr_private_segment_buffer 1
		.amdhsa_user_sgpr_dispatch_ptr 0
		.amdhsa_user_sgpr_queue_ptr 0
		.amdhsa_user_sgpr_kernarg_segment_ptr 1
		.amdhsa_user_sgpr_dispatch_id 0
		.amdhsa_user_sgpr_flat_scratch_init 0
		.amdhsa_user_sgpr_kernarg_preload_length 0
		.amdhsa_user_sgpr_kernarg_preload_offset 0
		.amdhsa_user_sgpr_private_segment_size 0
		.amdhsa_uses_dynamic_stack 0
		.amdhsa_system_sgpr_private_segment_wavefront_offset 0
		.amdhsa_system_sgpr_workgroup_id_x 1
		.amdhsa_system_sgpr_workgroup_id_y 0
		.amdhsa_system_sgpr_workgroup_id_z 0
		.amdhsa_system_sgpr_workgroup_info 0
		.amdhsa_system_vgpr_workitem_id 0
		.amdhsa_next_free_vgpr 15
		.amdhsa_next_free_sgpr 21
		.amdhsa_accum_offset 16
		.amdhsa_reserve_vcc 1
		.amdhsa_reserve_flat_scratch 0
		.amdhsa_float_round_mode_32 0
		.amdhsa_float_round_mode_16_64 0
		.amdhsa_float_denorm_mode_32 3
		.amdhsa_float_denorm_mode_16_64 3
		.amdhsa_dx10_clamp 1
		.amdhsa_ieee_mode 1
		.amdhsa_fp16_overflow 0
		.amdhsa_tg_split 0
		.amdhsa_exception_fp_ieee_invalid_op 0
		.amdhsa_exception_fp_denorm_src 0
		.amdhsa_exception_fp_ieee_div_zero 0
		.amdhsa_exception_fp_ieee_overflow 0
		.amdhsa_exception_fp_ieee_underflow 0
		.amdhsa_exception_fp_ieee_inexact 0
		.amdhsa_exception_int_div_zero 0
	.end_amdhsa_kernel
	.section	.text._ZN5aiter19grouped_topk_kernelIN3c104HalfEDv2_fLi1ELb1ELb0ELb1EEEvPT_PKS4_PfPimiiiif,"axG",@progbits,_ZN5aiter19grouped_topk_kernelIN3c104HalfEDv2_fLi1ELb1ELb0ELb1EEEvPT_PKS4_PfPimiiiif,comdat
.Lfunc_end176:
	.size	_ZN5aiter19grouped_topk_kernelIN3c104HalfEDv2_fLi1ELb1ELb0ELb1EEEvPT_PKS4_PfPimiiiif, .Lfunc_end176-_ZN5aiter19grouped_topk_kernelIN3c104HalfEDv2_fLi1ELb1ELb0ELb1EEEvPT_PKS4_PfPimiiiif
                                        ; -- End function
	.section	.AMDGPU.csdata,"",@progbits
; Kernel info:
; codeLenInByte = 1760
; NumSgprs: 25
; NumVgprs: 15
; NumAgprs: 0
; TotalNumVgprs: 15
; ScratchSize: 0
; MemoryBound: 0
; FloatMode: 240
; IeeeMode: 1
; LDSByteSize: 0 bytes/workgroup (compile time only)
; SGPRBlocks: 3
; VGPRBlocks: 1
; NumSGPRsForWavesPerEU: 25
; NumVGPRsForWavesPerEU: 15
; AccumOffset: 16
; Occupancy: 8
; WaveLimiterHint : 0
; COMPUTE_PGM_RSRC2:SCRATCH_EN: 0
; COMPUTE_PGM_RSRC2:USER_SGPR: 6
; COMPUTE_PGM_RSRC2:TRAP_HANDLER: 0
; COMPUTE_PGM_RSRC2:TGID_X_EN: 1
; COMPUTE_PGM_RSRC2:TGID_Y_EN: 0
; COMPUTE_PGM_RSRC2:TGID_Z_EN: 0
; COMPUTE_PGM_RSRC2:TIDIG_COMP_CNT: 0
; COMPUTE_PGM_RSRC3_GFX90A:ACCUM_OFFSET: 3
; COMPUTE_PGM_RSRC3_GFX90A:TG_SPLIT: 0
	.section	.text._ZN5aiter19grouped_topk_kernelIN3c108BFloat16EDv2_fLi1ELb1ELb0ELb1EEEvPT_PKS4_PfPimiiiif,"axG",@progbits,_ZN5aiter19grouped_topk_kernelIN3c108BFloat16EDv2_fLi1ELb1ELb0ELb1EEEvPT_PKS4_PfPimiiiif,comdat
	.protected	_ZN5aiter19grouped_topk_kernelIN3c108BFloat16EDv2_fLi1ELb1ELb0ELb1EEEvPT_PKS4_PfPimiiiif ; -- Begin function _ZN5aiter19grouped_topk_kernelIN3c108BFloat16EDv2_fLi1ELb1ELb0ELb1EEEvPT_PKS4_PfPimiiiif
	.globl	_ZN5aiter19grouped_topk_kernelIN3c108BFloat16EDv2_fLi1ELb1ELb0ELb1EEEvPT_PKS4_PfPimiiiif
	.p2align	8
	.type	_ZN5aiter19grouped_topk_kernelIN3c108BFloat16EDv2_fLi1ELb1ELb0ELb1EEEvPT_PKS4_PfPimiiiif,@function
_ZN5aiter19grouped_topk_kernelIN3c108BFloat16EDv2_fLi1ELb1ELb0ELb1EEEvPT_PKS4_PfPimiiiif: ; @_ZN5aiter19grouped_topk_kernelIN3c108BFloat16EDv2_fLi1ELb1ELb0ELb1EEEvPT_PKS4_PfPimiiiif
; %bb.0:
	s_load_dwordx2 s[2:3], s[4:5], 0x28
	s_load_dwordx4 s[8:11], s[4:5], 0x10
	v_mov_b32_e32 v1, 0xff800000
	s_waitcnt lgkmcnt(0)
	v_cmp_gt_i32_e32 vcc, s2, v0
	s_and_saveexec_b64 s[12:13], vcc
	s_cbranch_execz .LBB177_4
; %bb.1:
	s_load_dword s0, s[4:5], 0x4c
	s_load_dwordx2 s[14:15], s[4:5], 0x0
	s_mul_i32 s7, s6, s2
	v_lshl_add_u32 v2, v0, 2, 0
	s_mov_b64 s[16:17], 0
	s_waitcnt lgkmcnt(0)
	s_and_b32 s18, s0, 0xffff
	s_lshl_b32 s19, s18, 2
	v_mov_b32_e32 v1, 0xff800000
	v_mov_b32_e32 v3, s15
	;; [unrolled: 1-line block ×3, first 2 shown]
.LBB177_2:                              ; =>This Inner Loop Header: Depth=1
	v_add_u32_e32 v6, s7, v4
	v_ashrrev_i32_e32 v7, 31, v6
	v_lshlrev_b64 v[6:7], 1, v[6:7]
	v_add_co_u32_e64 v6, s[0:1], s14, v6
	v_addc_co_u32_e64 v7, s[0:1], v3, v7, s[0:1]
	global_load_ushort v5, v[6:7], off
	v_add_u32_e32 v4, s18, v4
	v_cmp_le_i32_e64 s[0:1], s2, v4
	s_or_b64 s[16:17], s[0:1], s[16:17]
	s_waitcnt vmcnt(0)
	v_lshrrev_b16_e32 v6, 8, v5
	v_and_b32_e32 v5, 0xff, v5
	v_lshlrev_b32_e32 v5, 16, v5
	v_lshl_or_b32 v5, v6, 24, v5
	v_cmp_lt_f32_e64 s[0:1], v1, v5
	ds_write_b32 v2, v5
	v_cndmask_b32_e64 v1, v1, v5, s[0:1]
	v_add_u32_e32 v2, s19, v2
	s_andn2_b64 exec, exec, s[16:17]
	s_cbranch_execnz .LBB177_2
; %bb.3:
	s_or_b64 exec, exec, s[16:17]
.LBB177_4:
	s_or_b64 exec, exec, s[12:13]
	v_mov_b32_dpp v2, v1 quad_perm:[1,0,3,2] row_mask:0xf bank_mask:0xf
	v_cmp_lt_f32_e64 s[0:1], v1, v2
	v_cndmask_b32_e64 v1, v1, v2, s[0:1]
	v_bfrev_b32_e32 v3, 0.5
	s_waitcnt lgkmcnt(0)
	v_mov_b32_dpp v2, v1 quad_perm:[2,3,0,1] row_mask:0xf bank_mask:0xf
	v_cmp_lt_f32_e64 s[0:1], v1, v2
	v_cndmask_b32_e64 v1, v1, v2, s[0:1]
	s_barrier
	s_nop 0
	v_mov_b32_dpp v2, v1 row_half_mirror row_mask:0xf bank_mask:0xf
	v_cmp_lt_f32_e64 s[0:1], v1, v2
	v_cndmask_b32_e64 v1, v1, v2, s[0:1]
	s_nop 1
	v_mov_b32_dpp v2, v1 row_mirror row_mask:0xf bank_mask:0xf
	v_cmp_lt_f32_e64 s[0:1], v1, v2
	v_cndmask_b32_e64 v1, v1, v2, s[0:1]
	s_nop 1
	v_mov_b32_dpp v2, v1 row_bcast:15 row_mask:0xf bank_mask:0xf
	v_cmp_lt_f32_e64 s[0:1], v1, v2
	v_cndmask_b32_e64 v1, v1, v2, s[0:1]
	s_nop 1
	v_mov_b32_dpp v2, v1 row_bcast:31 row_mask:0xf bank_mask:0xf
	v_cmp_lt_f32_e64 s[0:1], v1, v2
	v_cndmask_b32_e64 v2, v1, v2, s[0:1]
	v_mbcnt_lo_u32_b32 v1, -1, 0
	v_mbcnt_hi_u32_b32 v1, -1, v1
	v_lshl_or_b32 v1, v1, 2, v3
	ds_bpermute_b32 v3, v1, v2
	v_mov_b32_e32 v2, 0
	s_and_saveexec_b64 s[12:13], vcc
	s_cbranch_execz .LBB177_8
; %bb.5:
	s_load_dword s0, s[4:5], 0x4c
	v_lshl_add_u32 v4, v0, 2, 0
	s_mov_b64 s[14:15], 0
	v_mov_b32_e32 v2, 0
	s_mov_b32 s7, 0x3fb8aa3b
	s_waitcnt lgkmcnt(0)
	s_and_b32 s16, s0, 0xffff
	s_lshl_b32 s17, s16, 2
	s_mov_b32 s18, 0xc2ce8ed0
	s_mov_b32 s19, 0x42b17218
	v_mov_b32_e32 v5, 0x7f800000
	v_mov_b32_e32 v6, v0
.LBB177_6:                              ; =>This Inner Loop Header: Depth=1
	ds_read_b32 v7, v4
	v_add_u32_e32 v6, s16, v6
	s_waitcnt lgkmcnt(0)
	v_sub_f32_e32 v7, v7, v3
	v_mul_f32_e32 v8, 0x3fb8aa3b, v7
	v_fma_f32 v9, v7, s7, -v8
	v_rndne_f32_e32 v10, v8
	v_fmac_f32_e32 v9, 0x32a5705f, v7
	v_sub_f32_e32 v8, v8, v10
	v_add_f32_e32 v8, v8, v9
	v_cvt_i32_f32_e32 v10, v10
	v_exp_f32_e32 v8, v8
	v_cmp_ngt_f32_e64 s[0:1], s18, v7
	v_ldexp_f32 v8, v8, v10
	v_cndmask_b32_e64 v8, 0, v8, s[0:1]
	v_cmp_nlt_f32_e64 s[0:1], s19, v7
	v_cndmask_b32_e64 v7, v5, v8, s[0:1]
	v_cmp_le_i32_e64 s[0:1], s2, v6
	ds_write_b32 v4, v7
	v_add_f32_e32 v2, v2, v7
	s_or_b64 s[14:15], s[0:1], s[14:15]
	v_add_u32_e32 v4, s17, v4
	s_andn2_b64 exec, exec, s[14:15]
	s_cbranch_execnz .LBB177_6
; %bb.7:
	s_or_b64 exec, exec, s[14:15]
.LBB177_8:
	s_or_b64 exec, exec, s[12:13]
	s_waitcnt lgkmcnt(0)
	v_mov_b32_dpp v3, v2 quad_perm:[1,0,3,2] row_mask:0xf bank_mask:0xf
	v_add_f32_e32 v2, v2, v3
	s_barrier
	s_nop 0
	v_mov_b32_dpp v3, v2 quad_perm:[2,3,0,1] row_mask:0xf bank_mask:0xf
	v_add_f32_e32 v2, v2, v3
	s_nop 1
	v_mov_b32_dpp v3, v2 row_half_mirror row_mask:0xf bank_mask:0xf
	v_add_f32_e32 v2, v2, v3
	s_nop 1
	v_mov_b32_dpp v3, v2 row_mirror row_mask:0xf bank_mask:0xf
	v_add_f32_e32 v2, v2, v3
	s_nop 1
	v_mov_b32_dpp v3, v2 row_bcast:15 row_mask:0xf bank_mask:0xf
	v_add_f32_e32 v2, v2, v3
	s_nop 1
	v_mov_b32_dpp v3, v2 row_bcast:31 row_mask:0xf bank_mask:0xf
	v_add_f32_e32 v2, v2, v3
	ds_bpermute_b32 v1, v1, v2
	s_and_saveexec_b64 s[0:1], vcc
	s_cbranch_execz .LBB177_11
; %bb.9:
	s_load_dword s7, s[4:5], 0x4c
	v_lshl_add_u32 v2, v0, 2, 0
	s_mov_b64 s[12:13], 0
	v_mov_b32_e32 v3, v0
	s_waitcnt lgkmcnt(0)
	s_and_b32 s7, s7, 0xffff
	s_lshl_b32 s14, s7, 2
.LBB177_10:                             ; =>This Inner Loop Header: Depth=1
	ds_read_b32 v4, v2
	v_add_u32_e32 v3, s7, v3
	v_cmp_le_i32_e32 vcc, s2, v3
	s_or_b64 s[12:13], vcc, s[12:13]
	s_waitcnt lgkmcnt(0)
	v_div_scale_f32 v5, s[16:17], v1, v1, v4
	v_rcp_f32_e32 v6, v5
	v_div_scale_f32 v7, vcc, v4, v1, v4
	v_fma_f32 v8, -v5, v6, 1.0
	v_fmac_f32_e32 v6, v8, v6
	v_mul_f32_e32 v8, v7, v6
	v_fma_f32 v9, -v5, v8, v7
	v_fmac_f32_e32 v8, v9, v6
	v_fma_f32 v5, -v5, v8, v7
	v_div_fmas_f32 v5, v5, v6, v8
	v_div_fixup_f32 v4, v5, v1, v4
	ds_write_b32 v2, v4
	v_add_u32_e32 v2, s14, v2
	s_andn2_b64 exec, exec, s[12:13]
	s_cbranch_execnz .LBB177_10
.LBB177_11:
	s_or_b64 exec, exec, s[0:1]
	s_cmp_lt_i32 s3, 1
	s_waitcnt lgkmcnt(0)
	s_barrier
	s_cbranch_scc1 .LBB177_18
; %bb.12:
	s_lshr_b32 s0, s2, 31
	s_add_i32 s0, s2, s0
	s_ashr_i32 s2, s0, 1
	s_add_u32 s12, s4, 64
	v_cmp_gt_i32_e32 vcc, s2, v0
	s_addc_u32 s13, s5, 0
	v_lshlrev_b32_e32 v4, 1, v0
	s_mov_b32 s7, 0
	v_lshl_add_u32 v5, v0, 3, 0
	v_mov_b32_e32 v2, 0
	v_mov_b32_e32 v6, 0xff800000
                                        ; implicit-def: $vgpr3
                                        ; implicit-def: $vgpr1
	s_branch .LBB177_14
.LBB177_13:                             ;   in Loop: Header=BB177_14 Depth=1
	s_or_b64 exec, exec, s[14:15]
	v_mov_b32_dpp v10, v8 quad_perm:[1,0,3,2] row_mask:0xf bank_mask:0xf
	v_cmp_lt_f32_e64 s[0:1], v8, v10
	v_cndmask_b32_e64 v8, v8, v10, s[0:1]
	v_mov_b32_dpp v9, v7 quad_perm:[1,0,3,2] row_mask:0xf bank_mask:0xf
	v_cndmask_b32_e64 v7, v7, v9, s[0:1]
	v_mov_b32_dpp v10, v8 quad_perm:[2,3,0,1] row_mask:0xf bank_mask:0xf
	v_cmp_gt_f32_e64 s[0:1], v10, v8
	v_cndmask_b32_e64 v8, v8, v10, s[0:1]
	v_mov_b32_dpp v9, v7 quad_perm:[2,3,0,1] row_mask:0xf bank_mask:0xf
	v_cndmask_b32_e64 v7, v7, v9, s[0:1]
	v_mov_b32_dpp v10, v8 row_half_mirror row_mask:0xf bank_mask:0xf
	v_cmp_gt_f32_e64 s[0:1], v10, v8
	v_cndmask_b32_e64 v8, v8, v10, s[0:1]
	v_mov_b32_dpp v9, v7 row_half_mirror row_mask:0xf bank_mask:0xf
	v_cndmask_b32_e64 v7, v7, v9, s[0:1]
	v_mov_b32_dpp v10, v8 row_mirror row_mask:0xf bank_mask:0xf
	v_cmp_gt_f32_e64 s[0:1], v10, v8
	v_cndmask_b32_e64 v8, v8, v10, s[0:1]
	v_mov_b32_dpp v9, v7 row_mirror row_mask:0xf bank_mask:0xf
	v_cndmask_b32_e64 v7, v7, v9, s[0:1]
	v_mov_b32_dpp v10, v8 row_bcast:15 row_mask:0xf bank_mask:0xf
	v_cmp_gt_f32_e64 s[0:1], v10, v8
	v_mov_b32_dpp v9, v7 row_bcast:15 row_mask:0xf bank_mask:0xf
	v_cndmask_b32_e64 v8, v8, v10, s[0:1]
	v_cndmask_b32_e64 v7, v7, v9, s[0:1]
	s_nop 0
	v_mov_b32_dpp v10, v8 row_bcast:31 row_mask:0xf bank_mask:0xf
	v_mov_b32_dpp v9, v7 row_bcast:31 row_mask:0xf bank_mask:0xf
	v_cmp_gt_f32_e64 s[0:1], v10, v8
	v_cndmask_b32_e64 v7, v7, v9, s[0:1]
	v_cndmask_b32_e64 v8, v8, v10, s[0:1]
	v_readlane_b32 s0, v7, 63
	s_lshl_b32 s1, s0, 2
	s_add_i32 s1, s1, 0
	v_mov_b32_e32 v7, s1
	v_readlane_b32 s14, v8, 63
	ds_write_b32 v7, v6
	v_mov_b32_e32 v7, s0
	v_cmp_eq_u32_e64 s[0:1], s7, v0
	v_cndmask_b32_e64 v1, v1, v7, s[0:1]
	v_mov_b32_e32 v7, s14
	s_add_i32 s7, s7, 1
	v_cndmask_b32_e64 v3, v3, v7, s[0:1]
	s_cmp_eq_u32 s7, s3
	v_add_f32_e32 v2, s14, v2
	s_cbranch_scc1 .LBB177_19
.LBB177_14:                             ; =>This Loop Header: Depth=1
                                        ;     Child Loop BB177_16 Depth 2
	v_mov_b32_e32 v7, s7
	v_mov_b32_e32 v8, 0xff800000
	s_and_saveexec_b64 s[14:15], vcc
	s_cbranch_execz .LBB177_13
; %bb.15:                               ;   in Loop: Header=BB177_14 Depth=1
	s_load_dword s0, s[12:13], 0xc
	s_mov_b64 s[16:17], 0
	v_mov_b32_e32 v7, s7
	v_mov_b32_e32 v8, 0xff800000
	;; [unrolled: 1-line block ×3, first 2 shown]
	s_waitcnt lgkmcnt(0)
	s_and_b32 s18, s0, 0xffff
	s_lshl_b32 s19, s18, 1
	s_lshl_b32 s20, s18, 3
	v_mov_b32_e32 v10, v4
	v_mov_b32_e32 v11, v0
.LBB177_16:                             ;   Parent Loop BB177_14 Depth=1
                                        ; =>  This Inner Loop Header: Depth=2
	ds_read_b64 v[12:13], v9
	v_add_u32_e32 v11, s18, v11
	v_cmp_le_i32_e64 s[0:1], s2, v11
	s_or_b64 s[16:17], s[0:1], s[16:17]
	v_add_u32_e32 v14, 1, v10
	s_waitcnt lgkmcnt(0)
	v_cmp_gt_f32_e64 s[0:1], v12, v8
	v_cndmask_b32_e64 v8, v8, v12, s[0:1]
	v_cndmask_b32_e64 v7, v7, v10, s[0:1]
	v_cmp_gt_f32_e64 s[0:1], v13, v8
	v_add_u32_e32 v9, s20, v9
	v_cndmask_b32_e64 v8, v8, v13, s[0:1]
	v_add_u32_e32 v10, s19, v10
	v_cndmask_b32_e64 v7, v7, v14, s[0:1]
	s_andn2_b64 exec, exec, s[16:17]
	s_cbranch_execnz .LBB177_16
; %bb.17:                               ;   in Loop: Header=BB177_14 Depth=1
	s_or_b64 exec, exec, s[16:17]
	s_branch .LBB177_13
.LBB177_18:
	v_mov_b32_e32 v2, 0
                                        ; implicit-def: $vgpr3
                                        ; implicit-def: $vgpr1
.LBB177_19:
	v_cmp_gt_i32_e32 vcc, s3, v0
	s_and_saveexec_b64 s[0:1], vcc
	s_cbranch_execz .LBB177_22
; %bb.20:
	s_load_dword s2, s[4:5], 0x38
	s_load_dwordx2 s[0:1], s[4:5], 0x20
	s_load_dword s7, s[4:5], 0x4c
	s_waitcnt lgkmcnt(0)
	v_div_scale_f32 v4, s[4:5], v2, v2, s2
	v_rcp_f32_e32 v5, v4
	v_div_scale_f32 v6, vcc, s2, v2, s2
	s_ashr_i32 s4, s6, 31
	v_fma_f32 v7, -v4, v5, 1.0
	v_fmac_f32_e32 v5, v7, v5
	v_mul_f32_e32 v7, v6, v5
	v_fma_f32 v8, -v4, v7, v6
	v_fmac_f32_e32 v7, v8, v5
	v_fma_f32 v4, -v4, v7, v6
	v_div_fmas_f32 v4, v4, v5, v7
	v_div_fixup_f32 v2, v4, v2, s2
	s_mul_i32 s1, s6, s1
	s_mul_hi_u32 s2, s6, s0
	s_add_i32 s1, s2, s1
	s_mul_i32 s4, s4, s0
	s_add_i32 s5, s1, s4
	v_mul_f32_e32 v2, v2, v3
	s_mul_i32 s2, s6, s0
	s_and_b32 s4, s7, 0xffff
	s_mov_b64 s[0:1], 0
	v_mov_b32_e32 v3, s5
	v_mov_b32_e32 v4, s9
	;; [unrolled: 1-line block ×3, first 2 shown]
.LBB177_21:                             ; =>This Inner Loop Header: Depth=1
	v_ashrrev_i32_e32 v7, 31, v0
	v_add_co_u32_e32 v6, vcc, s2, v0
	v_addc_co_u32_e32 v7, vcc, v3, v7, vcc
	v_add_u32_e32 v0, s4, v0
	v_cmp_le_i32_e32 vcc, s3, v0
	v_lshlrev_b64 v[6:7], 2, v[6:7]
	s_or_b64 s[0:1], vcc, s[0:1]
	v_add_co_u32_e32 v8, vcc, s8, v6
	v_addc_co_u32_e32 v9, vcc, v4, v7, vcc
	v_add_co_u32_e32 v6, vcc, s10, v6
	v_addc_co_u32_e32 v7, vcc, v5, v7, vcc
	global_store_dword v[8:9], v2, off
	global_store_dword v[6:7], v1, off
	s_andn2_b64 exec, exec, s[0:1]
	s_cbranch_execnz .LBB177_21
.LBB177_22:
	s_endpgm
	.section	.rodata,"a",@progbits
	.p2align	6, 0x0
	.amdhsa_kernel _ZN5aiter19grouped_topk_kernelIN3c108BFloat16EDv2_fLi1ELb1ELb0ELb1EEEvPT_PKS4_PfPimiiiif
		.amdhsa_group_segment_fixed_size 0
		.amdhsa_private_segment_fixed_size 0
		.amdhsa_kernarg_size 320
		.amdhsa_user_sgpr_count 6
		.amdhsa_user_sgpr_private_segment_buffer 1
		.amdhsa_user_sgpr_dispatch_ptr 0
		.amdhsa_user_sgpr_queue_ptr 0
		.amdhsa_user_sgpr_kernarg_segment_ptr 1
		.amdhsa_user_sgpr_dispatch_id 0
		.amdhsa_user_sgpr_flat_scratch_init 0
		.amdhsa_user_sgpr_kernarg_preload_length 0
		.amdhsa_user_sgpr_kernarg_preload_offset 0
		.amdhsa_user_sgpr_private_segment_size 0
		.amdhsa_uses_dynamic_stack 0
		.amdhsa_system_sgpr_private_segment_wavefront_offset 0
		.amdhsa_system_sgpr_workgroup_id_x 1
		.amdhsa_system_sgpr_workgroup_id_y 0
		.amdhsa_system_sgpr_workgroup_id_z 0
		.amdhsa_system_sgpr_workgroup_info 0
		.amdhsa_system_vgpr_workitem_id 0
		.amdhsa_next_free_vgpr 15
		.amdhsa_next_free_sgpr 21
		.amdhsa_accum_offset 16
		.amdhsa_reserve_vcc 1
		.amdhsa_reserve_flat_scratch 0
		.amdhsa_float_round_mode_32 0
		.amdhsa_float_round_mode_16_64 0
		.amdhsa_float_denorm_mode_32 3
		.amdhsa_float_denorm_mode_16_64 3
		.amdhsa_dx10_clamp 1
		.amdhsa_ieee_mode 1
		.amdhsa_fp16_overflow 0
		.amdhsa_tg_split 0
		.amdhsa_exception_fp_ieee_invalid_op 0
		.amdhsa_exception_fp_denorm_src 0
		.amdhsa_exception_fp_ieee_div_zero 0
		.amdhsa_exception_fp_ieee_overflow 0
		.amdhsa_exception_fp_ieee_underflow 0
		.amdhsa_exception_fp_ieee_inexact 0
		.amdhsa_exception_int_div_zero 0
	.end_amdhsa_kernel
	.section	.text._ZN5aiter19grouped_topk_kernelIN3c108BFloat16EDv2_fLi1ELb1ELb0ELb1EEEvPT_PKS4_PfPimiiiif,"axG",@progbits,_ZN5aiter19grouped_topk_kernelIN3c108BFloat16EDv2_fLi1ELb1ELb0ELb1EEEvPT_PKS4_PfPimiiiif,comdat
.Lfunc_end177:
	.size	_ZN5aiter19grouped_topk_kernelIN3c108BFloat16EDv2_fLi1ELb1ELb0ELb1EEEvPT_PKS4_PfPimiiiif, .Lfunc_end177-_ZN5aiter19grouped_topk_kernelIN3c108BFloat16EDv2_fLi1ELb1ELb0ELb1EEEvPT_PKS4_PfPimiiiif
                                        ; -- End function
	.section	.AMDGPU.csdata,"",@progbits
; Kernel info:
; codeLenInByte = 1780
; NumSgprs: 25
; NumVgprs: 15
; NumAgprs: 0
; TotalNumVgprs: 15
; ScratchSize: 0
; MemoryBound: 0
; FloatMode: 240
; IeeeMode: 1
; LDSByteSize: 0 bytes/workgroup (compile time only)
; SGPRBlocks: 3
; VGPRBlocks: 1
; NumSGPRsForWavesPerEU: 25
; NumVGPRsForWavesPerEU: 15
; AccumOffset: 16
; Occupancy: 8
; WaveLimiterHint : 0
; COMPUTE_PGM_RSRC2:SCRATCH_EN: 0
; COMPUTE_PGM_RSRC2:USER_SGPR: 6
; COMPUTE_PGM_RSRC2:TRAP_HANDLER: 0
; COMPUTE_PGM_RSRC2:TGID_X_EN: 1
; COMPUTE_PGM_RSRC2:TGID_Y_EN: 0
; COMPUTE_PGM_RSRC2:TGID_Z_EN: 0
; COMPUTE_PGM_RSRC2:TIDIG_COMP_CNT: 0
; COMPUTE_PGM_RSRC3_GFX90A:ACCUM_OFFSET: 3
; COMPUTE_PGM_RSRC3_GFX90A:TG_SPLIT: 0
	.section	.text._ZN5aiter19grouped_topk_kernelIfDv2_fLi1ELb1ELb0ELb0EEEvPT_PKS2_PfPimiiiif,"axG",@progbits,_ZN5aiter19grouped_topk_kernelIfDv2_fLi1ELb1ELb0ELb0EEEvPT_PKS2_PfPimiiiif,comdat
	.protected	_ZN5aiter19grouped_topk_kernelIfDv2_fLi1ELb1ELb0ELb0EEEvPT_PKS2_PfPimiiiif ; -- Begin function _ZN5aiter19grouped_topk_kernelIfDv2_fLi1ELb1ELb0ELb0EEEvPT_PKS2_PfPimiiiif
	.globl	_ZN5aiter19grouped_topk_kernelIfDv2_fLi1ELb1ELb0ELb0EEEvPT_PKS2_PfPimiiiif
	.p2align	8
	.type	_ZN5aiter19grouped_topk_kernelIfDv2_fLi1ELb1ELb0ELb0EEEvPT_PKS2_PfPimiiiif,@function
_ZN5aiter19grouped_topk_kernelIfDv2_fLi1ELb1ELb0ELb0EEEvPT_PKS2_PfPimiiiif: ; @_ZN5aiter19grouped_topk_kernelIfDv2_fLi1ELb1ELb0ELb0EEEvPT_PKS2_PfPimiiiif
; %bb.0:
	s_load_dwordx2 s[12:13], s[4:5], 0x28
	s_load_dwordx4 s[8:11], s[4:5], 0x10
	s_waitcnt lgkmcnt(0)
	s_lshr_b32 s0, s12, 31
	s_add_i32 s0, s12, s0
	s_ashr_i32 s7, s0, 1
	v_cmp_gt_i32_e64 s[0:1], s7, v0
	s_and_saveexec_b64 s[14:15], s[0:1]
	s_cbranch_execz .LBB178_3
; %bb.1:
	s_load_dword s18, s[4:5], 0x4c
	s_load_dwordx2 s[2:3], s[4:5], 0x0
	s_mul_i32 s16, s6, s12
	s_ashr_i32 s17, s16, 31
	s_lshl_b64 s[16:17], s[16:17], 2
	s_waitcnt lgkmcnt(0)
	s_and_b32 s12, s18, 0xffff
	s_add_u32 s2, s2, s16
	v_lshlrev_b32_e32 v1, 3, v0
	s_addc_u32 s3, s3, s17
	s_mov_b32 s22, 0
	v_mov_b32_e32 v3, s3
	v_add_co_u32_e32 v2, vcc, s2, v1
	v_addc_co_u32_e32 v3, vcc, 0, v3, vcc
	s_lshl_b32 s18, s12, 3
	v_add_u32_e32 v1, 0, v1
	s_mov_b64 s[16:17], 0
	s_mov_b32 s19, 0xbfb8aa3b
	s_mov_b32 s20, 0x42ce8ed0
	;; [unrolled: 1-line block ×3, first 2 shown]
	v_mov_b32_e32 v4, 0x7f800000
	v_mov_b32_e32 v5, s22
	;; [unrolled: 1-line block ×3, first 2 shown]
.LBB178_2:                              ; =>This Inner Loop Header: Depth=1
	global_load_dwordx2 v[8:9], v[2:3], off
	v_add_co_u32_e32 v2, vcc, s18, v2
	v_add_u32_e32 v6, s12, v6
	v_addc_co_u32_e32 v3, vcc, v3, v5, vcc
	v_cmp_le_i32_e32 vcc, s7, v6
	s_or_b64 s[16:17], vcc, s[16:17]
	s_waitcnt vmcnt(0)
	v_mul_f32_e32 v7, 0xbfb8aa3b, v9
	v_mul_f32_e32 v10, 0xbfb8aa3b, v8
	v_rndne_f32_e32 v11, v7
	v_fma_f32 v12, v9, s19, -v7
	v_rndne_f32_e32 v13, v10
	v_fma_f32 v14, v8, s19, -v10
	v_sub_f32_e32 v7, v7, v11
	v_fmac_f32_e32 v12, 0xb2a5705f, v9
	v_sub_f32_e32 v10, v10, v13
	v_fmac_f32_e32 v14, 0xb2a5705f, v8
	v_add_f32_e32 v7, v7, v12
	v_add_f32_e32 v10, v10, v14
	v_cvt_i32_f32_e32 v11, v11
	v_cvt_i32_f32_e32 v13, v13
	v_exp_f32_e32 v7, v7
	v_exp_f32_e32 v10, v10
	v_cmp_nlt_f32_e32 vcc, s20, v8
	v_cmp_nlt_f32_e64 s[2:3], s20, v9
	v_ldexp_f32 v7, v7, v11
	v_ldexp_f32 v10, v10, v13
	v_cndmask_b32_e64 v7, 0, v7, s[2:3]
	v_cndmask_b32_e32 v10, 0, v10, vcc
	v_cmp_ngt_f32_e32 vcc, s21, v8
	v_cmp_ngt_f32_e64 s[2:3], s21, v9
	v_cndmask_b32_e64 v9, v4, v7, s[2:3]
	v_cndmask_b32_e32 v8, v4, v10, vcc
	v_pk_add_f32 v[8:9], v[8:9], 1.0 op_sel_hi:[1,0]
	v_div_scale_f32 v7, s[2:3], v9, v9, 1.0
	v_div_scale_f32 v11, s[2:3], v8, v8, 1.0
	v_rcp_f32_e32 v13, v7
	v_rcp_f32_e32 v14, v11
	v_div_scale_f32 v10, vcc, 1.0, v9, 1.0
	v_fma_f32 v15, -v7, v13, 1.0
	v_fma_f32 v16, -v11, v14, 1.0
	v_fmac_f32_e32 v13, v15, v13
	v_div_scale_f32 v12, s[2:3], 1.0, v8, 1.0
	v_fmac_f32_e32 v14, v16, v14
	v_mul_f32_e32 v15, v10, v13
	v_mul_f32_e32 v16, v12, v14
	v_fma_f32 v17, -v7, v15, v10
	v_fma_f32 v18, -v11, v16, v12
	v_fmac_f32_e32 v15, v17, v13
	v_fmac_f32_e32 v16, v18, v14
	v_fma_f32 v7, -v7, v15, v10
	v_fma_f32 v10, -v11, v16, v12
	v_div_fmas_f32 v7, v7, v13, v15
	s_mov_b64 vcc, s[2:3]
	v_div_fixup_f32 v9, v7, v9, 1.0
	v_div_fmas_f32 v7, v10, v14, v16
	v_div_fixup_f32 v8, v7, v8, 1.0
	ds_write_b64 v1, v[8:9]
	v_add_u32_e32 v1, s18, v1
	s_andn2_b64 exec, exec, s[16:17]
	s_cbranch_execnz .LBB178_2
.LBB178_3:
	s_or_b64 exec, exec, s[14:15]
	s_cmp_lt_i32 s13, 1
	s_waitcnt lgkmcnt(0)
	s_barrier
	s_cbranch_scc1 .LBB178_10
; %bb.4:
	s_add_u32 s2, s4, 64
	s_addc_u32 s3, s5, 0
	v_lshlrev_b32_e32 v4, 1, v0
	s_mov_b32 s12, 0
	v_lshl_add_u32 v5, v0, 3, 0
	v_mov_b32_e32 v2, 0
	v_mov_b32_e32 v6, 0xff800000
                                        ; implicit-def: $vgpr3
                                        ; implicit-def: $vgpr1
	s_branch .LBB178_6
.LBB178_5:                              ;   in Loop: Header=BB178_6 Depth=1
	s_or_b64 exec, exec, s[14:15]
	v_mov_b32_dpp v10, v8 quad_perm:[1,0,3,2] row_mask:0xf bank_mask:0xf
	v_cmp_lt_f32_e32 vcc, v8, v10
	v_cndmask_b32_e32 v8, v8, v10, vcc
	v_mov_b32_dpp v9, v7 quad_perm:[1,0,3,2] row_mask:0xf bank_mask:0xf
	v_cndmask_b32_e32 v7, v7, v9, vcc
	v_mov_b32_dpp v10, v8 quad_perm:[2,3,0,1] row_mask:0xf bank_mask:0xf
	v_cmp_gt_f32_e32 vcc, v10, v8
	v_cndmask_b32_e32 v8, v8, v10, vcc
	v_mov_b32_dpp v9, v7 quad_perm:[2,3,0,1] row_mask:0xf bank_mask:0xf
	v_cndmask_b32_e32 v7, v7, v9, vcc
	v_mov_b32_dpp v10, v8 row_half_mirror row_mask:0xf bank_mask:0xf
	v_cmp_gt_f32_e32 vcc, v10, v8
	v_cndmask_b32_e32 v8, v8, v10, vcc
	v_mov_b32_dpp v9, v7 row_half_mirror row_mask:0xf bank_mask:0xf
	v_cndmask_b32_e32 v7, v7, v9, vcc
	v_mov_b32_dpp v10, v8 row_mirror row_mask:0xf bank_mask:0xf
	v_cmp_gt_f32_e32 vcc, v10, v8
	v_cndmask_b32_e32 v8, v8, v10, vcc
	v_mov_b32_dpp v9, v7 row_mirror row_mask:0xf bank_mask:0xf
	v_cndmask_b32_e32 v7, v7, v9, vcc
	v_mov_b32_dpp v10, v8 row_bcast:15 row_mask:0xf bank_mask:0xf
	v_cmp_gt_f32_e32 vcc, v10, v8
	v_mov_b32_dpp v9, v7 row_bcast:15 row_mask:0xf bank_mask:0xf
	v_cndmask_b32_e32 v8, v8, v10, vcc
	v_cndmask_b32_e32 v7, v7, v9, vcc
	s_nop 0
	v_mov_b32_dpp v10, v8 row_bcast:31 row_mask:0xf bank_mask:0xf
	v_mov_b32_dpp v9, v7 row_bcast:31 row_mask:0xf bank_mask:0xf
	v_cmp_gt_f32_e32 vcc, v10, v8
	v_cndmask_b32_e32 v7, v7, v9, vcc
	v_readlane_b32 s15, v7, 63
	s_lshl_b32 s16, s15, 2
	s_add_i32 s16, s16, 0
	v_cndmask_b32_e32 v8, v8, v10, vcc
	v_mov_b32_e32 v7, s16
	v_readlane_b32 s14, v8, 63
	ds_write_b32 v7, v6
	v_mov_b32_e32 v7, s15
	v_cmp_eq_u32_e32 vcc, s12, v0
	v_cndmask_b32_e32 v1, v1, v7, vcc
	v_mov_b32_e32 v7, s14
	s_add_i32 s12, s12, 1
	v_cndmask_b32_e32 v3, v3, v7, vcc
	s_cmp_eq_u32 s12, s13
	v_add_f32_e32 v2, s14, v2
	s_cbranch_scc1 .LBB178_11
.LBB178_6:                              ; =>This Loop Header: Depth=1
                                        ;     Child Loop BB178_8 Depth 2
	v_mov_b32_e32 v7, s12
	v_mov_b32_e32 v8, 0xff800000
	s_and_saveexec_b64 s[14:15], s[0:1]
	s_cbranch_execz .LBB178_5
; %bb.7:                                ;   in Loop: Header=BB178_6 Depth=1
	s_load_dword s18, s[2:3], 0xc
	s_mov_b64 s[16:17], 0
	v_mov_b32_e32 v7, s12
	v_mov_b32_e32 v8, 0xff800000
	;; [unrolled: 1-line block ×3, first 2 shown]
	s_waitcnt lgkmcnt(0)
	s_and_b32 s18, s18, 0xffff
	s_lshl_b32 s19, s18, 1
	s_lshl_b32 s20, s18, 3
	v_mov_b32_e32 v10, v4
	v_mov_b32_e32 v11, v0
.LBB178_8:                              ;   Parent Loop BB178_6 Depth=1
                                        ; =>  This Inner Loop Header: Depth=2
	ds_read_b64 v[12:13], v9
	v_add_u32_e32 v11, s18, v11
	v_cmp_le_i32_e32 vcc, s7, v11
	s_or_b64 s[16:17], vcc, s[16:17]
	v_add_u32_e32 v14, 1, v10
	s_waitcnt lgkmcnt(0)
	v_cmp_gt_f32_e32 vcc, v12, v8
	v_cndmask_b32_e32 v8, v8, v12, vcc
	v_cndmask_b32_e32 v7, v7, v10, vcc
	v_cmp_gt_f32_e32 vcc, v13, v8
	v_add_u32_e32 v9, s20, v9
	v_cndmask_b32_e32 v8, v8, v13, vcc
	v_add_u32_e32 v10, s19, v10
	v_cndmask_b32_e32 v7, v7, v14, vcc
	s_andn2_b64 exec, exec, s[16:17]
	s_cbranch_execnz .LBB178_8
; %bb.9:                                ;   in Loop: Header=BB178_6 Depth=1
	s_or_b64 exec, exec, s[16:17]
	s_branch .LBB178_5
.LBB178_10:
	v_mov_b32_e32 v2, 0
                                        ; implicit-def: $vgpr3
                                        ; implicit-def: $vgpr1
.LBB178_11:
	v_cmp_gt_i32_e32 vcc, s13, v0
	s_and_saveexec_b64 s[0:1], vcc
	s_cbranch_execz .LBB178_14
; %bb.12:
	s_load_dword s7, s[4:5], 0x38
	s_load_dwordx2 s[0:1], s[4:5], 0x20
	s_load_dword s12, s[4:5], 0x4c
	s_waitcnt lgkmcnt(0)
	v_div_scale_f32 v4, s[2:3], v2, v2, s7
	v_rcp_f32_e32 v5, v4
	v_div_scale_f32 v6, vcc, s7, v2, s7
	s_ashr_i32 s2, s6, 31
	v_fma_f32 v7, -v4, v5, 1.0
	v_fmac_f32_e32 v5, v7, v5
	v_mul_f32_e32 v7, v6, v5
	v_fma_f32 v8, -v4, v7, v6
	v_fmac_f32_e32 v7, v8, v5
	v_fma_f32 v4, -v4, v7, v6
	s_mul_i32 s1, s6, s1
	s_mul_hi_u32 s3, s6, s0
	v_div_fmas_f32 v4, v4, v5, v7
	s_add_i32 s1, s3, s1
	s_mul_i32 s2, s2, s0
	v_div_fixup_f32 v2, v4, v2, s7
	s_add_i32 s4, s1, s2
	v_mul_f32_e32 v2, v2, v3
	s_mul_i32 s2, s6, s0
	s_and_b32 s3, s12, 0xffff
	s_mov_b64 s[0:1], 0
	v_mov_b32_e32 v3, s4
	v_mov_b32_e32 v4, s9
	;; [unrolled: 1-line block ×3, first 2 shown]
.LBB178_13:                             ; =>This Inner Loop Header: Depth=1
	v_ashrrev_i32_e32 v7, 31, v0
	v_add_co_u32_e32 v6, vcc, s2, v0
	v_addc_co_u32_e32 v7, vcc, v3, v7, vcc
	v_add_u32_e32 v0, s3, v0
	v_cmp_le_i32_e32 vcc, s13, v0
	v_lshlrev_b64 v[6:7], 2, v[6:7]
	s_or_b64 s[0:1], vcc, s[0:1]
	v_add_co_u32_e32 v8, vcc, s8, v6
	v_addc_co_u32_e32 v9, vcc, v4, v7, vcc
	v_add_co_u32_e32 v6, vcc, s10, v6
	v_addc_co_u32_e32 v7, vcc, v5, v7, vcc
	global_store_dword v[8:9], v2, off
	global_store_dword v[6:7], v1, off
	s_andn2_b64 exec, exec, s[0:1]
	s_cbranch_execnz .LBB178_13
.LBB178_14:
	s_endpgm
	.section	.rodata,"a",@progbits
	.p2align	6, 0x0
	.amdhsa_kernel _ZN5aiter19grouped_topk_kernelIfDv2_fLi1ELb1ELb0ELb0EEEvPT_PKS2_PfPimiiiif
		.amdhsa_group_segment_fixed_size 0
		.amdhsa_private_segment_fixed_size 0
		.amdhsa_kernarg_size 320
		.amdhsa_user_sgpr_count 6
		.amdhsa_user_sgpr_private_segment_buffer 1
		.amdhsa_user_sgpr_dispatch_ptr 0
		.amdhsa_user_sgpr_queue_ptr 0
		.amdhsa_user_sgpr_kernarg_segment_ptr 1
		.amdhsa_user_sgpr_dispatch_id 0
		.amdhsa_user_sgpr_flat_scratch_init 0
		.amdhsa_user_sgpr_kernarg_preload_length 0
		.amdhsa_user_sgpr_kernarg_preload_offset 0
		.amdhsa_user_sgpr_private_segment_size 0
		.amdhsa_uses_dynamic_stack 0
		.amdhsa_system_sgpr_private_segment_wavefront_offset 0
		.amdhsa_system_sgpr_workgroup_id_x 1
		.amdhsa_system_sgpr_workgroup_id_y 0
		.amdhsa_system_sgpr_workgroup_id_z 0
		.amdhsa_system_sgpr_workgroup_info 0
		.amdhsa_system_vgpr_workitem_id 0
		.amdhsa_next_free_vgpr 19
		.amdhsa_next_free_sgpr 23
		.amdhsa_accum_offset 20
		.amdhsa_reserve_vcc 1
		.amdhsa_reserve_flat_scratch 0
		.amdhsa_float_round_mode_32 0
		.amdhsa_float_round_mode_16_64 0
		.amdhsa_float_denorm_mode_32 3
		.amdhsa_float_denorm_mode_16_64 3
		.amdhsa_dx10_clamp 1
		.amdhsa_ieee_mode 1
		.amdhsa_fp16_overflow 0
		.amdhsa_tg_split 0
		.amdhsa_exception_fp_ieee_invalid_op 0
		.amdhsa_exception_fp_denorm_src 0
		.amdhsa_exception_fp_ieee_div_zero 0
		.amdhsa_exception_fp_ieee_overflow 0
		.amdhsa_exception_fp_ieee_underflow 0
		.amdhsa_exception_fp_ieee_inexact 0
		.amdhsa_exception_int_div_zero 0
	.end_amdhsa_kernel
	.section	.text._ZN5aiter19grouped_topk_kernelIfDv2_fLi1ELb1ELb0ELb0EEEvPT_PKS2_PfPimiiiif,"axG",@progbits,_ZN5aiter19grouped_topk_kernelIfDv2_fLi1ELb1ELb0ELb0EEEvPT_PKS2_PfPimiiiif,comdat
.Lfunc_end178:
	.size	_ZN5aiter19grouped_topk_kernelIfDv2_fLi1ELb1ELb0ELb0EEEvPT_PKS2_PfPimiiiif, .Lfunc_end178-_ZN5aiter19grouped_topk_kernelIfDv2_fLi1ELb1ELb0ELb0EEEvPT_PKS2_PfPimiiiif
                                        ; -- End function
	.section	.AMDGPU.csdata,"",@progbits
; Kernel info:
; codeLenInByte = 1236
; NumSgprs: 27
; NumVgprs: 19
; NumAgprs: 0
; TotalNumVgprs: 19
; ScratchSize: 0
; MemoryBound: 0
; FloatMode: 240
; IeeeMode: 1
; LDSByteSize: 0 bytes/workgroup (compile time only)
; SGPRBlocks: 3
; VGPRBlocks: 2
; NumSGPRsForWavesPerEU: 27
; NumVGPRsForWavesPerEU: 19
; AccumOffset: 20
; Occupancy: 8
; WaveLimiterHint : 0
; COMPUTE_PGM_RSRC2:SCRATCH_EN: 0
; COMPUTE_PGM_RSRC2:USER_SGPR: 6
; COMPUTE_PGM_RSRC2:TRAP_HANDLER: 0
; COMPUTE_PGM_RSRC2:TGID_X_EN: 1
; COMPUTE_PGM_RSRC2:TGID_Y_EN: 0
; COMPUTE_PGM_RSRC2:TGID_Z_EN: 0
; COMPUTE_PGM_RSRC2:TIDIG_COMP_CNT: 0
; COMPUTE_PGM_RSRC3_GFX90A:ACCUM_OFFSET: 4
; COMPUTE_PGM_RSRC3_GFX90A:TG_SPLIT: 0
	.section	.text._ZN5aiter19grouped_topk_kernelIN3c104HalfEDv2_fLi1ELb1ELb0ELb0EEEvPT_PKS4_PfPimiiiif,"axG",@progbits,_ZN5aiter19grouped_topk_kernelIN3c104HalfEDv2_fLi1ELb1ELb0ELb0EEEvPT_PKS4_PfPimiiiif,comdat
	.protected	_ZN5aiter19grouped_topk_kernelIN3c104HalfEDv2_fLi1ELb1ELb0ELb0EEEvPT_PKS4_PfPimiiiif ; -- Begin function _ZN5aiter19grouped_topk_kernelIN3c104HalfEDv2_fLi1ELb1ELb0ELb0EEEvPT_PKS4_PfPimiiiif
	.globl	_ZN5aiter19grouped_topk_kernelIN3c104HalfEDv2_fLi1ELb1ELb0ELb0EEEvPT_PKS4_PfPimiiiif
	.p2align	8
	.type	_ZN5aiter19grouped_topk_kernelIN3c104HalfEDv2_fLi1ELb1ELb0ELb0EEEvPT_PKS4_PfPimiiiif,@function
_ZN5aiter19grouped_topk_kernelIN3c104HalfEDv2_fLi1ELb1ELb0ELb0EEEvPT_PKS4_PfPimiiiif: ; @_ZN5aiter19grouped_topk_kernelIN3c104HalfEDv2_fLi1ELb1ELb0ELb0EEEvPT_PKS4_PfPimiiiif
; %bb.0:
	s_load_dwordx2 s[12:13], s[4:5], 0x28
	s_load_dwordx4 s[8:11], s[4:5], 0x10
	v_lshl_add_u32 v1, v0, 3, 0
	s_waitcnt lgkmcnt(0)
	s_lshr_b32 s0, s12, 31
	s_add_i32 s0, s12, s0
	s_ashr_i32 s7, s0, 1
	v_cmp_gt_i32_e64 s[0:1], s7, v0
	s_and_saveexec_b64 s[14:15], s[0:1]
	s_cbranch_execz .LBB179_3
; %bb.1:
	s_load_dword s18, s[4:5], 0x4c
	s_load_dwordx2 s[2:3], s[4:5], 0x0
	s_mul_i32 s16, s6, s12
	s_ashr_i32 s17, s16, 31
	s_lshl_b64 s[16:17], s[16:17], 1
	s_waitcnt lgkmcnt(0)
	s_and_b32 s12, s18, 0xffff
	s_add_u32 s2, s2, s16
	v_lshlrev_b32_e32 v2, 2, v0
	s_addc_u32 s3, s3, s17
	s_mov_b32 s24, 0
	v_mov_b32_e32 v3, s3
	v_add_co_u32_e32 v2, vcc, s2, v2
	v_addc_co_u32_e32 v3, vcc, 0, v3, vcc
	s_lshl_b32 s18, s12, 2
	v_lshl_add_u32 v4, v0, 3, 0
	s_lshl_b32 s19, s12, 3
	s_mov_b64 s[16:17], 0
	s_mov_b32 s20, 0x3fb8aa3b
	s_mov_b32 s21, 0x32a5705f
	s_mov_b32 s22, 0xc2ce8ed0
	s_mov_b32 s23, 0x42b17218
	v_mov_b32_e32 v5, 0x7f800000
	v_mov_b32_e32 v6, s24
	;; [unrolled: 1-line block ×3, first 2 shown]
.LBB179_2:                              ; =>This Inner Loop Header: Depth=1
	global_load_dword v8, v[2:3], off
	v_add_co_u32_e32 v2, vcc, s18, v2
	v_add_u32_e32 v7, s12, v7
	v_addc_co_u32_e32 v3, vcc, v3, v6, vcc
	v_cmp_le_i32_e32 vcc, s7, v7
	s_or_b64 s[16:17], vcc, s[16:17]
	s_waitcnt vmcnt(0)
	v_cvt_f32_f16_e64 v9, -v8
	v_cvt_f32_f16_sdwa v10, -v8 dst_sel:DWORD dst_unused:UNUSED_PAD src0_sel:WORD_1
	v_mul_f32_e32 v11, 0x3fb8aa3b, v9
	v_mul_f32_e32 v12, 0x3fb8aa3b, v10
	v_rndne_f32_e32 v13, v11
	v_fma_mix_f32 v14, -v8, s20, -v11 op_sel_hi:[1,0,0]
	v_rndne_f32_e32 v15, v12
	v_fma_mix_f32 v16, -v8, s20, -v12 op_sel:[1,0,0] op_sel_hi:[1,0,0]
	v_sub_f32_e32 v11, v11, v13
	v_fma_mix_f32 v14, -v8, s21, v14 op_sel_hi:[1,0,0]
	v_sub_f32_e32 v12, v12, v15
	v_fma_mix_f32 v8, -v8, s21, v16 op_sel:[1,0,0] op_sel_hi:[1,0,0]
	v_add_f32_e32 v11, v11, v14
	v_add_f32_e32 v8, v12, v8
	v_cvt_i32_f32_e32 v13, v13
	v_cvt_i32_f32_e32 v15, v15
	v_exp_f32_e32 v11, v11
	v_exp_f32_e32 v8, v8
	v_cmp_ngt_f32_e32 vcc, s22, v10
	v_cmp_ngt_f32_e64 s[2:3], s22, v9
	v_ldexp_f32 v11, v11, v13
	v_ldexp_f32 v8, v8, v15
	v_cndmask_b32_e64 v11, 0, v11, s[2:3]
	v_cndmask_b32_e32 v12, 0, v8, vcc
	v_cmp_nlt_f32_e32 vcc, s23, v10
	v_cmp_nlt_f32_e64 s[2:3], s23, v9
	v_cndmask_b32_e64 v8, v5, v11, s[2:3]
	v_cndmask_b32_e32 v9, v5, v12, vcc
	v_pk_add_f32 v[8:9], v[8:9], 1.0 op_sel_hi:[1,0]
	v_div_scale_f32 v10, s[2:3], v9, v9, 1.0
	v_div_scale_f32 v12, s[2:3], v8, v8, 1.0
	v_rcp_f32_e32 v14, v10
	v_rcp_f32_e32 v15, v12
	v_div_scale_f32 v11, vcc, 1.0, v9, 1.0
	v_fma_f32 v16, -v10, v14, 1.0
	v_fma_f32 v17, -v12, v15, 1.0
	v_fmac_f32_e32 v14, v16, v14
	v_div_scale_f32 v13, s[2:3], 1.0, v8, 1.0
	v_fmac_f32_e32 v15, v17, v15
	v_mul_f32_e32 v16, v11, v14
	v_mul_f32_e32 v17, v13, v15
	v_fma_f32 v18, -v10, v16, v11
	v_fma_f32 v19, -v12, v17, v13
	v_fmac_f32_e32 v16, v18, v14
	v_fmac_f32_e32 v17, v19, v15
	v_fma_f32 v10, -v10, v16, v11
	v_fma_f32 v11, -v12, v17, v13
	v_div_fmas_f32 v10, v10, v14, v16
	s_mov_b64 vcc, s[2:3]
	v_div_fixup_f32 v9, v10, v9, 1.0
	v_div_fmas_f32 v10, v11, v15, v17
	v_div_fixup_f32 v8, v10, v8, 1.0
	ds_write_b64 v4, v[8:9]
	v_add_u32_e32 v4, s19, v4
	s_andn2_b64 exec, exec, s[16:17]
	s_cbranch_execnz .LBB179_2
.LBB179_3:
	s_or_b64 exec, exec, s[14:15]
	s_cmp_lt_i32 s13, 1
	s_waitcnt lgkmcnt(0)
	s_barrier
	s_cbranch_scc1 .LBB179_10
; %bb.4:
	s_add_u32 s2, s4, 64
	s_addc_u32 s3, s5, 0
	v_lshlrev_b32_e32 v5, 1, v0
	s_mov_b32 s12, 0
	v_mov_b32_e32 v3, 0
	v_mov_b32_e32 v6, 0xff800000
                                        ; implicit-def: $vgpr4
                                        ; implicit-def: $vgpr2
	s_branch .LBB179_6
.LBB179_5:                              ;   in Loop: Header=BB179_6 Depth=1
	s_or_b64 exec, exec, s[14:15]
	v_mov_b32_dpp v10, v8 quad_perm:[1,0,3,2] row_mask:0xf bank_mask:0xf
	v_cmp_lt_f32_e32 vcc, v8, v10
	v_cndmask_b32_e32 v8, v8, v10, vcc
	v_mov_b32_dpp v9, v7 quad_perm:[1,0,3,2] row_mask:0xf bank_mask:0xf
	v_cndmask_b32_e32 v7, v7, v9, vcc
	v_mov_b32_dpp v10, v8 quad_perm:[2,3,0,1] row_mask:0xf bank_mask:0xf
	v_cmp_gt_f32_e32 vcc, v10, v8
	v_cndmask_b32_e32 v8, v8, v10, vcc
	v_mov_b32_dpp v9, v7 quad_perm:[2,3,0,1] row_mask:0xf bank_mask:0xf
	v_cndmask_b32_e32 v7, v7, v9, vcc
	v_mov_b32_dpp v10, v8 row_half_mirror row_mask:0xf bank_mask:0xf
	v_cmp_gt_f32_e32 vcc, v10, v8
	v_cndmask_b32_e32 v8, v8, v10, vcc
	v_mov_b32_dpp v9, v7 row_half_mirror row_mask:0xf bank_mask:0xf
	v_cndmask_b32_e32 v7, v7, v9, vcc
	v_mov_b32_dpp v10, v8 row_mirror row_mask:0xf bank_mask:0xf
	v_cmp_gt_f32_e32 vcc, v10, v8
	v_cndmask_b32_e32 v8, v8, v10, vcc
	v_mov_b32_dpp v9, v7 row_mirror row_mask:0xf bank_mask:0xf
	v_cndmask_b32_e32 v7, v7, v9, vcc
	v_mov_b32_dpp v10, v8 row_bcast:15 row_mask:0xf bank_mask:0xf
	v_cmp_gt_f32_e32 vcc, v10, v8
	v_mov_b32_dpp v9, v7 row_bcast:15 row_mask:0xf bank_mask:0xf
	v_cndmask_b32_e32 v8, v8, v10, vcc
	v_cndmask_b32_e32 v7, v7, v9, vcc
	s_nop 0
	v_mov_b32_dpp v10, v8 row_bcast:31 row_mask:0xf bank_mask:0xf
	v_mov_b32_dpp v9, v7 row_bcast:31 row_mask:0xf bank_mask:0xf
	v_cmp_gt_f32_e32 vcc, v10, v8
	v_cndmask_b32_e32 v7, v7, v9, vcc
	v_readlane_b32 s15, v7, 63
	s_lshl_b32 s16, s15, 2
	s_add_i32 s16, s16, 0
	v_cndmask_b32_e32 v8, v8, v10, vcc
	v_mov_b32_e32 v7, s16
	v_readlane_b32 s14, v8, 63
	ds_write_b32 v7, v6
	v_mov_b32_e32 v7, s15
	v_cmp_eq_u32_e32 vcc, s12, v0
	v_cndmask_b32_e32 v2, v2, v7, vcc
	v_mov_b32_e32 v7, s14
	s_add_i32 s12, s12, 1
	v_cndmask_b32_e32 v4, v4, v7, vcc
	s_cmp_eq_u32 s12, s13
	v_add_f32_e32 v3, s14, v3
	s_cbranch_scc1 .LBB179_11
.LBB179_6:                              ; =>This Loop Header: Depth=1
                                        ;     Child Loop BB179_8 Depth 2
	v_mov_b32_e32 v7, s12
	v_mov_b32_e32 v8, 0xff800000
	s_and_saveexec_b64 s[14:15], s[0:1]
	s_cbranch_execz .LBB179_5
; %bb.7:                                ;   in Loop: Header=BB179_6 Depth=1
	s_load_dword s18, s[2:3], 0xc
	s_mov_b64 s[16:17], 0
	v_mov_b32_e32 v7, s12
	v_mov_b32_e32 v8, 0xff800000
	;; [unrolled: 1-line block ×3, first 2 shown]
	s_waitcnt lgkmcnt(0)
	s_and_b32 s18, s18, 0xffff
	s_lshl_b32 s19, s18, 1
	s_lshl_b32 s20, s18, 3
	v_mov_b32_e32 v10, v5
	v_mov_b32_e32 v11, v0
.LBB179_8:                              ;   Parent Loop BB179_6 Depth=1
                                        ; =>  This Inner Loop Header: Depth=2
	ds_read_b64 v[12:13], v9
	v_add_u32_e32 v11, s18, v11
	v_cmp_le_i32_e32 vcc, s7, v11
	s_or_b64 s[16:17], vcc, s[16:17]
	v_add_u32_e32 v14, 1, v10
	s_waitcnt lgkmcnt(0)
	v_cmp_gt_f32_e32 vcc, v12, v8
	v_cndmask_b32_e32 v8, v8, v12, vcc
	v_cndmask_b32_e32 v7, v7, v10, vcc
	v_cmp_gt_f32_e32 vcc, v13, v8
	v_add_u32_e32 v9, s20, v9
	v_cndmask_b32_e32 v8, v8, v13, vcc
	v_add_u32_e32 v10, s19, v10
	v_cndmask_b32_e32 v7, v7, v14, vcc
	s_andn2_b64 exec, exec, s[16:17]
	s_cbranch_execnz .LBB179_8
; %bb.9:                                ;   in Loop: Header=BB179_6 Depth=1
	s_or_b64 exec, exec, s[16:17]
	s_branch .LBB179_5
.LBB179_10:
	v_mov_b32_e32 v3, 0
                                        ; implicit-def: $vgpr4
                                        ; implicit-def: $vgpr2
.LBB179_11:
	v_cmp_gt_i32_e32 vcc, s13, v0
	s_and_saveexec_b64 s[0:1], vcc
	s_cbranch_execz .LBB179_14
; %bb.12:
	s_load_dword s7, s[4:5], 0x38
	s_load_dwordx2 s[0:1], s[4:5], 0x20
	s_load_dword s12, s[4:5], 0x4c
	s_waitcnt lgkmcnt(0)
	v_div_scale_f32 v1, s[2:3], v3, v3, s7
	v_rcp_f32_e32 v5, v1
	v_div_scale_f32 v6, vcc, s7, v3, s7
	s_ashr_i32 s2, s6, 31
	v_fma_f32 v7, -v1, v5, 1.0
	v_fmac_f32_e32 v5, v7, v5
	v_mul_f32_e32 v7, v6, v5
	v_fma_f32 v8, -v1, v7, v6
	v_fmac_f32_e32 v7, v8, v5
	v_fma_f32 v1, -v1, v7, v6
	s_mul_i32 s1, s6, s1
	s_mul_hi_u32 s3, s6, s0
	v_div_fmas_f32 v1, v1, v5, v7
	s_add_i32 s1, s3, s1
	s_mul_i32 s2, s2, s0
	v_div_fixup_f32 v1, v1, v3, s7
	s_add_i32 s4, s1, s2
	v_mul_f32_e32 v1, v1, v4
	s_mul_i32 s2, s6, s0
	s_and_b32 s3, s12, 0xffff
	s_mov_b64 s[0:1], 0
	v_mov_b32_e32 v3, s4
	v_mov_b32_e32 v4, s9
	;; [unrolled: 1-line block ×3, first 2 shown]
.LBB179_13:                             ; =>This Inner Loop Header: Depth=1
	v_ashrrev_i32_e32 v7, 31, v0
	v_add_co_u32_e32 v6, vcc, s2, v0
	v_addc_co_u32_e32 v7, vcc, v3, v7, vcc
	v_add_u32_e32 v0, s3, v0
	v_cmp_le_i32_e32 vcc, s13, v0
	v_lshlrev_b64 v[6:7], 2, v[6:7]
	s_or_b64 s[0:1], vcc, s[0:1]
	v_add_co_u32_e32 v8, vcc, s8, v6
	v_addc_co_u32_e32 v9, vcc, v4, v7, vcc
	v_add_co_u32_e32 v6, vcc, s10, v6
	v_addc_co_u32_e32 v7, vcc, v5, v7, vcc
	global_store_dword v[8:9], v1, off
	global_store_dword v[6:7], v2, off
	s_andn2_b64 exec, exec, s[0:1]
	s_cbranch_execnz .LBB179_13
.LBB179_14:
	s_endpgm
	.section	.rodata,"a",@progbits
	.p2align	6, 0x0
	.amdhsa_kernel _ZN5aiter19grouped_topk_kernelIN3c104HalfEDv2_fLi1ELb1ELb0ELb0EEEvPT_PKS4_PfPimiiiif
		.amdhsa_group_segment_fixed_size 0
		.amdhsa_private_segment_fixed_size 0
		.amdhsa_kernarg_size 320
		.amdhsa_user_sgpr_count 6
		.amdhsa_user_sgpr_private_segment_buffer 1
		.amdhsa_user_sgpr_dispatch_ptr 0
		.amdhsa_user_sgpr_queue_ptr 0
		.amdhsa_user_sgpr_kernarg_segment_ptr 1
		.amdhsa_user_sgpr_dispatch_id 0
		.amdhsa_user_sgpr_flat_scratch_init 0
		.amdhsa_user_sgpr_kernarg_preload_length 0
		.amdhsa_user_sgpr_kernarg_preload_offset 0
		.amdhsa_user_sgpr_private_segment_size 0
		.amdhsa_uses_dynamic_stack 0
		.amdhsa_system_sgpr_private_segment_wavefront_offset 0
		.amdhsa_system_sgpr_workgroup_id_x 1
		.amdhsa_system_sgpr_workgroup_id_y 0
		.amdhsa_system_sgpr_workgroup_id_z 0
		.amdhsa_system_sgpr_workgroup_info 0
		.amdhsa_system_vgpr_workitem_id 0
		.amdhsa_next_free_vgpr 20
		.amdhsa_next_free_sgpr 25
		.amdhsa_accum_offset 20
		.amdhsa_reserve_vcc 1
		.amdhsa_reserve_flat_scratch 0
		.amdhsa_float_round_mode_32 0
		.amdhsa_float_round_mode_16_64 0
		.amdhsa_float_denorm_mode_32 3
		.amdhsa_float_denorm_mode_16_64 3
		.amdhsa_dx10_clamp 1
		.amdhsa_ieee_mode 1
		.amdhsa_fp16_overflow 0
		.amdhsa_tg_split 0
		.amdhsa_exception_fp_ieee_invalid_op 0
		.amdhsa_exception_fp_denorm_src 0
		.amdhsa_exception_fp_ieee_div_zero 0
		.amdhsa_exception_fp_ieee_overflow 0
		.amdhsa_exception_fp_ieee_underflow 0
		.amdhsa_exception_fp_ieee_inexact 0
		.amdhsa_exception_int_div_zero 0
	.end_amdhsa_kernel
	.section	.text._ZN5aiter19grouped_topk_kernelIN3c104HalfEDv2_fLi1ELb1ELb0ELb0EEEvPT_PKS4_PfPimiiiif,"axG",@progbits,_ZN5aiter19grouped_topk_kernelIN3c104HalfEDv2_fLi1ELb1ELb0ELb0EEEvPT_PKS4_PfPimiiiif,comdat
.Lfunc_end179:
	.size	_ZN5aiter19grouped_topk_kernelIN3c104HalfEDv2_fLi1ELb1ELb0ELb0EEEvPT_PKS4_PfPimiiiif, .Lfunc_end179-_ZN5aiter19grouped_topk_kernelIN3c104HalfEDv2_fLi1ELb1ELb0ELb0EEEvPT_PKS4_PfPimiiiif
                                        ; -- End function
	.section	.AMDGPU.csdata,"",@progbits
; Kernel info:
; codeLenInByte = 1268
; NumSgprs: 29
; NumVgprs: 20
; NumAgprs: 0
; TotalNumVgprs: 20
; ScratchSize: 0
; MemoryBound: 0
; FloatMode: 240
; IeeeMode: 1
; LDSByteSize: 0 bytes/workgroup (compile time only)
; SGPRBlocks: 3
; VGPRBlocks: 2
; NumSGPRsForWavesPerEU: 29
; NumVGPRsForWavesPerEU: 20
; AccumOffset: 20
; Occupancy: 8
; WaveLimiterHint : 0
; COMPUTE_PGM_RSRC2:SCRATCH_EN: 0
; COMPUTE_PGM_RSRC2:USER_SGPR: 6
; COMPUTE_PGM_RSRC2:TRAP_HANDLER: 0
; COMPUTE_PGM_RSRC2:TGID_X_EN: 1
; COMPUTE_PGM_RSRC2:TGID_Y_EN: 0
; COMPUTE_PGM_RSRC2:TGID_Z_EN: 0
; COMPUTE_PGM_RSRC2:TIDIG_COMP_CNT: 0
; COMPUTE_PGM_RSRC3_GFX90A:ACCUM_OFFSET: 4
; COMPUTE_PGM_RSRC3_GFX90A:TG_SPLIT: 0
	.section	.text._ZN5aiter19grouped_topk_kernelIN3c108BFloat16EDv2_fLi1ELb1ELb0ELb0EEEvPT_PKS4_PfPimiiiif,"axG",@progbits,_ZN5aiter19grouped_topk_kernelIN3c108BFloat16EDv2_fLi1ELb1ELb0ELb0EEEvPT_PKS4_PfPimiiiif,comdat
	.protected	_ZN5aiter19grouped_topk_kernelIN3c108BFloat16EDv2_fLi1ELb1ELb0ELb0EEEvPT_PKS4_PfPimiiiif ; -- Begin function _ZN5aiter19grouped_topk_kernelIN3c108BFloat16EDv2_fLi1ELb1ELb0ELb0EEEvPT_PKS4_PfPimiiiif
	.globl	_ZN5aiter19grouped_topk_kernelIN3c108BFloat16EDv2_fLi1ELb1ELb0ELb0EEEvPT_PKS4_PfPimiiiif
	.p2align	8
	.type	_ZN5aiter19grouped_topk_kernelIN3c108BFloat16EDv2_fLi1ELb1ELb0ELb0EEEvPT_PKS4_PfPimiiiif,@function
_ZN5aiter19grouped_topk_kernelIN3c108BFloat16EDv2_fLi1ELb1ELb0ELb0EEEvPT_PKS4_PfPimiiiif: ; @_ZN5aiter19grouped_topk_kernelIN3c108BFloat16EDv2_fLi1ELb1ELb0ELb0EEEvPT_PKS4_PfPimiiiif
; %bb.0:
	s_load_dwordx2 s[12:13], s[4:5], 0x28
	s_load_dwordx4 s[8:11], s[4:5], 0x10
	v_lshl_add_u32 v1, v0, 3, 0
	s_waitcnt lgkmcnt(0)
	s_lshr_b32 s0, s12, 31
	s_add_i32 s0, s12, s0
	s_ashr_i32 s7, s0, 1
	v_cmp_gt_i32_e64 s[0:1], s7, v0
	s_and_saveexec_b64 s[14:15], s[0:1]
	s_cbranch_execz .LBB180_3
; %bb.1:
	s_load_dword s18, s[4:5], 0x4c
	s_load_dwordx2 s[2:3], s[4:5], 0x0
	s_mul_i32 s16, s6, s12
	s_ashr_i32 s17, s16, 31
	s_lshl_b64 s[16:17], s[16:17], 1
	s_waitcnt lgkmcnt(0)
	s_and_b32 s12, s18, 0xffff
	s_add_u32 s2, s2, s16
	v_lshlrev_b32_e32 v2, 2, v0
	s_addc_u32 s3, s3, s17
	s_mov_b32 s23, 0
	v_mov_b32_e32 v3, s3
	v_add_co_u32_e32 v2, vcc, s2, v2
	v_addc_co_u32_e32 v3, vcc, 0, v3, vcc
	s_lshl_b32 s18, s12, 2
	v_lshl_add_u32 v4, v0, 3, 0
	s_lshl_b32 s19, s12, 3
	s_mov_b64 s[16:17], 0
	s_mov_b32 s20, 0xbfb8aa3b
	s_mov_b32 s21, 0x42ce8ed0
	;; [unrolled: 1-line block ×3, first 2 shown]
	v_mov_b32_e32 v5, 0x7f800000
	v_mov_b32_e32 v6, s23
	v_mov_b32_e32 v7, v0
.LBB180_2:                              ; =>This Inner Loop Header: Depth=1
	global_load_dword v8, v[2:3], off
	v_add_co_u32_e32 v2, vcc, s18, v2
	v_add_u32_e32 v7, s12, v7
	v_addc_co_u32_e32 v3, vcc, v3, v6, vcc
	v_cmp_le_i32_e32 vcc, s7, v7
	s_or_b64 s[16:17], vcc, s[16:17]
	s_waitcnt vmcnt(0)
	v_cvt_f32_u32_sdwa v9, v8 dst_sel:DWORD dst_unused:UNUSED_PAD src0_sel:WORD_1
	v_cvt_f32_u32_sdwa v8, v8 dst_sel:DWORD dst_unused:UNUSED_PAD src0_sel:WORD_0
	v_mul_f32_e32 v10, 0xbfb8aa3b, v9
	v_mul_f32_e32 v11, 0xbfb8aa3b, v8
	v_fma_f32 v12, v9, s20, -v10
	v_rndne_f32_e32 v13, v10
	v_fma_f32 v14, v8, s20, -v11
	v_rndne_f32_e32 v15, v11
	v_fmac_f32_e32 v12, 0xb2a5705f, v9
	v_sub_f32_e32 v10, v10, v13
	v_fmac_f32_e32 v14, 0xb2a5705f, v8
	v_sub_f32_e32 v11, v11, v15
	v_add_f32_e32 v10, v10, v12
	v_add_f32_e32 v11, v11, v14
	v_cvt_i32_f32_e32 v13, v13
	v_cvt_i32_f32_e32 v15, v15
	v_exp_f32_e32 v10, v10
	v_exp_f32_e32 v11, v11
	v_cmp_nlt_f32_e32 vcc, s21, v8
	v_cmp_nlt_f32_e64 s[2:3], s21, v9
	v_ldexp_f32 v10, v10, v13
	v_ldexp_f32 v11, v11, v15
	v_cndmask_b32_e64 v10, 0, v10, s[2:3]
	v_cndmask_b32_e32 v11, 0, v11, vcc
	v_cmp_ngt_f32_e32 vcc, s22, v8
	v_cmp_ngt_f32_e64 s[2:3], s22, v9
	v_cndmask_b32_e64 v9, v5, v10, s[2:3]
	v_cndmask_b32_e32 v8, v5, v11, vcc
	v_pk_add_f32 v[8:9], v[8:9], 1.0 op_sel_hi:[1,0]
	v_div_scale_f32 v10, s[2:3], v9, v9, 1.0
	v_div_scale_f32 v12, s[2:3], v8, v8, 1.0
	v_rcp_f32_e32 v14, v10
	v_rcp_f32_e32 v15, v12
	v_div_scale_f32 v11, vcc, 1.0, v9, 1.0
	v_fma_f32 v16, -v10, v14, 1.0
	v_fma_f32 v17, -v12, v15, 1.0
	v_fmac_f32_e32 v14, v16, v14
	v_div_scale_f32 v13, s[2:3], 1.0, v8, 1.0
	v_fmac_f32_e32 v15, v17, v15
	v_mul_f32_e32 v16, v11, v14
	v_mul_f32_e32 v17, v13, v15
	v_fma_f32 v18, -v10, v16, v11
	v_fma_f32 v19, -v12, v17, v13
	v_fmac_f32_e32 v16, v18, v14
	v_fmac_f32_e32 v17, v19, v15
	v_fma_f32 v10, -v10, v16, v11
	v_fma_f32 v11, -v12, v17, v13
	v_div_fmas_f32 v10, v10, v14, v16
	s_mov_b64 vcc, s[2:3]
	v_div_fixup_f32 v9, v10, v9, 1.0
	v_div_fmas_f32 v10, v11, v15, v17
	v_div_fixup_f32 v8, v10, v8, 1.0
	ds_write_b64 v4, v[8:9]
	v_add_u32_e32 v4, s19, v4
	s_andn2_b64 exec, exec, s[16:17]
	s_cbranch_execnz .LBB180_2
.LBB180_3:
	s_or_b64 exec, exec, s[14:15]
	s_cmp_lt_i32 s13, 1
	s_waitcnt lgkmcnt(0)
	s_barrier
	s_cbranch_scc1 .LBB180_10
; %bb.4:
	s_add_u32 s2, s4, 64
	s_addc_u32 s3, s5, 0
	v_lshlrev_b32_e32 v5, 1, v0
	s_mov_b32 s12, 0
	v_mov_b32_e32 v3, 0
	v_mov_b32_e32 v6, 0xff800000
                                        ; implicit-def: $vgpr4
                                        ; implicit-def: $vgpr2
	s_branch .LBB180_6
.LBB180_5:                              ;   in Loop: Header=BB180_6 Depth=1
	s_or_b64 exec, exec, s[14:15]
	v_mov_b32_dpp v10, v8 quad_perm:[1,0,3,2] row_mask:0xf bank_mask:0xf
	v_cmp_lt_f32_e32 vcc, v8, v10
	v_cndmask_b32_e32 v8, v8, v10, vcc
	v_mov_b32_dpp v9, v7 quad_perm:[1,0,3,2] row_mask:0xf bank_mask:0xf
	v_cndmask_b32_e32 v7, v7, v9, vcc
	v_mov_b32_dpp v10, v8 quad_perm:[2,3,0,1] row_mask:0xf bank_mask:0xf
	v_cmp_gt_f32_e32 vcc, v10, v8
	v_cndmask_b32_e32 v8, v8, v10, vcc
	v_mov_b32_dpp v9, v7 quad_perm:[2,3,0,1] row_mask:0xf bank_mask:0xf
	v_cndmask_b32_e32 v7, v7, v9, vcc
	v_mov_b32_dpp v10, v8 row_half_mirror row_mask:0xf bank_mask:0xf
	v_cmp_gt_f32_e32 vcc, v10, v8
	v_cndmask_b32_e32 v8, v8, v10, vcc
	v_mov_b32_dpp v9, v7 row_half_mirror row_mask:0xf bank_mask:0xf
	v_cndmask_b32_e32 v7, v7, v9, vcc
	v_mov_b32_dpp v10, v8 row_mirror row_mask:0xf bank_mask:0xf
	v_cmp_gt_f32_e32 vcc, v10, v8
	v_cndmask_b32_e32 v8, v8, v10, vcc
	v_mov_b32_dpp v9, v7 row_mirror row_mask:0xf bank_mask:0xf
	v_cndmask_b32_e32 v7, v7, v9, vcc
	v_mov_b32_dpp v10, v8 row_bcast:15 row_mask:0xf bank_mask:0xf
	v_cmp_gt_f32_e32 vcc, v10, v8
	v_mov_b32_dpp v9, v7 row_bcast:15 row_mask:0xf bank_mask:0xf
	v_cndmask_b32_e32 v8, v8, v10, vcc
	v_cndmask_b32_e32 v7, v7, v9, vcc
	s_nop 0
	v_mov_b32_dpp v10, v8 row_bcast:31 row_mask:0xf bank_mask:0xf
	v_mov_b32_dpp v9, v7 row_bcast:31 row_mask:0xf bank_mask:0xf
	v_cmp_gt_f32_e32 vcc, v10, v8
	v_cndmask_b32_e32 v7, v7, v9, vcc
	v_readlane_b32 s15, v7, 63
	s_lshl_b32 s16, s15, 2
	s_add_i32 s16, s16, 0
	v_cndmask_b32_e32 v8, v8, v10, vcc
	v_mov_b32_e32 v7, s16
	v_readlane_b32 s14, v8, 63
	ds_write_b32 v7, v6
	v_mov_b32_e32 v7, s15
	v_cmp_eq_u32_e32 vcc, s12, v0
	v_cndmask_b32_e32 v2, v2, v7, vcc
	v_mov_b32_e32 v7, s14
	s_add_i32 s12, s12, 1
	v_cndmask_b32_e32 v4, v4, v7, vcc
	s_cmp_eq_u32 s12, s13
	v_add_f32_e32 v3, s14, v3
	s_cbranch_scc1 .LBB180_11
.LBB180_6:                              ; =>This Loop Header: Depth=1
                                        ;     Child Loop BB180_8 Depth 2
	v_mov_b32_e32 v7, s12
	v_mov_b32_e32 v8, 0xff800000
	s_and_saveexec_b64 s[14:15], s[0:1]
	s_cbranch_execz .LBB180_5
; %bb.7:                                ;   in Loop: Header=BB180_6 Depth=1
	s_load_dword s18, s[2:3], 0xc
	s_mov_b64 s[16:17], 0
	v_mov_b32_e32 v7, s12
	v_mov_b32_e32 v8, 0xff800000
	;; [unrolled: 1-line block ×3, first 2 shown]
	s_waitcnt lgkmcnt(0)
	s_and_b32 s18, s18, 0xffff
	s_lshl_b32 s19, s18, 1
	s_lshl_b32 s20, s18, 3
	v_mov_b32_e32 v10, v5
	v_mov_b32_e32 v11, v0
.LBB180_8:                              ;   Parent Loop BB180_6 Depth=1
                                        ; =>  This Inner Loop Header: Depth=2
	ds_read_b64 v[12:13], v9
	v_add_u32_e32 v11, s18, v11
	v_cmp_le_i32_e32 vcc, s7, v11
	s_or_b64 s[16:17], vcc, s[16:17]
	v_add_u32_e32 v14, 1, v10
	s_waitcnt lgkmcnt(0)
	v_cmp_gt_f32_e32 vcc, v12, v8
	v_cndmask_b32_e32 v8, v8, v12, vcc
	v_cndmask_b32_e32 v7, v7, v10, vcc
	v_cmp_gt_f32_e32 vcc, v13, v8
	v_add_u32_e32 v9, s20, v9
	v_cndmask_b32_e32 v8, v8, v13, vcc
	v_add_u32_e32 v10, s19, v10
	v_cndmask_b32_e32 v7, v7, v14, vcc
	s_andn2_b64 exec, exec, s[16:17]
	s_cbranch_execnz .LBB180_8
; %bb.9:                                ;   in Loop: Header=BB180_6 Depth=1
	s_or_b64 exec, exec, s[16:17]
	s_branch .LBB180_5
.LBB180_10:
	v_mov_b32_e32 v3, 0
                                        ; implicit-def: $vgpr4
                                        ; implicit-def: $vgpr2
.LBB180_11:
	v_cmp_gt_i32_e32 vcc, s13, v0
	s_and_saveexec_b64 s[0:1], vcc
	s_cbranch_execz .LBB180_14
; %bb.12:
	s_load_dword s7, s[4:5], 0x38
	s_load_dwordx2 s[0:1], s[4:5], 0x20
	s_load_dword s12, s[4:5], 0x4c
	s_waitcnt lgkmcnt(0)
	v_div_scale_f32 v1, s[2:3], v3, v3, s7
	v_rcp_f32_e32 v5, v1
	v_div_scale_f32 v6, vcc, s7, v3, s7
	s_ashr_i32 s2, s6, 31
	v_fma_f32 v7, -v1, v5, 1.0
	v_fmac_f32_e32 v5, v7, v5
	v_mul_f32_e32 v7, v6, v5
	v_fma_f32 v8, -v1, v7, v6
	v_fmac_f32_e32 v7, v8, v5
	v_fma_f32 v1, -v1, v7, v6
	s_mul_i32 s1, s6, s1
	s_mul_hi_u32 s3, s6, s0
	v_div_fmas_f32 v1, v1, v5, v7
	s_add_i32 s1, s3, s1
	s_mul_i32 s2, s2, s0
	v_div_fixup_f32 v1, v1, v3, s7
	s_add_i32 s4, s1, s2
	v_mul_f32_e32 v1, v1, v4
	s_mul_i32 s2, s6, s0
	s_and_b32 s3, s12, 0xffff
	s_mov_b64 s[0:1], 0
	v_mov_b32_e32 v3, s4
	v_mov_b32_e32 v4, s9
	;; [unrolled: 1-line block ×3, first 2 shown]
.LBB180_13:                             ; =>This Inner Loop Header: Depth=1
	v_ashrrev_i32_e32 v7, 31, v0
	v_add_co_u32_e32 v6, vcc, s2, v0
	v_addc_co_u32_e32 v7, vcc, v3, v7, vcc
	v_add_u32_e32 v0, s3, v0
	v_cmp_le_i32_e32 vcc, s13, v0
	v_lshlrev_b64 v[6:7], 2, v[6:7]
	s_or_b64 s[0:1], vcc, s[0:1]
	v_add_co_u32_e32 v8, vcc, s8, v6
	v_addc_co_u32_e32 v9, vcc, v4, v7, vcc
	v_add_co_u32_e32 v6, vcc, s10, v6
	v_addc_co_u32_e32 v7, vcc, v5, v7, vcc
	global_store_dword v[8:9], v1, off
	global_store_dword v[6:7], v2, off
	s_andn2_b64 exec, exec, s[0:1]
	s_cbranch_execnz .LBB180_13
.LBB180_14:
	s_endpgm
	.section	.rodata,"a",@progbits
	.p2align	6, 0x0
	.amdhsa_kernel _ZN5aiter19grouped_topk_kernelIN3c108BFloat16EDv2_fLi1ELb1ELb0ELb0EEEvPT_PKS4_PfPimiiiif
		.amdhsa_group_segment_fixed_size 0
		.amdhsa_private_segment_fixed_size 0
		.amdhsa_kernarg_size 320
		.amdhsa_user_sgpr_count 6
		.amdhsa_user_sgpr_private_segment_buffer 1
		.amdhsa_user_sgpr_dispatch_ptr 0
		.amdhsa_user_sgpr_queue_ptr 0
		.amdhsa_user_sgpr_kernarg_segment_ptr 1
		.amdhsa_user_sgpr_dispatch_id 0
		.amdhsa_user_sgpr_flat_scratch_init 0
		.amdhsa_user_sgpr_kernarg_preload_length 0
		.amdhsa_user_sgpr_kernarg_preload_offset 0
		.amdhsa_user_sgpr_private_segment_size 0
		.amdhsa_uses_dynamic_stack 0
		.amdhsa_system_sgpr_private_segment_wavefront_offset 0
		.amdhsa_system_sgpr_workgroup_id_x 1
		.amdhsa_system_sgpr_workgroup_id_y 0
		.amdhsa_system_sgpr_workgroup_id_z 0
		.amdhsa_system_sgpr_workgroup_info 0
		.amdhsa_system_vgpr_workitem_id 0
		.amdhsa_next_free_vgpr 20
		.amdhsa_next_free_sgpr 24
		.amdhsa_accum_offset 20
		.amdhsa_reserve_vcc 1
		.amdhsa_reserve_flat_scratch 0
		.amdhsa_float_round_mode_32 0
		.amdhsa_float_round_mode_16_64 0
		.amdhsa_float_denorm_mode_32 3
		.amdhsa_float_denorm_mode_16_64 3
		.amdhsa_dx10_clamp 1
		.amdhsa_ieee_mode 1
		.amdhsa_fp16_overflow 0
		.amdhsa_tg_split 0
		.amdhsa_exception_fp_ieee_invalid_op 0
		.amdhsa_exception_fp_denorm_src 0
		.amdhsa_exception_fp_ieee_div_zero 0
		.amdhsa_exception_fp_ieee_overflow 0
		.amdhsa_exception_fp_ieee_underflow 0
		.amdhsa_exception_fp_ieee_inexact 0
		.amdhsa_exception_int_div_zero 0
	.end_amdhsa_kernel
	.section	.text._ZN5aiter19grouped_topk_kernelIN3c108BFloat16EDv2_fLi1ELb1ELb0ELb0EEEvPT_PKS4_PfPimiiiif,"axG",@progbits,_ZN5aiter19grouped_topk_kernelIN3c108BFloat16EDv2_fLi1ELb1ELb0ELb0EEEvPT_PKS4_PfPimiiiif,comdat
.Lfunc_end180:
	.size	_ZN5aiter19grouped_topk_kernelIN3c108BFloat16EDv2_fLi1ELb1ELb0ELb0EEEvPT_PKS4_PfPimiiiif, .Lfunc_end180-_ZN5aiter19grouped_topk_kernelIN3c108BFloat16EDv2_fLi1ELb1ELb0ELb0EEEvPT_PKS4_PfPimiiiif
                                        ; -- End function
	.section	.AMDGPU.csdata,"",@progbits
; Kernel info:
; codeLenInByte = 1260
; NumSgprs: 28
; NumVgprs: 20
; NumAgprs: 0
; TotalNumVgprs: 20
; ScratchSize: 0
; MemoryBound: 0
; FloatMode: 240
; IeeeMode: 1
; LDSByteSize: 0 bytes/workgroup (compile time only)
; SGPRBlocks: 3
; VGPRBlocks: 2
; NumSGPRsForWavesPerEU: 28
; NumVGPRsForWavesPerEU: 20
; AccumOffset: 20
; Occupancy: 8
; WaveLimiterHint : 0
; COMPUTE_PGM_RSRC2:SCRATCH_EN: 0
; COMPUTE_PGM_RSRC2:USER_SGPR: 6
; COMPUTE_PGM_RSRC2:TRAP_HANDLER: 0
; COMPUTE_PGM_RSRC2:TGID_X_EN: 1
; COMPUTE_PGM_RSRC2:TGID_Y_EN: 0
; COMPUTE_PGM_RSRC2:TGID_Z_EN: 0
; COMPUTE_PGM_RSRC2:TIDIG_COMP_CNT: 0
; COMPUTE_PGM_RSRC3_GFX90A:ACCUM_OFFSET: 4
; COMPUTE_PGM_RSRC3_GFX90A:TG_SPLIT: 0
	.section	.text._ZN5aiter28grouped_topk_opt_sort_kernelIfDv2_fLi1ELb0ELb1ELb0EEEvPT_PKS2_PfPimiiiif,"axG",@progbits,_ZN5aiter28grouped_topk_opt_sort_kernelIfDv2_fLi1ELb0ELb1ELb0EEEvPT_PKS2_PfPimiiiif,comdat
	.protected	_ZN5aiter28grouped_topk_opt_sort_kernelIfDv2_fLi1ELb0ELb1ELb0EEEvPT_PKS2_PfPimiiiif ; -- Begin function _ZN5aiter28grouped_topk_opt_sort_kernelIfDv2_fLi1ELb0ELb1ELb0EEEvPT_PKS2_PfPimiiiif
	.globl	_ZN5aiter28grouped_topk_opt_sort_kernelIfDv2_fLi1ELb0ELb1ELb0EEEvPT_PKS2_PfPimiiiif
	.p2align	8
	.type	_ZN5aiter28grouped_topk_opt_sort_kernelIfDv2_fLi1ELb0ELb1ELb0EEEvPT_PKS2_PfPimiiiif,@function
_ZN5aiter28grouped_topk_opt_sort_kernelIfDv2_fLi1ELb0ELb1ELb0EEEvPT_PKS2_PfPimiiiif: ; @_ZN5aiter28grouped_topk_opt_sort_kernelIfDv2_fLi1ELb0ELb1ELb0EEEvPT_PKS2_PfPimiiiif
; %bb.0:
	s_load_dword s3, s[4:5], 0x28
	s_load_dwordx4 s[8:11], s[4:5], 0x0
	s_load_dword s2, s[4:5], 0x30
	v_lshlrev_b32_e32 v6, 3, v0
	s_mov_b32 s4, 0xc2fc0000
	s_waitcnt lgkmcnt(0)
	s_mul_i32 s0, s6, s3
	s_ashr_i32 s1, s0, 31
	s_lshl_b64 s[0:1], s[0:1], 2
	s_add_u32 s0, s8, s0
	s_addc_u32 s1, s9, s1
	global_load_dwordx2 v[0:1], v6, s[0:1]
	global_load_dwordx2 v[2:3], v6, s[10:11]
	s_mov_b32 s0, 0x652b82fe
	s_mov_b32 s1, 0xbff71547
	v_mov_b32_e32 v7, 0x42800000
	v_mov_b32_e32 v8, 0x1f800000
	s_cmp_lt_i32 s2, 1
	s_waitcnt vmcnt(1)
	v_cvt_f64_f32_e32 v[4:5], v0
	v_cvt_f64_f32_e32 v[0:1], v1
	v_mul_f64 v[4:5], v[4:5], s[0:1]
	v_mul_f64 v[0:1], v[0:1], s[0:1]
	v_cvt_f32_f64_e32 v4, v[4:5]
	v_cvt_f32_f64_e32 v0, v[0:1]
	v_cmp_gt_f32_e32 vcc, s4, v4
	v_cmp_gt_f32_e64 s[0:1], s4, v0
	v_cndmask_b32_e32 v1, 0, v7, vcc
	v_cndmask_b32_e64 v5, 0, v7, s[0:1]
	v_add_f32_e32 v1, v4, v1
	v_add_f32_e32 v0, v0, v5
	v_exp_f32_e32 v1, v1
	v_exp_f32_e32 v0, v0
	v_cndmask_b32_e32 v4, 1.0, v8, vcc
	v_cndmask_b32_e64 v5, 1.0, v8, s[0:1]
	v_fma_f32 v1, v1, v4, 1.0
	v_fma_f32 v4, v0, v5, 1.0
	v_rcp_f32_e32 v0, v1
	v_rcp_f32_e32 v1, v4
	v_mov_b32_e32 v4, 0xff800000
	v_add_u32_e32 v5, 0, v6
	s_waitcnt vmcnt(0)
	v_pk_add_f32 v[0:1], v[2:3], v[0:1]
	v_cmp_o_f32_e32 vcc, v1, v1
	v_cndmask_b32_e32 v1, v4, v1, vcc
	v_cmp_o_f32_e32 vcc, v0, v0
	v_cndmask_b32_e32 v0, v4, v0, vcc
	ds_write_b64 v5, v[0:1]
	s_cbranch_scc1 .LBB181_7
; %bb.1:
	s_lshl_b32 s0, s3, 2
	s_add_i32 s0, s0, 0
	s_cmp_lt_u32 s2, 8
	s_cbranch_scc1 .LBB181_4
; %bb.2:
	s_and_b32 s1, s2, 0x7ffffff8
	v_mov_b32_e32 v0, s0
	s_mov_b32 s3, 0xff800000
	v_mov_b32_e32 v1, 0xff800000
.LBB181_3:                              ; =>This Inner Loop Header: Depth=1
	ds_read_b32 v2, v0
	s_add_i32 s1, s1, -8
	s_cmp_lg_u32 s1, 0
	s_waitcnt lgkmcnt(0)
	v_cmp_nlg_f32_e32 vcc, s3, v2
	v_cndmask_b32_e64 v2, 0, 1, vcc
	v_lshlrev_b32_e32 v2, 2, v2
	v_add_u32_e32 v2, s0, v2
	ds_write_b32 v2, v1
	ds_read_b32 v2, v0
	s_waitcnt lgkmcnt(0)
	v_cmp_nlg_f32_e32 vcc, s3, v2
	v_cndmask_b32_e64 v2, 0, 1, vcc
	v_lshlrev_b32_e32 v2, 2, v2
	v_add_u32_e32 v2, s0, v2
	ds_write_b32 v2, v1
	ds_read_b32 v2, v0
	;; [unrolled: 7-line block ×7, first 2 shown]
	s_waitcnt lgkmcnt(0)
	v_cmp_nlg_f32_e32 vcc, s3, v2
	v_cndmask_b32_e64 v2, 0, 1, vcc
	v_lshlrev_b32_e32 v2, 2, v2
	v_add_u32_e32 v2, s0, v2
	ds_write_b32 v2, v1
	s_cbranch_scc1 .LBB181_3
.LBB181_4:
	s_and_b32 s1, s2, 7
	s_cmp_eq_u32 s1, 0
	s_cbranch_scc1 .LBB181_7
; %bb.5:
	v_mov_b32_e32 v0, s0
	s_mov_b32 s2, 0xff800000
	v_mov_b32_e32 v1, 0xff800000
.LBB181_6:                              ; =>This Inner Loop Header: Depth=1
	ds_read_b32 v2, v0
	s_add_i32 s1, s1, -1
	s_cmp_lg_u32 s1, 0
	s_waitcnt lgkmcnt(0)
	v_cmp_nlg_f32_e32 vcc, s2, v2
	v_cndmask_b32_e64 v2, 0, 1, vcc
	v_lshlrev_b32_e32 v2, 2, v2
	v_add_u32_e32 v2, s0, v2
	ds_write_b32 v2, v1
	s_cbranch_scc1 .LBB181_6
.LBB181_7:
	s_endpgm
	.section	.rodata,"a",@progbits
	.p2align	6, 0x0
	.amdhsa_kernel _ZN5aiter28grouped_topk_opt_sort_kernelIfDv2_fLi1ELb0ELb1ELb0EEEvPT_PKS2_PfPimiiiif
		.amdhsa_group_segment_fixed_size 0
		.amdhsa_private_segment_fixed_size 0
		.amdhsa_kernarg_size 60
		.amdhsa_user_sgpr_count 6
		.amdhsa_user_sgpr_private_segment_buffer 1
		.amdhsa_user_sgpr_dispatch_ptr 0
		.amdhsa_user_sgpr_queue_ptr 0
		.amdhsa_user_sgpr_kernarg_segment_ptr 1
		.amdhsa_user_sgpr_dispatch_id 0
		.amdhsa_user_sgpr_flat_scratch_init 0
		.amdhsa_user_sgpr_kernarg_preload_length 0
		.amdhsa_user_sgpr_kernarg_preload_offset 0
		.amdhsa_user_sgpr_private_segment_size 0
		.amdhsa_uses_dynamic_stack 0
		.amdhsa_system_sgpr_private_segment_wavefront_offset 0
		.amdhsa_system_sgpr_workgroup_id_x 1
		.amdhsa_system_sgpr_workgroup_id_y 0
		.amdhsa_system_sgpr_workgroup_id_z 0
		.amdhsa_system_sgpr_workgroup_info 0
		.amdhsa_system_vgpr_workitem_id 0
		.amdhsa_next_free_vgpr 9
		.amdhsa_next_free_sgpr 12
		.amdhsa_accum_offset 12
		.amdhsa_reserve_vcc 1
		.amdhsa_reserve_flat_scratch 0
		.amdhsa_float_round_mode_32 0
		.amdhsa_float_round_mode_16_64 0
		.amdhsa_float_denorm_mode_32 3
		.amdhsa_float_denorm_mode_16_64 3
		.amdhsa_dx10_clamp 1
		.amdhsa_ieee_mode 1
		.amdhsa_fp16_overflow 0
		.amdhsa_tg_split 0
		.amdhsa_exception_fp_ieee_invalid_op 0
		.amdhsa_exception_fp_denorm_src 0
		.amdhsa_exception_fp_ieee_div_zero 0
		.amdhsa_exception_fp_ieee_overflow 0
		.amdhsa_exception_fp_ieee_underflow 0
		.amdhsa_exception_fp_ieee_inexact 0
		.amdhsa_exception_int_div_zero 0
	.end_amdhsa_kernel
	.section	.text._ZN5aiter28grouped_topk_opt_sort_kernelIfDv2_fLi1ELb0ELb1ELb0EEEvPT_PKS2_PfPimiiiif,"axG",@progbits,_ZN5aiter28grouped_topk_opt_sort_kernelIfDv2_fLi1ELb0ELb1ELb0EEEvPT_PKS2_PfPimiiiif,comdat
.Lfunc_end181:
	.size	_ZN5aiter28grouped_topk_opt_sort_kernelIfDv2_fLi1ELb0ELb1ELb0EEEvPT_PKS2_PfPimiiiif, .Lfunc_end181-_ZN5aiter28grouped_topk_opt_sort_kernelIfDv2_fLi1ELb0ELb1ELb0EEEvPT_PKS2_PfPimiiiif
                                        ; -- End function
	.section	.AMDGPU.csdata,"",@progbits
; Kernel info:
; codeLenInByte = 740
; NumSgprs: 16
; NumVgprs: 9
; NumAgprs: 0
; TotalNumVgprs: 9
; ScratchSize: 0
; MemoryBound: 0
; FloatMode: 240
; IeeeMode: 1
; LDSByteSize: 0 bytes/workgroup (compile time only)
; SGPRBlocks: 1
; VGPRBlocks: 1
; NumSGPRsForWavesPerEU: 16
; NumVGPRsForWavesPerEU: 9
; AccumOffset: 12
; Occupancy: 8
; WaveLimiterHint : 0
; COMPUTE_PGM_RSRC2:SCRATCH_EN: 0
; COMPUTE_PGM_RSRC2:USER_SGPR: 6
; COMPUTE_PGM_RSRC2:TRAP_HANDLER: 0
; COMPUTE_PGM_RSRC2:TGID_X_EN: 1
; COMPUTE_PGM_RSRC2:TGID_Y_EN: 0
; COMPUTE_PGM_RSRC2:TGID_Z_EN: 0
; COMPUTE_PGM_RSRC2:TIDIG_COMP_CNT: 0
; COMPUTE_PGM_RSRC3_GFX90A:ACCUM_OFFSET: 2
; COMPUTE_PGM_RSRC3_GFX90A:TG_SPLIT: 0
	.section	.text._ZN5aiter28grouped_topk_opt_sort_kernelIN3c104HalfEDv2_fLi1ELb0ELb1ELb0EEEvPT_PKS4_PfPimiiiif,"axG",@progbits,_ZN5aiter28grouped_topk_opt_sort_kernelIN3c104HalfEDv2_fLi1ELb0ELb1ELb0EEEvPT_PKS4_PfPimiiiif,comdat
	.protected	_ZN5aiter28grouped_topk_opt_sort_kernelIN3c104HalfEDv2_fLi1ELb0ELb1ELb0EEEvPT_PKS4_PfPimiiiif ; -- Begin function _ZN5aiter28grouped_topk_opt_sort_kernelIN3c104HalfEDv2_fLi1ELb0ELb1ELb0EEEvPT_PKS4_PfPimiiiif
	.globl	_ZN5aiter28grouped_topk_opt_sort_kernelIN3c104HalfEDv2_fLi1ELb0ELb1ELb0EEEvPT_PKS4_PfPimiiiif
	.p2align	8
	.type	_ZN5aiter28grouped_topk_opt_sort_kernelIN3c104HalfEDv2_fLi1ELb0ELb1ELb0EEEvPT_PKS4_PfPimiiiif,@function
_ZN5aiter28grouped_topk_opt_sort_kernelIN3c104HalfEDv2_fLi1ELb0ELb1ELb0EEEvPT_PKS4_PfPimiiiif: ; @_ZN5aiter28grouped_topk_opt_sort_kernelIN3c104HalfEDv2_fLi1ELb0ELb1ELb0EEEvPT_PKS4_PfPimiiiif
; %bb.0:
	s_load_dword s3, s[4:5], 0x28
	s_load_dwordx4 s[8:11], s[4:5], 0x0
	s_load_dword s2, s[4:5], 0x30
	v_lshlrev_b32_e32 v1, 2, v0
	s_mov_b32 s4, 0xc2fc0000
	s_waitcnt lgkmcnt(0)
	s_mul_i32 s0, s6, s3
	s_ashr_i32 s1, s0, 31
	s_lshl_b64 s[0:1], s[0:1], 1
	s_add_u32 s0, s8, s0
	s_addc_u32 s1, s9, s1
	global_load_dword v2, v1, s[0:1]
	global_load_dword v3, v1, s[10:11]
	s_mov_b32 s0, 0x652b82fe
	s_mov_b32 s1, 0xbff71547
	v_mov_b32_e32 v1, 0x42800000
	v_mov_b32_e32 v8, 0x1f800000
	s_cmp_lt_i32 s2, 1
	s_waitcnt vmcnt(1)
	v_cvt_f32_f16_e32 v4, v2
	v_cvt_f32_f16_sdwa v6, v2 dst_sel:DWORD dst_unused:UNUSED_PAD src0_sel:WORD_1
	s_waitcnt vmcnt(0)
	v_cvt_f32_f16_e32 v2, v3
	v_cvt_f32_f16_sdwa v3, v3 dst_sel:DWORD dst_unused:UNUSED_PAD src0_sel:WORD_1
	v_cvt_f64_f32_e32 v[4:5], v4
	v_cvt_f64_f32_e32 v[6:7], v6
	v_mul_f64 v[4:5], v[4:5], s[0:1]
	v_mul_f64 v[6:7], v[6:7], s[0:1]
	v_cvt_f32_f64_e32 v4, v[4:5]
	v_cvt_f32_f64_e32 v5, v[6:7]
	v_cmp_gt_f32_e32 vcc, s4, v4
	v_cmp_gt_f32_e64 s[0:1], s4, v5
	v_cndmask_b32_e32 v6, 0, v1, vcc
	v_cndmask_b32_e64 v1, 0, v1, s[0:1]
	v_add_f32_e32 v4, v4, v6
	v_add_f32_e32 v1, v5, v1
	v_exp_f32_e32 v4, v4
	v_exp_f32_e32 v1, v1
	v_cndmask_b32_e32 v5, 1.0, v8, vcc
	v_cndmask_b32_e64 v6, 1.0, v8, s[0:1]
	v_fma_f32 v4, v4, v5, 1.0
	v_fma_f32 v1, v1, v6, 1.0
	v_rcp_f32_e32 v4, v4
	v_rcp_f32_e32 v5, v1
	v_lshl_add_u32 v7, v0, 3, 0
	v_mov_b32_e32 v6, 0xff800000
	v_pk_add_f32 v[0:1], v[4:5], v[2:3]
	v_cmp_o_f32_e32 vcc, v1, v1
	v_cndmask_b32_e32 v1, v6, v1, vcc
	v_cmp_o_f32_e32 vcc, v0, v0
	v_cndmask_b32_e32 v0, v6, v0, vcc
	ds_write_b64 v7, v[0:1]
	s_cbranch_scc1 .LBB182_7
; %bb.1:
	s_lshl_b32 s0, s3, 2
	s_add_i32 s0, s0, 0
	s_cmp_lt_u32 s2, 8
	s_cbranch_scc1 .LBB182_4
; %bb.2:
	s_and_b32 s1, s2, 0x7ffffff8
	v_mov_b32_e32 v0, s0
	s_mov_b32 s3, 0xff800000
	v_mov_b32_e32 v1, 0xff800000
.LBB182_3:                              ; =>This Inner Loop Header: Depth=1
	ds_read_b32 v2, v0
	s_add_i32 s1, s1, -8
	s_cmp_lg_u32 s1, 0
	s_waitcnt lgkmcnt(0)
	v_cmp_nlg_f32_e32 vcc, s3, v2
	v_cndmask_b32_e64 v2, 0, 1, vcc
	v_lshlrev_b32_e32 v2, 2, v2
	v_add_u32_e32 v2, s0, v2
	ds_write_b32 v2, v1
	ds_read_b32 v2, v0
	s_waitcnt lgkmcnt(0)
	v_cmp_nlg_f32_e32 vcc, s3, v2
	v_cndmask_b32_e64 v2, 0, 1, vcc
	v_lshlrev_b32_e32 v2, 2, v2
	v_add_u32_e32 v2, s0, v2
	ds_write_b32 v2, v1
	ds_read_b32 v2, v0
	;; [unrolled: 7-line block ×7, first 2 shown]
	s_waitcnt lgkmcnt(0)
	v_cmp_nlg_f32_e32 vcc, s3, v2
	v_cndmask_b32_e64 v2, 0, 1, vcc
	v_lshlrev_b32_e32 v2, 2, v2
	v_add_u32_e32 v2, s0, v2
	ds_write_b32 v2, v1
	s_cbranch_scc1 .LBB182_3
.LBB182_4:
	s_and_b32 s1, s2, 7
	s_cmp_eq_u32 s1, 0
	s_cbranch_scc1 .LBB182_7
; %bb.5:
	v_mov_b32_e32 v0, s0
	s_mov_b32 s2, 0xff800000
	v_mov_b32_e32 v1, 0xff800000
.LBB182_6:                              ; =>This Inner Loop Header: Depth=1
	ds_read_b32 v2, v0
	s_add_i32 s1, s1, -1
	s_cmp_lg_u32 s1, 0
	s_waitcnt lgkmcnt(0)
	v_cmp_nlg_f32_e32 vcc, s2, v2
	v_cndmask_b32_e64 v2, 0, 1, vcc
	v_lshlrev_b32_e32 v2, 2, v2
	v_add_u32_e32 v2, s0, v2
	ds_write_b32 v2, v1
	s_cbranch_scc1 .LBB182_6
.LBB182_7:
	s_endpgm
	.section	.rodata,"a",@progbits
	.p2align	6, 0x0
	.amdhsa_kernel _ZN5aiter28grouped_topk_opt_sort_kernelIN3c104HalfEDv2_fLi1ELb0ELb1ELb0EEEvPT_PKS4_PfPimiiiif
		.amdhsa_group_segment_fixed_size 0
		.amdhsa_private_segment_fixed_size 0
		.amdhsa_kernarg_size 60
		.amdhsa_user_sgpr_count 6
		.amdhsa_user_sgpr_private_segment_buffer 1
		.amdhsa_user_sgpr_dispatch_ptr 0
		.amdhsa_user_sgpr_queue_ptr 0
		.amdhsa_user_sgpr_kernarg_segment_ptr 1
		.amdhsa_user_sgpr_dispatch_id 0
		.amdhsa_user_sgpr_flat_scratch_init 0
		.amdhsa_user_sgpr_kernarg_preload_length 0
		.amdhsa_user_sgpr_kernarg_preload_offset 0
		.amdhsa_user_sgpr_private_segment_size 0
		.amdhsa_uses_dynamic_stack 0
		.amdhsa_system_sgpr_private_segment_wavefront_offset 0
		.amdhsa_system_sgpr_workgroup_id_x 1
		.amdhsa_system_sgpr_workgroup_id_y 0
		.amdhsa_system_sgpr_workgroup_id_z 0
		.amdhsa_system_sgpr_workgroup_info 0
		.amdhsa_system_vgpr_workitem_id 0
		.amdhsa_next_free_vgpr 9
		.amdhsa_next_free_sgpr 12
		.amdhsa_accum_offset 12
		.amdhsa_reserve_vcc 1
		.amdhsa_reserve_flat_scratch 0
		.amdhsa_float_round_mode_32 0
		.amdhsa_float_round_mode_16_64 0
		.amdhsa_float_denorm_mode_32 3
		.amdhsa_float_denorm_mode_16_64 3
		.amdhsa_dx10_clamp 1
		.amdhsa_ieee_mode 1
		.amdhsa_fp16_overflow 0
		.amdhsa_tg_split 0
		.amdhsa_exception_fp_ieee_invalid_op 0
		.amdhsa_exception_fp_denorm_src 0
		.amdhsa_exception_fp_ieee_div_zero 0
		.amdhsa_exception_fp_ieee_overflow 0
		.amdhsa_exception_fp_ieee_underflow 0
		.amdhsa_exception_fp_ieee_inexact 0
		.amdhsa_exception_int_div_zero 0
	.end_amdhsa_kernel
	.section	.text._ZN5aiter28grouped_topk_opt_sort_kernelIN3c104HalfEDv2_fLi1ELb0ELb1ELb0EEEvPT_PKS4_PfPimiiiif,"axG",@progbits,_ZN5aiter28grouped_topk_opt_sort_kernelIN3c104HalfEDv2_fLi1ELb0ELb1ELb0EEEvPT_PKS4_PfPimiiiif,comdat
.Lfunc_end182:
	.size	_ZN5aiter28grouped_topk_opt_sort_kernelIN3c104HalfEDv2_fLi1ELb0ELb1ELb0EEEvPT_PKS4_PfPimiiiif, .Lfunc_end182-_ZN5aiter28grouped_topk_opt_sort_kernelIN3c104HalfEDv2_fLi1ELb0ELb1ELb0EEEvPT_PKS4_PfPimiiiif
                                        ; -- End function
	.section	.AMDGPU.csdata,"",@progbits
; Kernel info:
; codeLenInByte = 768
; NumSgprs: 16
; NumVgprs: 9
; NumAgprs: 0
; TotalNumVgprs: 9
; ScratchSize: 0
; MemoryBound: 0
; FloatMode: 240
; IeeeMode: 1
; LDSByteSize: 0 bytes/workgroup (compile time only)
; SGPRBlocks: 1
; VGPRBlocks: 1
; NumSGPRsForWavesPerEU: 16
; NumVGPRsForWavesPerEU: 9
; AccumOffset: 12
; Occupancy: 8
; WaveLimiterHint : 0
; COMPUTE_PGM_RSRC2:SCRATCH_EN: 0
; COMPUTE_PGM_RSRC2:USER_SGPR: 6
; COMPUTE_PGM_RSRC2:TRAP_HANDLER: 0
; COMPUTE_PGM_RSRC2:TGID_X_EN: 1
; COMPUTE_PGM_RSRC2:TGID_Y_EN: 0
; COMPUTE_PGM_RSRC2:TGID_Z_EN: 0
; COMPUTE_PGM_RSRC2:TIDIG_COMP_CNT: 0
; COMPUTE_PGM_RSRC3_GFX90A:ACCUM_OFFSET: 2
; COMPUTE_PGM_RSRC3_GFX90A:TG_SPLIT: 0
	.section	.text._ZN5aiter28grouped_topk_opt_sort_kernelIN3c108BFloat16EDv2_fLi1ELb0ELb1ELb0EEEvPT_PKS4_PfPimiiiif,"axG",@progbits,_ZN5aiter28grouped_topk_opt_sort_kernelIN3c108BFloat16EDv2_fLi1ELb0ELb1ELb0EEEvPT_PKS4_PfPimiiiif,comdat
	.protected	_ZN5aiter28grouped_topk_opt_sort_kernelIN3c108BFloat16EDv2_fLi1ELb0ELb1ELb0EEEvPT_PKS4_PfPimiiiif ; -- Begin function _ZN5aiter28grouped_topk_opt_sort_kernelIN3c108BFloat16EDv2_fLi1ELb0ELb1ELb0EEEvPT_PKS4_PfPimiiiif
	.globl	_ZN5aiter28grouped_topk_opt_sort_kernelIN3c108BFloat16EDv2_fLi1ELb0ELb1ELb0EEEvPT_PKS4_PfPimiiiif
	.p2align	8
	.type	_ZN5aiter28grouped_topk_opt_sort_kernelIN3c108BFloat16EDv2_fLi1ELb0ELb1ELb0EEEvPT_PKS4_PfPimiiiif,@function
_ZN5aiter28grouped_topk_opt_sort_kernelIN3c108BFloat16EDv2_fLi1ELb0ELb1ELb0EEEvPT_PKS4_PfPimiiiif: ; @_ZN5aiter28grouped_topk_opt_sort_kernelIN3c108BFloat16EDv2_fLi1ELb0ELb1ELb0EEEvPT_PKS4_PfPimiiiif
; %bb.0:
	s_load_dword s3, s[4:5], 0x28
	s_load_dwordx4 s[8:11], s[4:5], 0x0
	s_load_dword s2, s[4:5], 0x30
	v_lshlrev_b32_e32 v1, 2, v0
	s_mov_b32 s4, 0xc2fc0000
	s_waitcnt lgkmcnt(0)
	s_mul_i32 s0, s6, s3
	s_ashr_i32 s1, s0, 31
	s_lshl_b64 s[0:1], s[0:1], 1
	s_add_u32 s0, s8, s0
	s_addc_u32 s1, s9, s1
	global_load_dword v2, v1, s[0:1]
	global_load_dword v4, v1, s[10:11]
	s_mov_b32 s0, 0x652b82fe
	s_mov_b32 s1, 0xbff71547
	v_mov_b32_e32 v1, 0x42800000
	v_mov_b32_e32 v8, 0x1f800000
	s_cmp_lt_i32 s2, 1
	s_waitcnt vmcnt(1)
	v_and_b32_e32 v5, 0xffff, v2
	v_lshrrev_b32_e32 v6, 16, v2
	s_waitcnt vmcnt(0)
	v_cvt_f32_u32_sdwa v3, v4 dst_sel:DWORD dst_unused:UNUSED_PAD src0_sel:WORD_1
	v_cvt_f32_u32_sdwa v2, v4 dst_sel:DWORD dst_unused:UNUSED_PAD src0_sel:WORD_0
	v_cvt_f64_u32_e32 v[4:5], v5
	v_cvt_f64_u32_e32 v[6:7], v6
	v_mul_f64 v[4:5], v[4:5], s[0:1]
	v_mul_f64 v[6:7], v[6:7], s[0:1]
	v_cvt_f32_f64_e32 v4, v[4:5]
	v_cvt_f32_f64_e32 v5, v[6:7]
	v_cmp_gt_f32_e32 vcc, s4, v4
	v_cmp_gt_f32_e64 s[0:1], s4, v5
	v_cndmask_b32_e32 v6, 0, v1, vcc
	v_cndmask_b32_e64 v1, 0, v1, s[0:1]
	v_add_f32_e32 v4, v4, v6
	v_add_f32_e32 v1, v5, v1
	v_exp_f32_e32 v4, v4
	v_exp_f32_e32 v1, v1
	v_cndmask_b32_e32 v5, 1.0, v8, vcc
	v_cndmask_b32_e64 v6, 1.0, v8, s[0:1]
	v_fma_f32 v4, v4, v5, 1.0
	v_fma_f32 v1, v1, v6, 1.0
	v_rcp_f32_e32 v4, v4
	v_rcp_f32_e32 v5, v1
	v_lshl_add_u32 v7, v0, 3, 0
	v_mov_b32_e32 v6, 0xff800000
	v_pk_add_f32 v[0:1], v[4:5], v[2:3]
	v_cmp_o_f32_e32 vcc, v1, v1
	v_cndmask_b32_e32 v1, v6, v1, vcc
	v_cmp_o_f32_e32 vcc, v0, v0
	v_cndmask_b32_e32 v0, v6, v0, vcc
	ds_write_b64 v7, v[0:1]
	s_cbranch_scc1 .LBB183_7
; %bb.1:
	s_lshl_b32 s0, s3, 2
	s_add_i32 s0, s0, 0
	s_cmp_lt_u32 s2, 8
	s_cbranch_scc1 .LBB183_4
; %bb.2:
	s_and_b32 s1, s2, 0x7ffffff8
	v_mov_b32_e32 v0, s0
	s_mov_b32 s3, 0xff800000
	v_mov_b32_e32 v1, 0xff800000
.LBB183_3:                              ; =>This Inner Loop Header: Depth=1
	ds_read_b32 v2, v0
	s_add_i32 s1, s1, -8
	s_cmp_lg_u32 s1, 0
	s_waitcnt lgkmcnt(0)
	v_cmp_nlg_f32_e32 vcc, s3, v2
	v_cndmask_b32_e64 v2, 0, 1, vcc
	v_lshlrev_b32_e32 v2, 2, v2
	v_add_u32_e32 v2, s0, v2
	ds_write_b32 v2, v1
	ds_read_b32 v2, v0
	s_waitcnt lgkmcnt(0)
	v_cmp_nlg_f32_e32 vcc, s3, v2
	v_cndmask_b32_e64 v2, 0, 1, vcc
	v_lshlrev_b32_e32 v2, 2, v2
	v_add_u32_e32 v2, s0, v2
	ds_write_b32 v2, v1
	ds_read_b32 v2, v0
	;; [unrolled: 7-line block ×7, first 2 shown]
	s_waitcnt lgkmcnt(0)
	v_cmp_nlg_f32_e32 vcc, s3, v2
	v_cndmask_b32_e64 v2, 0, 1, vcc
	v_lshlrev_b32_e32 v2, 2, v2
	v_add_u32_e32 v2, s0, v2
	ds_write_b32 v2, v1
	s_cbranch_scc1 .LBB183_3
.LBB183_4:
	s_and_b32 s1, s2, 7
	s_cmp_eq_u32 s1, 0
	s_cbranch_scc1 .LBB183_7
; %bb.5:
	v_mov_b32_e32 v0, s0
	s_mov_b32 s2, 0xff800000
	v_mov_b32_e32 v1, 0xff800000
.LBB183_6:                              ; =>This Inner Loop Header: Depth=1
	ds_read_b32 v2, v0
	s_add_i32 s1, s1, -1
	s_cmp_lg_u32 s1, 0
	s_waitcnt lgkmcnt(0)
	v_cmp_nlg_f32_e32 vcc, s2, v2
	v_cndmask_b32_e64 v2, 0, 1, vcc
	v_lshlrev_b32_e32 v2, 2, v2
	v_add_u32_e32 v2, s0, v2
	ds_write_b32 v2, v1
	s_cbranch_scc1 .LBB183_6
.LBB183_7:
	s_endpgm
	.section	.rodata,"a",@progbits
	.p2align	6, 0x0
	.amdhsa_kernel _ZN5aiter28grouped_topk_opt_sort_kernelIN3c108BFloat16EDv2_fLi1ELb0ELb1ELb0EEEvPT_PKS4_PfPimiiiif
		.amdhsa_group_segment_fixed_size 0
		.amdhsa_private_segment_fixed_size 0
		.amdhsa_kernarg_size 60
		.amdhsa_user_sgpr_count 6
		.amdhsa_user_sgpr_private_segment_buffer 1
		.amdhsa_user_sgpr_dispatch_ptr 0
		.amdhsa_user_sgpr_queue_ptr 0
		.amdhsa_user_sgpr_kernarg_segment_ptr 1
		.amdhsa_user_sgpr_dispatch_id 0
		.amdhsa_user_sgpr_flat_scratch_init 0
		.amdhsa_user_sgpr_kernarg_preload_length 0
		.amdhsa_user_sgpr_kernarg_preload_offset 0
		.amdhsa_user_sgpr_private_segment_size 0
		.amdhsa_uses_dynamic_stack 0
		.amdhsa_system_sgpr_private_segment_wavefront_offset 0
		.amdhsa_system_sgpr_workgroup_id_x 1
		.amdhsa_system_sgpr_workgroup_id_y 0
		.amdhsa_system_sgpr_workgroup_id_z 0
		.amdhsa_system_sgpr_workgroup_info 0
		.amdhsa_system_vgpr_workitem_id 0
		.amdhsa_next_free_vgpr 9
		.amdhsa_next_free_sgpr 12
		.amdhsa_accum_offset 12
		.amdhsa_reserve_vcc 1
		.amdhsa_reserve_flat_scratch 0
		.amdhsa_float_round_mode_32 0
		.amdhsa_float_round_mode_16_64 0
		.amdhsa_float_denorm_mode_32 3
		.amdhsa_float_denorm_mode_16_64 3
		.amdhsa_dx10_clamp 1
		.amdhsa_ieee_mode 1
		.amdhsa_fp16_overflow 0
		.amdhsa_tg_split 0
		.amdhsa_exception_fp_ieee_invalid_op 0
		.amdhsa_exception_fp_denorm_src 0
		.amdhsa_exception_fp_ieee_div_zero 0
		.amdhsa_exception_fp_ieee_overflow 0
		.amdhsa_exception_fp_ieee_underflow 0
		.amdhsa_exception_fp_ieee_inexact 0
		.amdhsa_exception_int_div_zero 0
	.end_amdhsa_kernel
	.section	.text._ZN5aiter28grouped_topk_opt_sort_kernelIN3c108BFloat16EDv2_fLi1ELb0ELb1ELb0EEEvPT_PKS4_PfPimiiiif,"axG",@progbits,_ZN5aiter28grouped_topk_opt_sort_kernelIN3c108BFloat16EDv2_fLi1ELb0ELb1ELb0EEEvPT_PKS4_PfPimiiiif,comdat
.Lfunc_end183:
	.size	_ZN5aiter28grouped_topk_opt_sort_kernelIN3c108BFloat16EDv2_fLi1ELb0ELb1ELb0EEEvPT_PKS4_PfPimiiiif, .Lfunc_end183-_ZN5aiter28grouped_topk_opt_sort_kernelIN3c108BFloat16EDv2_fLi1ELb0ELb1ELb0EEEvPT_PKS4_PfPimiiiif
                                        ; -- End function
	.section	.AMDGPU.csdata,"",@progbits
; Kernel info:
; codeLenInByte = 772
; NumSgprs: 16
; NumVgprs: 9
; NumAgprs: 0
; TotalNumVgprs: 9
; ScratchSize: 0
; MemoryBound: 0
; FloatMode: 240
; IeeeMode: 1
; LDSByteSize: 0 bytes/workgroup (compile time only)
; SGPRBlocks: 1
; VGPRBlocks: 1
; NumSGPRsForWavesPerEU: 16
; NumVGPRsForWavesPerEU: 9
; AccumOffset: 12
; Occupancy: 8
; WaveLimiterHint : 0
; COMPUTE_PGM_RSRC2:SCRATCH_EN: 0
; COMPUTE_PGM_RSRC2:USER_SGPR: 6
; COMPUTE_PGM_RSRC2:TRAP_HANDLER: 0
; COMPUTE_PGM_RSRC2:TGID_X_EN: 1
; COMPUTE_PGM_RSRC2:TGID_Y_EN: 0
; COMPUTE_PGM_RSRC2:TGID_Z_EN: 0
; COMPUTE_PGM_RSRC2:TIDIG_COMP_CNT: 0
; COMPUTE_PGM_RSRC3_GFX90A:ACCUM_OFFSET: 2
; COMPUTE_PGM_RSRC3_GFX90A:TG_SPLIT: 0
	.section	.text._ZN5aiter19grouped_topk_kernelIfDv2_fLi1ELb0ELb1ELb0EEEvPT_PKS2_PfPimiiiif,"axG",@progbits,_ZN5aiter19grouped_topk_kernelIfDv2_fLi1ELb0ELb1ELb0EEEvPT_PKS2_PfPimiiiif,comdat
	.protected	_ZN5aiter19grouped_topk_kernelIfDv2_fLi1ELb0ELb1ELb0EEEvPT_PKS2_PfPimiiiif ; -- Begin function _ZN5aiter19grouped_topk_kernelIfDv2_fLi1ELb0ELb1ELb0EEEvPT_PKS2_PfPimiiiif
	.globl	_ZN5aiter19grouped_topk_kernelIfDv2_fLi1ELb0ELb1ELb0EEEvPT_PKS2_PfPimiiiif
	.p2align	8
	.type	_ZN5aiter19grouped_topk_kernelIfDv2_fLi1ELb0ELb1ELb0EEEvPT_PKS2_PfPimiiiif,@function
_ZN5aiter19grouped_topk_kernelIfDv2_fLi1ELb0ELb1ELb0EEEvPT_PKS2_PfPimiiiif: ; @_ZN5aiter19grouped_topk_kernelIfDv2_fLi1ELb0ELb1ELb0EEEvPT_PKS2_PfPimiiiif
; %bb.0:
	s_load_dwordx2 s[12:13], s[4:5], 0x28
	s_load_dwordx4 s[8:11], s[4:5], 0x8
	s_load_dwordx2 s[14:15], s[4:5], 0x18
	s_waitcnt lgkmcnt(0)
	s_lshr_b32 s0, s12, 31
	s_add_i32 s0, s12, s0
	s_ashr_i32 s7, s0, 1
	v_cmp_gt_i32_e64 s[0:1], s7, v0
	s_and_saveexec_b64 s[16:17], s[0:1]
	s_cbranch_execz .LBB184_3
; %bb.1:
	s_load_dwordx2 s[2:3], s[4:5], 0x0
	s_load_dword s20, s[4:5], 0x4c
	s_mul_i32 s18, s6, s12
	s_ashr_i32 s19, s18, 31
	s_lshl_b64 s[18:19], s[18:19], 2
	s_waitcnt lgkmcnt(0)
	s_add_u32 s12, s2, s18
	s_addc_u32 s2, s3, s19
	s_and_b32 s20, s20, 0xffff
	s_mov_b32 s3, 0
	v_lshlrev_b32_e32 v2, 3, v0
	v_mov_b32_e32 v1, 0
	s_lshl_b32 s21, s20, 3
	v_add_u32_e32 v3, 0, v2
	s_mov_b64 s[18:19], 0
	v_mov_b32_e32 v4, s2
	v_mov_b32_e32 v5, s9
	s_mov_b32 s22, 0xbfb8aa3b
	s_mov_b32 s23, 0x42ce8ed0
	;; [unrolled: 1-line block ×3, first 2 shown]
	v_mov_b32_e32 v6, 0x7f800000
	v_mov_b32_e32 v7, s3
	;; [unrolled: 1-line block ×3, first 2 shown]
.LBB184_2:                              ; =>This Inner Loop Header: Depth=1
	v_add_co_u32_e32 v10, vcc, s12, v2
	v_addc_co_u32_e32 v11, vcc, v4, v1, vcc
	global_load_dwordx2 v[10:11], v[10:11], off
	v_add_co_u32_e32 v12, vcc, s8, v2
	v_addc_co_u32_e32 v13, vcc, v5, v1, vcc
	global_load_dwordx2 v[12:13], v[12:13], off
	v_add_co_u32_e32 v2, vcc, s21, v2
	v_add_u32_e32 v8, s20, v8
	v_addc_co_u32_e32 v1, vcc, v1, v7, vcc
	v_cmp_le_i32_e32 vcc, s7, v8
	s_or_b64 s[18:19], vcc, s[18:19]
	s_waitcnt vmcnt(1)
	v_mul_f32_e32 v9, 0xbfb8aa3b, v11
	v_mul_f32_e32 v14, 0xbfb8aa3b, v10
	v_fma_f32 v15, v11, s22, -v9
	v_rndne_f32_e32 v16, v9
	v_fma_f32 v17, v10, s22, -v14
	v_rndne_f32_e32 v18, v14
	v_fmac_f32_e32 v15, 0xb2a5705f, v11
	v_sub_f32_e32 v9, v9, v16
	v_fmac_f32_e32 v17, 0xb2a5705f, v10
	v_sub_f32_e32 v14, v14, v18
	v_add_f32_e32 v9, v9, v15
	v_add_f32_e32 v14, v14, v17
	v_cvt_i32_f32_e32 v16, v16
	v_cvt_i32_f32_e32 v18, v18
	v_exp_f32_e32 v9, v9
	v_exp_f32_e32 v14, v14
	v_cmp_nlt_f32_e32 vcc, s23, v10
	v_cmp_nlt_f32_e64 s[2:3], s23, v11
	v_ldexp_f32 v9, v9, v16
	v_ldexp_f32 v14, v14, v18
	v_cndmask_b32_e64 v9, 0, v9, s[2:3]
	v_cndmask_b32_e32 v14, 0, v14, vcc
	v_cmp_ngt_f32_e32 vcc, s24, v10
	v_cmp_ngt_f32_e64 s[2:3], s24, v11
	v_cndmask_b32_e64 v11, v6, v9, s[2:3]
	v_cndmask_b32_e32 v10, v6, v14, vcc
	v_pk_add_f32 v[10:11], v[10:11], 1.0 op_sel_hi:[1,0]
	v_div_scale_f32 v9, s[2:3], v11, v11, 1.0
	v_div_scale_f32 v15, s[2:3], v10, v10, 1.0
	v_rcp_f32_e32 v17, v9
	v_rcp_f32_e32 v18, v15
	v_div_scale_f32 v14, vcc, 1.0, v11, 1.0
	v_fma_f32 v19, -v9, v17, 1.0
	v_fma_f32 v20, -v15, v18, 1.0
	v_fmac_f32_e32 v17, v19, v17
	v_div_scale_f32 v16, s[2:3], 1.0, v10, 1.0
	v_fmac_f32_e32 v18, v20, v18
	v_mul_f32_e32 v19, v14, v17
	v_mul_f32_e32 v20, v16, v18
	v_fma_f32 v21, -v9, v19, v14
	v_fma_f32 v22, -v15, v20, v16
	v_fmac_f32_e32 v19, v21, v17
	v_fmac_f32_e32 v20, v22, v18
	v_fma_f32 v9, -v9, v19, v14
	v_fma_f32 v14, -v15, v20, v16
	v_div_fmas_f32 v9, v9, v17, v19
	s_mov_b64 vcc, s[2:3]
	v_div_fixup_f32 v11, v9, v11, 1.0
	v_div_fmas_f32 v9, v14, v18, v20
	v_div_fixup_f32 v10, v9, v10, 1.0
	s_waitcnt vmcnt(0)
	v_pk_add_f32 v[10:11], v[12:13], v[10:11]
	ds_write_b64 v3, v[10:11]
	v_add_u32_e32 v3, s21, v3
	s_andn2_b64 exec, exec, s[18:19]
	s_cbranch_execnz .LBB184_2
.LBB184_3:
	s_or_b64 exec, exec, s[16:17]
	s_cmp_lt_i32 s13, 1
	s_waitcnt lgkmcnt(0)
	s_barrier
	s_cbranch_scc1 .LBB184_10
; %bb.4:
	s_add_u32 s2, s4, 64
	s_addc_u32 s3, s5, 0
	v_lshlrev_b32_e32 v3, 1, v0
	s_mov_b32 s12, 0
	v_lshl_add_u32 v4, v0, 3, 0
	v_mov_b32_e32 v5, 0xff800000
                                        ; implicit-def: $vgpr2
                                        ; implicit-def: $vgpr1
	s_branch .LBB184_6
.LBB184_5:                              ;   in Loop: Header=BB184_6 Depth=1
	s_or_b64 exec, exec, s[16:17]
	v_mov_b32_dpp v9, v7 quad_perm:[1,0,3,2] row_mask:0xf bank_mask:0xf
	v_cmp_lt_f32_e32 vcc, v7, v9
	v_cndmask_b32_e32 v7, v7, v9, vcc
	v_mov_b32_dpp v8, v6 quad_perm:[1,0,3,2] row_mask:0xf bank_mask:0xf
	v_cndmask_b32_e32 v6, v6, v8, vcc
	v_mov_b32_dpp v9, v7 quad_perm:[2,3,0,1] row_mask:0xf bank_mask:0xf
	v_cmp_gt_f32_e32 vcc, v9, v7
	v_cndmask_b32_e32 v7, v7, v9, vcc
	v_mov_b32_dpp v8, v6 quad_perm:[2,3,0,1] row_mask:0xf bank_mask:0xf
	v_cndmask_b32_e32 v6, v6, v8, vcc
	v_mov_b32_dpp v9, v7 row_half_mirror row_mask:0xf bank_mask:0xf
	v_cmp_gt_f32_e32 vcc, v9, v7
	v_cndmask_b32_e32 v7, v7, v9, vcc
	v_mov_b32_dpp v8, v6 row_half_mirror row_mask:0xf bank_mask:0xf
	v_cndmask_b32_e32 v6, v6, v8, vcc
	v_mov_b32_dpp v9, v7 row_mirror row_mask:0xf bank_mask:0xf
	v_cmp_gt_f32_e32 vcc, v9, v7
	v_cndmask_b32_e32 v7, v7, v9, vcc
	v_mov_b32_dpp v8, v6 row_mirror row_mask:0xf bank_mask:0xf
	v_cndmask_b32_e32 v6, v6, v8, vcc
	v_mov_b32_dpp v9, v7 row_bcast:15 row_mask:0xf bank_mask:0xf
	v_cmp_gt_f32_e32 vcc, v9, v7
	v_mov_b32_dpp v8, v6 row_bcast:15 row_mask:0xf bank_mask:0xf
	v_cndmask_b32_e32 v7, v7, v9, vcc
	v_cndmask_b32_e32 v6, v6, v8, vcc
	s_nop 0
	v_mov_b32_dpp v9, v7 row_bcast:31 row_mask:0xf bank_mask:0xf
	v_mov_b32_dpp v8, v6 row_bcast:31 row_mask:0xf bank_mask:0xf
	v_cmp_gt_f32_e32 vcc, v9, v7
	v_cndmask_b32_e32 v6, v6, v8, vcc
	v_readlane_b32 s16, v6, 63
	s_ashr_i32 s17, s16, 31
	s_lshl_b64 s[18:19], s[16:17], 2
	s_add_u32 s18, s8, s18
	s_addc_u32 s19, s9, s19
	s_load_dword s17, s[18:19], 0x0
	v_cndmask_b32_e32 v6, v7, v9, vcc
	v_readlane_b32 s18, v6, 63
	v_cmp_eq_u32_e32 vcc, s12, v0
	s_add_i32 s12, s12, 1
	s_waitcnt lgkmcnt(0)
	v_mov_b32_e32 v6, s17
	s_lshl_b32 s17, s16, 2
	s_add_i32 s17, s17, 0
	v_mov_b32_e32 v7, s17
	v_sub_f32_e32 v6, s18, v6
	ds_write_b32 v7, v5
	v_mov_b32_e32 v7, s16
	v_cndmask_b32_e32 v1, v1, v7, vcc
	s_cmp_eq_u32 s12, s13
	v_cndmask_b32_e32 v2, v2, v6, vcc
	s_cbranch_scc1 .LBB184_11
.LBB184_6:                              ; =>This Loop Header: Depth=1
                                        ;     Child Loop BB184_8 Depth 2
	v_mov_b32_e32 v6, s12
	v_mov_b32_e32 v7, 0xff800000
	s_and_saveexec_b64 s[16:17], s[0:1]
	s_cbranch_execz .LBB184_5
; %bb.7:                                ;   in Loop: Header=BB184_6 Depth=1
	s_load_dword s20, s[2:3], 0xc
	s_mov_b64 s[18:19], 0
	v_mov_b32_e32 v6, s12
	v_mov_b32_e32 v7, 0xff800000
	;; [unrolled: 1-line block ×3, first 2 shown]
	s_waitcnt lgkmcnt(0)
	s_and_b32 s20, s20, 0xffff
	s_lshl_b32 s21, s20, 1
	s_lshl_b32 s22, s20, 3
	v_mov_b32_e32 v9, v3
	v_mov_b32_e32 v10, v0
.LBB184_8:                              ;   Parent Loop BB184_6 Depth=1
                                        ; =>  This Inner Loop Header: Depth=2
	ds_read_b64 v[12:13], v8
	v_add_u32_e32 v10, s20, v10
	v_cmp_le_i32_e32 vcc, s7, v10
	s_or_b64 s[18:19], vcc, s[18:19]
	v_add_u32_e32 v11, 1, v9
	s_waitcnt lgkmcnt(0)
	v_cmp_gt_f32_e32 vcc, v12, v7
	v_cndmask_b32_e32 v7, v7, v12, vcc
	v_cndmask_b32_e32 v6, v6, v9, vcc
	v_cmp_gt_f32_e32 vcc, v13, v7
	v_add_u32_e32 v8, s22, v8
	v_cndmask_b32_e32 v7, v7, v13, vcc
	v_add_u32_e32 v9, s21, v9
	v_cndmask_b32_e32 v6, v6, v11, vcc
	s_andn2_b64 exec, exec, s[18:19]
	s_cbranch_execnz .LBB184_8
; %bb.9:                                ;   in Loop: Header=BB184_6 Depth=1
	s_or_b64 exec, exec, s[18:19]
	s_branch .LBB184_5
.LBB184_10:
                                        ; implicit-def: $vgpr2
                                        ; implicit-def: $vgpr1
.LBB184_11:
	v_cmp_gt_i32_e32 vcc, s13, v0
	s_and_saveexec_b64 s[0:1], vcc
	s_cbranch_execz .LBB184_14
; %bb.12:
	s_load_dword s2, s[4:5], 0x38
	s_load_dwordx2 s[0:1], s[4:5], 0x20
	s_ashr_i32 s3, s6, 31
	s_load_dword s4, s[4:5], 0x4c
	v_mov_b32_e32 v4, s11
	s_waitcnt lgkmcnt(0)
	v_mul_f32_e32 v2, s2, v2
	s_mul_i32 s1, s6, s1
	s_mul_hi_u32 s2, s6, s0
	s_add_i32 s1, s2, s1
	s_mul_i32 s3, s3, s0
	s_add_i32 s5, s1, s3
	s_mul_i32 s2, s6, s0
	s_and_b32 s3, s4, 0xffff
	s_mov_b64 s[0:1], 0
	v_mov_b32_e32 v3, s5
	v_mov_b32_e32 v5, s15
.LBB184_13:                             ; =>This Inner Loop Header: Depth=1
	v_ashrrev_i32_e32 v7, 31, v0
	v_add_co_u32_e32 v6, vcc, s2, v0
	v_addc_co_u32_e32 v7, vcc, v3, v7, vcc
	v_add_u32_e32 v0, s3, v0
	v_cmp_le_i32_e32 vcc, s13, v0
	v_lshlrev_b64 v[6:7], 2, v[6:7]
	s_or_b64 s[0:1], vcc, s[0:1]
	v_add_co_u32_e32 v8, vcc, s10, v6
	v_addc_co_u32_e32 v9, vcc, v4, v7, vcc
	v_add_co_u32_e32 v6, vcc, s14, v6
	v_addc_co_u32_e32 v7, vcc, v5, v7, vcc
	global_store_dword v[8:9], v2, off
	global_store_dword v[6:7], v1, off
	s_andn2_b64 exec, exec, s[0:1]
	s_cbranch_execnz .LBB184_13
.LBB184_14:
	s_endpgm
	.section	.rodata,"a",@progbits
	.p2align	6, 0x0
	.amdhsa_kernel _ZN5aiter19grouped_topk_kernelIfDv2_fLi1ELb0ELb1ELb0EEEvPT_PKS2_PfPimiiiif
		.amdhsa_group_segment_fixed_size 0
		.amdhsa_private_segment_fixed_size 0
		.amdhsa_kernarg_size 320
		.amdhsa_user_sgpr_count 6
		.amdhsa_user_sgpr_private_segment_buffer 1
		.amdhsa_user_sgpr_dispatch_ptr 0
		.amdhsa_user_sgpr_queue_ptr 0
		.amdhsa_user_sgpr_kernarg_segment_ptr 1
		.amdhsa_user_sgpr_dispatch_id 0
		.amdhsa_user_sgpr_flat_scratch_init 0
		.amdhsa_user_sgpr_kernarg_preload_length 0
		.amdhsa_user_sgpr_kernarg_preload_offset 0
		.amdhsa_user_sgpr_private_segment_size 0
		.amdhsa_uses_dynamic_stack 0
		.amdhsa_system_sgpr_private_segment_wavefront_offset 0
		.amdhsa_system_sgpr_workgroup_id_x 1
		.amdhsa_system_sgpr_workgroup_id_y 0
		.amdhsa_system_sgpr_workgroup_id_z 0
		.amdhsa_system_sgpr_workgroup_info 0
		.amdhsa_system_vgpr_workitem_id 0
		.amdhsa_next_free_vgpr 23
		.amdhsa_next_free_sgpr 25
		.amdhsa_accum_offset 24
		.amdhsa_reserve_vcc 1
		.amdhsa_reserve_flat_scratch 0
		.amdhsa_float_round_mode_32 0
		.amdhsa_float_round_mode_16_64 0
		.amdhsa_float_denorm_mode_32 3
		.amdhsa_float_denorm_mode_16_64 3
		.amdhsa_dx10_clamp 1
		.amdhsa_ieee_mode 1
		.amdhsa_fp16_overflow 0
		.amdhsa_tg_split 0
		.amdhsa_exception_fp_ieee_invalid_op 0
		.amdhsa_exception_fp_denorm_src 0
		.amdhsa_exception_fp_ieee_div_zero 0
		.amdhsa_exception_fp_ieee_overflow 0
		.amdhsa_exception_fp_ieee_underflow 0
		.amdhsa_exception_fp_ieee_inexact 0
		.amdhsa_exception_int_div_zero 0
	.end_amdhsa_kernel
	.section	.text._ZN5aiter19grouped_topk_kernelIfDv2_fLi1ELb0ELb1ELb0EEEvPT_PKS2_PfPimiiiif,"axG",@progbits,_ZN5aiter19grouped_topk_kernelIfDv2_fLi1ELb0ELb1ELb0EEEvPT_PKS2_PfPimiiiif,comdat
.Lfunc_end184:
	.size	_ZN5aiter19grouped_topk_kernelIfDv2_fLi1ELb0ELb1ELb0EEEvPT_PKS2_PfPimiiiif, .Lfunc_end184-_ZN5aiter19grouped_topk_kernelIfDv2_fLi1ELb0ELb1ELb0EEEvPT_PKS2_PfPimiiiif
                                        ; -- End function
	.section	.AMDGPU.csdata,"",@progbits
; Kernel info:
; codeLenInByte = 1228
; NumSgprs: 29
; NumVgprs: 23
; NumAgprs: 0
; TotalNumVgprs: 23
; ScratchSize: 0
; MemoryBound: 0
; FloatMode: 240
; IeeeMode: 1
; LDSByteSize: 0 bytes/workgroup (compile time only)
; SGPRBlocks: 3
; VGPRBlocks: 2
; NumSGPRsForWavesPerEU: 29
; NumVGPRsForWavesPerEU: 23
; AccumOffset: 24
; Occupancy: 8
; WaveLimiterHint : 0
; COMPUTE_PGM_RSRC2:SCRATCH_EN: 0
; COMPUTE_PGM_RSRC2:USER_SGPR: 6
; COMPUTE_PGM_RSRC2:TRAP_HANDLER: 0
; COMPUTE_PGM_RSRC2:TGID_X_EN: 1
; COMPUTE_PGM_RSRC2:TGID_Y_EN: 0
; COMPUTE_PGM_RSRC2:TGID_Z_EN: 0
; COMPUTE_PGM_RSRC2:TIDIG_COMP_CNT: 0
; COMPUTE_PGM_RSRC3_GFX90A:ACCUM_OFFSET: 5
; COMPUTE_PGM_RSRC3_GFX90A:TG_SPLIT: 0
	.section	.text._ZN5aiter19grouped_topk_kernelIN3c104HalfEDv2_fLi1ELb0ELb1ELb0EEEvPT_PKS4_PfPimiiiif,"axG",@progbits,_ZN5aiter19grouped_topk_kernelIN3c104HalfEDv2_fLi1ELb0ELb1ELb0EEEvPT_PKS4_PfPimiiiif,comdat
	.protected	_ZN5aiter19grouped_topk_kernelIN3c104HalfEDv2_fLi1ELb0ELb1ELb0EEEvPT_PKS4_PfPimiiiif ; -- Begin function _ZN5aiter19grouped_topk_kernelIN3c104HalfEDv2_fLi1ELb0ELb1ELb0EEEvPT_PKS4_PfPimiiiif
	.globl	_ZN5aiter19grouped_topk_kernelIN3c104HalfEDv2_fLi1ELb0ELb1ELb0EEEvPT_PKS4_PfPimiiiif
	.p2align	8
	.type	_ZN5aiter19grouped_topk_kernelIN3c104HalfEDv2_fLi1ELb0ELb1ELb0EEEvPT_PKS4_PfPimiiiif,@function
_ZN5aiter19grouped_topk_kernelIN3c104HalfEDv2_fLi1ELb0ELb1ELb0EEEvPT_PKS4_PfPimiiiif: ; @_ZN5aiter19grouped_topk_kernelIN3c104HalfEDv2_fLi1ELb0ELb1ELb0EEEvPT_PKS4_PfPimiiiif
; %bb.0:
	s_load_dwordx2 s[12:13], s[4:5], 0x28
	s_load_dwordx4 s[8:11], s[4:5], 0x8
	s_load_dwordx2 s[14:15], s[4:5], 0x18
	v_lshl_add_u32 v3, v0, 3, 0
	s_waitcnt lgkmcnt(0)
	s_lshr_b32 s0, s12, 31
	s_add_i32 s0, s12, s0
	s_ashr_i32 s7, s0, 1
	v_cmp_gt_i32_e64 s[0:1], s7, v0
	s_and_saveexec_b64 s[16:17], s[0:1]
	s_cbranch_execz .LBB185_3
; %bb.1:
	s_load_dwordx2 s[2:3], s[4:5], 0x0
	s_load_dword s20, s[4:5], 0x4c
	s_mul_i32 s18, s6, s12
	s_ashr_i32 s19, s18, 31
	s_lshl_b64 s[18:19], s[18:19], 1
	s_waitcnt lgkmcnt(0)
	s_add_u32 s12, s2, s18
	s_addc_u32 s2, s3, s19
	s_and_b32 s20, s20, 0xffff
	s_mov_b32 s3, 0
	v_lshlrev_b32_e32 v2, 2, v0
	v_mov_b32_e32 v1, 0
	s_lshl_b32 s21, s20, 2
	v_lshl_add_u32 v4, v0, 3, 0
	s_lshl_b32 s22, s20, 3
	s_mov_b64 s[18:19], 0
	v_mov_b32_e32 v5, s2
	v_mov_b32_e32 v6, s9
	s_mov_b32 s23, 0x3fb8aa3b
	s_mov_b32 s24, 0x32a5705f
	;; [unrolled: 1-line block ×4, first 2 shown]
	v_mov_b32_e32 v7, 0x7f800000
	v_mov_b32_e32 v8, s3
	;; [unrolled: 1-line block ×3, first 2 shown]
.LBB185_2:                              ; =>This Inner Loop Header: Depth=1
	v_add_co_u32_e32 v10, vcc, s12, v2
	v_addc_co_u32_e32 v11, vcc, v5, v1, vcc
	v_add_co_u32_e32 v12, vcc, s8, v2
	v_addc_co_u32_e32 v13, vcc, v6, v1, vcc
	global_load_dword v14, v[10:11], off
	global_load_dword v15, v[12:13], off
	v_add_co_u32_e32 v2, vcc, s21, v2
	v_add_u32_e32 v9, s20, v9
	v_addc_co_u32_e32 v1, vcc, v1, v8, vcc
	v_cmp_le_i32_e32 vcc, s7, v9
	s_or_b64 s[18:19], vcc, s[18:19]
	s_waitcnt vmcnt(1)
	v_cvt_f32_f16_e64 v12, -v14
	v_cvt_f32_f16_sdwa v13, -v14 dst_sel:DWORD dst_unused:UNUSED_PAD src0_sel:WORD_1
	s_waitcnt vmcnt(0)
	v_cvt_f32_f16_e32 v10, v15
	v_cvt_f32_f16_sdwa v11, v15 dst_sel:DWORD dst_unused:UNUSED_PAD src0_sel:WORD_1
	v_mul_f32_e32 v15, 0x3fb8aa3b, v12
	v_mul_f32_e32 v16, 0x3fb8aa3b, v13
	v_fma_mix_f32 v17, -v14, s23, -v15 op_sel_hi:[1,0,0]
	v_rndne_f32_e32 v18, v15
	v_fma_mix_f32 v19, -v14, s23, -v16 op_sel:[1,0,0] op_sel_hi:[1,0,0]
	v_rndne_f32_e32 v20, v16
	v_fma_mix_f32 v17, -v14, s24, v17 op_sel_hi:[1,0,0]
	v_sub_f32_e32 v15, v15, v18
	v_fma_mix_f32 v14, -v14, s24, v19 op_sel:[1,0,0] op_sel_hi:[1,0,0]
	v_sub_f32_e32 v16, v16, v20
	v_add_f32_e32 v15, v15, v17
	v_add_f32_e32 v14, v16, v14
	v_cvt_i32_f32_e32 v18, v18
	v_cvt_i32_f32_e32 v19, v20
	v_exp_f32_e32 v15, v15
	v_exp_f32_e32 v14, v14
	v_cmp_ngt_f32_e32 vcc, s25, v13
	v_cmp_ngt_f32_e64 s[2:3], s25, v12
	v_ldexp_f32 v15, v15, v18
	v_ldexp_f32 v14, v14, v19
	v_cndmask_b32_e64 v15, 0, v15, s[2:3]
	v_cndmask_b32_e32 v14, 0, v14, vcc
	v_cmp_nlt_f32_e32 vcc, s26, v13
	v_cmp_nlt_f32_e64 s[2:3], s26, v12
	v_cndmask_b32_e64 v12, v7, v15, s[2:3]
	v_cndmask_b32_e32 v13, v7, v14, vcc
	v_pk_add_f32 v[12:13], v[12:13], 1.0 op_sel_hi:[1,0]
	v_div_scale_f32 v14, s[2:3], v13, v13, 1.0
	v_div_scale_f32 v16, s[2:3], v12, v12, 1.0
	v_rcp_f32_e32 v18, v14
	v_rcp_f32_e32 v19, v16
	v_div_scale_f32 v15, vcc, 1.0, v13, 1.0
	v_fma_f32 v20, -v14, v18, 1.0
	v_fma_f32 v21, -v16, v19, 1.0
	v_fmac_f32_e32 v18, v20, v18
	v_div_scale_f32 v17, s[2:3], 1.0, v12, 1.0
	v_fmac_f32_e32 v19, v21, v19
	v_mul_f32_e32 v20, v15, v18
	v_mul_f32_e32 v21, v17, v19
	v_fma_f32 v22, -v14, v20, v15
	v_fma_f32 v23, -v16, v21, v17
	v_fmac_f32_e32 v20, v22, v18
	v_fmac_f32_e32 v21, v23, v19
	v_fma_f32 v14, -v14, v20, v15
	v_fma_f32 v15, -v16, v21, v17
	v_div_fmas_f32 v14, v14, v18, v20
	s_mov_b64 vcc, s[2:3]
	v_div_fixup_f32 v13, v14, v13, 1.0
	v_div_fmas_f32 v14, v15, v19, v21
	v_div_fixup_f32 v12, v14, v12, 1.0
	v_pk_add_f32 v[10:11], v[12:13], v[10:11]
	ds_write_b64 v4, v[10:11]
	v_add_u32_e32 v4, s22, v4
	s_andn2_b64 exec, exec, s[18:19]
	s_cbranch_execnz .LBB185_2
.LBB185_3:
	s_or_b64 exec, exec, s[16:17]
	s_cmp_lt_i32 s13, 1
	s_waitcnt lgkmcnt(0)
	s_barrier
	s_cbranch_scc1 .LBB185_10
; %bb.4:
	s_add_u32 s2, s4, 64
	s_addc_u32 s3, s5, 0
	v_lshlrev_b32_e32 v4, 1, v0
	s_mov_b32 s12, 0
	v_mov_b32_e32 v5, 0
	v_mov_b32_e32 v6, 0xff800000
                                        ; implicit-def: $vgpr2
                                        ; implicit-def: $vgpr1
	s_branch .LBB185_6
.LBB185_5:                              ;   in Loop: Header=BB185_6 Depth=1
	s_or_b64 exec, exec, s[16:17]
	v_mov_b32_dpp v10, v8 quad_perm:[1,0,3,2] row_mask:0xf bank_mask:0xf
	v_cmp_lt_f32_e32 vcc, v8, v10
	v_cndmask_b32_e32 v8, v8, v10, vcc
	v_mov_b32_dpp v9, v7 quad_perm:[1,0,3,2] row_mask:0xf bank_mask:0xf
	v_cndmask_b32_e32 v7, v7, v9, vcc
	v_mov_b32_dpp v10, v8 quad_perm:[2,3,0,1] row_mask:0xf bank_mask:0xf
	v_cmp_gt_f32_e32 vcc, v10, v8
	v_cndmask_b32_e32 v8, v8, v10, vcc
	v_mov_b32_dpp v9, v7 quad_perm:[2,3,0,1] row_mask:0xf bank_mask:0xf
	v_cndmask_b32_e32 v7, v7, v9, vcc
	v_mov_b32_dpp v10, v8 row_half_mirror row_mask:0xf bank_mask:0xf
	v_cmp_gt_f32_e32 vcc, v10, v8
	v_cndmask_b32_e32 v8, v8, v10, vcc
	v_mov_b32_dpp v9, v7 row_half_mirror row_mask:0xf bank_mask:0xf
	v_cndmask_b32_e32 v7, v7, v9, vcc
	v_mov_b32_dpp v10, v8 row_mirror row_mask:0xf bank_mask:0xf
	v_cmp_gt_f32_e32 vcc, v10, v8
	v_cndmask_b32_e32 v8, v8, v10, vcc
	v_mov_b32_dpp v9, v7 row_mirror row_mask:0xf bank_mask:0xf
	v_cndmask_b32_e32 v7, v7, v9, vcc
	v_mov_b32_dpp v10, v8 row_bcast:15 row_mask:0xf bank_mask:0xf
	v_cmp_gt_f32_e32 vcc, v10, v8
	v_mov_b32_dpp v9, v7 row_bcast:15 row_mask:0xf bank_mask:0xf
	v_cndmask_b32_e32 v8, v8, v10, vcc
	v_cndmask_b32_e32 v7, v7, v9, vcc
	s_nop 0
	v_mov_b32_dpp v10, v8 row_bcast:31 row_mask:0xf bank_mask:0xf
	v_mov_b32_dpp v9, v7 row_bcast:31 row_mask:0xf bank_mask:0xf
	v_cmp_gt_f32_e32 vcc, v10, v8
	v_cndmask_b32_e32 v7, v7, v9, vcc
	v_readlane_b32 s16, v7, 63
	s_ashr_i32 s17, s16, 31
	s_lshl_b64 s[18:19], s[16:17], 1
	s_add_u32 s18, s8, s18
	s_addc_u32 s19, s9, s19
	global_load_ushort v7, v5, s[18:19]
	v_cndmask_b32_e32 v8, v8, v10, vcc
	v_readlane_b32 s17, v8, 63
	v_mov_b32_e32 v8, s16
	s_lshl_b32 s16, s16, 2
	v_cmp_eq_u32_e32 vcc, s12, v0
	s_add_i32 s12, s12, 1
	s_add_i32 s16, s16, 0
	v_cndmask_b32_e32 v1, v1, v8, vcc
	v_mov_b32_e32 v8, s16
	s_cmp_eq_u32 s12, s13
	ds_write_b32 v8, v6
	s_waitcnt vmcnt(0)
	v_cvt_f32_f16_e32 v7, v7
	v_sub_f32_e32 v7, s17, v7
	v_cndmask_b32_e32 v2, v2, v7, vcc
	s_cbranch_scc1 .LBB185_11
.LBB185_6:                              ; =>This Loop Header: Depth=1
                                        ;     Child Loop BB185_8 Depth 2
	v_mov_b32_e32 v7, s12
	v_mov_b32_e32 v8, 0xff800000
	s_and_saveexec_b64 s[16:17], s[0:1]
	s_cbranch_execz .LBB185_5
; %bb.7:                                ;   in Loop: Header=BB185_6 Depth=1
	s_load_dword s20, s[2:3], 0xc
	s_mov_b64 s[18:19], 0
	v_mov_b32_e32 v7, s12
	v_mov_b32_e32 v8, 0xff800000
	;; [unrolled: 1-line block ×3, first 2 shown]
	s_waitcnt lgkmcnt(0)
	s_and_b32 s20, s20, 0xffff
	s_lshl_b32 s21, s20, 1
	s_lshl_b32 s22, s20, 3
	v_mov_b32_e32 v10, v4
	v_mov_b32_e32 v11, v0
.LBB185_8:                              ;   Parent Loop BB185_6 Depth=1
                                        ; =>  This Inner Loop Header: Depth=2
	ds_read_b64 v[12:13], v9
	v_add_u32_e32 v11, s20, v11
	v_cmp_le_i32_e32 vcc, s7, v11
	s_or_b64 s[18:19], vcc, s[18:19]
	v_add_u32_e32 v14, 1, v10
	s_waitcnt lgkmcnt(0)
	v_cmp_gt_f32_e32 vcc, v12, v8
	v_cndmask_b32_e32 v8, v8, v12, vcc
	v_cndmask_b32_e32 v7, v7, v10, vcc
	v_cmp_gt_f32_e32 vcc, v13, v8
	v_add_u32_e32 v9, s22, v9
	v_cndmask_b32_e32 v8, v8, v13, vcc
	v_add_u32_e32 v10, s21, v10
	v_cndmask_b32_e32 v7, v7, v14, vcc
	s_andn2_b64 exec, exec, s[18:19]
	s_cbranch_execnz .LBB185_8
; %bb.9:                                ;   in Loop: Header=BB185_6 Depth=1
	s_or_b64 exec, exec, s[18:19]
	s_branch .LBB185_5
.LBB185_10:
                                        ; implicit-def: $vgpr2
                                        ; implicit-def: $vgpr1
.LBB185_11:
	v_cmp_gt_i32_e32 vcc, s13, v0
	s_and_saveexec_b64 s[0:1], vcc
	s_cbranch_execz .LBB185_14
; %bb.12:
	s_load_dword s2, s[4:5], 0x38
	s_load_dwordx2 s[0:1], s[4:5], 0x20
	s_ashr_i32 s3, s6, 31
	s_load_dword s4, s[4:5], 0x4c
	v_mov_b32_e32 v4, s11
	s_waitcnt lgkmcnt(0)
	v_mul_f32_e32 v2, s2, v2
	s_mul_i32 s1, s6, s1
	s_mul_hi_u32 s2, s6, s0
	s_add_i32 s1, s2, s1
	s_mul_i32 s3, s3, s0
	s_add_i32 s5, s1, s3
	s_mul_i32 s2, s6, s0
	s_and_b32 s3, s4, 0xffff
	s_mov_b64 s[0:1], 0
	v_mov_b32_e32 v3, s5
	v_mov_b32_e32 v5, s15
.LBB185_13:                             ; =>This Inner Loop Header: Depth=1
	v_ashrrev_i32_e32 v7, 31, v0
	v_add_co_u32_e32 v6, vcc, s2, v0
	v_addc_co_u32_e32 v7, vcc, v3, v7, vcc
	v_add_u32_e32 v0, s3, v0
	v_cmp_le_i32_e32 vcc, s13, v0
	v_lshlrev_b64 v[6:7], 2, v[6:7]
	s_or_b64 s[0:1], vcc, s[0:1]
	v_add_co_u32_e32 v8, vcc, s10, v6
	v_addc_co_u32_e32 v9, vcc, v4, v7, vcc
	v_add_co_u32_e32 v6, vcc, s14, v6
	v_addc_co_u32_e32 v7, vcc, v5, v7, vcc
	global_store_dword v[8:9], v2, off
	global_store_dword v[6:7], v1, off
	s_andn2_b64 exec, exec, s[0:1]
	s_cbranch_execnz .LBB185_13
.LBB185_14:
	s_endpgm
	.section	.rodata,"a",@progbits
	.p2align	6, 0x0
	.amdhsa_kernel _ZN5aiter19grouped_topk_kernelIN3c104HalfEDv2_fLi1ELb0ELb1ELb0EEEvPT_PKS4_PfPimiiiif
		.amdhsa_group_segment_fixed_size 0
		.amdhsa_private_segment_fixed_size 0
		.amdhsa_kernarg_size 320
		.amdhsa_user_sgpr_count 6
		.amdhsa_user_sgpr_private_segment_buffer 1
		.amdhsa_user_sgpr_dispatch_ptr 0
		.amdhsa_user_sgpr_queue_ptr 0
		.amdhsa_user_sgpr_kernarg_segment_ptr 1
		.amdhsa_user_sgpr_dispatch_id 0
		.amdhsa_user_sgpr_flat_scratch_init 0
		.amdhsa_user_sgpr_kernarg_preload_length 0
		.amdhsa_user_sgpr_kernarg_preload_offset 0
		.amdhsa_user_sgpr_private_segment_size 0
		.amdhsa_uses_dynamic_stack 0
		.amdhsa_system_sgpr_private_segment_wavefront_offset 0
		.amdhsa_system_sgpr_workgroup_id_x 1
		.amdhsa_system_sgpr_workgroup_id_y 0
		.amdhsa_system_sgpr_workgroup_id_z 0
		.amdhsa_system_sgpr_workgroup_info 0
		.amdhsa_system_vgpr_workitem_id 0
		.amdhsa_next_free_vgpr 24
		.amdhsa_next_free_sgpr 27
		.amdhsa_accum_offset 24
		.amdhsa_reserve_vcc 1
		.amdhsa_reserve_flat_scratch 0
		.amdhsa_float_round_mode_32 0
		.amdhsa_float_round_mode_16_64 0
		.amdhsa_float_denorm_mode_32 3
		.amdhsa_float_denorm_mode_16_64 3
		.amdhsa_dx10_clamp 1
		.amdhsa_ieee_mode 1
		.amdhsa_fp16_overflow 0
		.amdhsa_tg_split 0
		.amdhsa_exception_fp_ieee_invalid_op 0
		.amdhsa_exception_fp_denorm_src 0
		.amdhsa_exception_fp_ieee_div_zero 0
		.amdhsa_exception_fp_ieee_overflow 0
		.amdhsa_exception_fp_ieee_underflow 0
		.amdhsa_exception_fp_ieee_inexact 0
		.amdhsa_exception_int_div_zero 0
	.end_amdhsa_kernel
	.section	.text._ZN5aiter19grouped_topk_kernelIN3c104HalfEDv2_fLi1ELb0ELb1ELb0EEEvPT_PKS4_PfPimiiiif,"axG",@progbits,_ZN5aiter19grouped_topk_kernelIN3c104HalfEDv2_fLi1ELb0ELb1ELb0EEEvPT_PKS4_PfPimiiiif,comdat
.Lfunc_end185:
	.size	_ZN5aiter19grouped_topk_kernelIN3c104HalfEDv2_fLi1ELb0ELb1ELb0EEEvPT_PKS4_PfPimiiiif, .Lfunc_end185-_ZN5aiter19grouped_topk_kernelIN3c104HalfEDv2_fLi1ELb0ELb1ELb0EEEvPT_PKS4_PfPimiiiif
                                        ; -- End function
	.section	.AMDGPU.csdata,"",@progbits
; Kernel info:
; codeLenInByte = 1276
; NumSgprs: 31
; NumVgprs: 24
; NumAgprs: 0
; TotalNumVgprs: 24
; ScratchSize: 0
; MemoryBound: 0
; FloatMode: 240
; IeeeMode: 1
; LDSByteSize: 0 bytes/workgroup (compile time only)
; SGPRBlocks: 3
; VGPRBlocks: 2
; NumSGPRsForWavesPerEU: 31
; NumVGPRsForWavesPerEU: 24
; AccumOffset: 24
; Occupancy: 8
; WaveLimiterHint : 0
; COMPUTE_PGM_RSRC2:SCRATCH_EN: 0
; COMPUTE_PGM_RSRC2:USER_SGPR: 6
; COMPUTE_PGM_RSRC2:TRAP_HANDLER: 0
; COMPUTE_PGM_RSRC2:TGID_X_EN: 1
; COMPUTE_PGM_RSRC2:TGID_Y_EN: 0
; COMPUTE_PGM_RSRC2:TGID_Z_EN: 0
; COMPUTE_PGM_RSRC2:TIDIG_COMP_CNT: 0
; COMPUTE_PGM_RSRC3_GFX90A:ACCUM_OFFSET: 5
; COMPUTE_PGM_RSRC3_GFX90A:TG_SPLIT: 0
	.section	.text._ZN5aiter19grouped_topk_kernelIN3c108BFloat16EDv2_fLi1ELb0ELb1ELb0EEEvPT_PKS4_PfPimiiiif,"axG",@progbits,_ZN5aiter19grouped_topk_kernelIN3c108BFloat16EDv2_fLi1ELb0ELb1ELb0EEEvPT_PKS4_PfPimiiiif,comdat
	.protected	_ZN5aiter19grouped_topk_kernelIN3c108BFloat16EDv2_fLi1ELb0ELb1ELb0EEEvPT_PKS4_PfPimiiiif ; -- Begin function _ZN5aiter19grouped_topk_kernelIN3c108BFloat16EDv2_fLi1ELb0ELb1ELb0EEEvPT_PKS4_PfPimiiiif
	.globl	_ZN5aiter19grouped_topk_kernelIN3c108BFloat16EDv2_fLi1ELb0ELb1ELb0EEEvPT_PKS4_PfPimiiiif
	.p2align	8
	.type	_ZN5aiter19grouped_topk_kernelIN3c108BFloat16EDv2_fLi1ELb0ELb1ELb0EEEvPT_PKS4_PfPimiiiif,@function
_ZN5aiter19grouped_topk_kernelIN3c108BFloat16EDv2_fLi1ELb0ELb1ELb0EEEvPT_PKS4_PfPimiiiif: ; @_ZN5aiter19grouped_topk_kernelIN3c108BFloat16EDv2_fLi1ELb0ELb1ELb0EEEvPT_PKS4_PfPimiiiif
; %bb.0:
	s_load_dwordx2 s[12:13], s[4:5], 0x28
	s_load_dwordx4 s[8:11], s[4:5], 0x8
	s_load_dwordx2 s[14:15], s[4:5], 0x18
	v_lshl_add_u32 v3, v0, 3, 0
	s_waitcnt lgkmcnt(0)
	s_lshr_b32 s0, s12, 31
	s_add_i32 s0, s12, s0
	s_ashr_i32 s7, s0, 1
	v_cmp_gt_i32_e64 s[0:1], s7, v0
	s_and_saveexec_b64 s[16:17], s[0:1]
	s_cbranch_execz .LBB186_3
; %bb.1:
	s_load_dwordx2 s[2:3], s[4:5], 0x0
	s_load_dword s20, s[4:5], 0x4c
	s_mul_i32 s18, s6, s12
	s_ashr_i32 s19, s18, 31
	s_lshl_b64 s[18:19], s[18:19], 1
	s_waitcnt lgkmcnt(0)
	s_add_u32 s12, s2, s18
	s_addc_u32 s2, s3, s19
	s_and_b32 s20, s20, 0xffff
	s_mov_b32 s3, 0
	v_lshlrev_b32_e32 v2, 2, v0
	v_mov_b32_e32 v1, 0
	s_lshl_b32 s21, s20, 2
	v_lshl_add_u32 v4, v0, 3, 0
	s_lshl_b32 s22, s20, 3
	s_mov_b64 s[18:19], 0
	v_mov_b32_e32 v5, s2
	v_mov_b32_e32 v6, s9
	s_mov_b32 s23, 0xbfb8aa3b
	s_mov_b32 s24, 0x42ce8ed0
	;; [unrolled: 1-line block ×3, first 2 shown]
	v_mov_b32_e32 v7, 0x7f800000
	v_mov_b32_e32 v8, s3
	;; [unrolled: 1-line block ×3, first 2 shown]
.LBB186_2:                              ; =>This Inner Loop Header: Depth=1
	v_add_co_u32_e32 v10, vcc, s12, v2
	v_addc_co_u32_e32 v11, vcc, v5, v1, vcc
	v_add_co_u32_e32 v12, vcc, s8, v2
	v_addc_co_u32_e32 v13, vcc, v6, v1, vcc
	global_load_dword v14, v[10:11], off
	global_load_dword v15, v[12:13], off
	v_add_co_u32_e32 v2, vcc, s21, v2
	v_add_u32_e32 v9, s20, v9
	v_addc_co_u32_e32 v1, vcc, v1, v8, vcc
	v_cmp_le_i32_e32 vcc, s7, v9
	s_or_b64 s[18:19], vcc, s[18:19]
	s_waitcnt vmcnt(1)
	v_cvt_f32_u32_sdwa v12, v14 dst_sel:DWORD dst_unused:UNUSED_PAD src0_sel:WORD_1
	v_cvt_f32_u32_sdwa v13, v14 dst_sel:DWORD dst_unused:UNUSED_PAD src0_sel:WORD_0
	s_waitcnt vmcnt(0)
	v_cvt_f32_u32_sdwa v11, v15 dst_sel:DWORD dst_unused:UNUSED_PAD src0_sel:WORD_1
	v_cvt_f32_u32_sdwa v10, v15 dst_sel:DWORD dst_unused:UNUSED_PAD src0_sel:WORD_0
	v_mul_f32_e32 v14, 0xbfb8aa3b, v12
	v_mul_f32_e32 v15, 0xbfb8aa3b, v13
	v_fma_f32 v16, v12, s23, -v14
	v_rndne_f32_e32 v17, v14
	v_fma_f32 v18, v13, s23, -v15
	v_rndne_f32_e32 v19, v15
	v_fmac_f32_e32 v16, 0xb2a5705f, v12
	v_sub_f32_e32 v14, v14, v17
	v_fmac_f32_e32 v18, 0xb2a5705f, v13
	v_sub_f32_e32 v15, v15, v19
	v_add_f32_e32 v14, v14, v16
	v_add_f32_e32 v15, v15, v18
	v_cvt_i32_f32_e32 v17, v17
	v_cvt_i32_f32_e32 v19, v19
	v_exp_f32_e32 v14, v14
	v_exp_f32_e32 v15, v15
	v_cmp_nlt_f32_e32 vcc, s24, v13
	v_cmp_nlt_f32_e64 s[2:3], s24, v12
	v_ldexp_f32 v14, v14, v17
	v_ldexp_f32 v15, v15, v19
	v_cndmask_b32_e64 v14, 0, v14, s[2:3]
	v_cndmask_b32_e32 v15, 0, v15, vcc
	v_cmp_ngt_f32_e32 vcc, s25, v13
	v_cmp_ngt_f32_e64 s[2:3], s25, v12
	v_cndmask_b32_e64 v13, v7, v14, s[2:3]
	v_cndmask_b32_e32 v12, v7, v15, vcc
	v_pk_add_f32 v[12:13], v[12:13], 1.0 op_sel_hi:[1,0]
	v_div_scale_f32 v14, s[2:3], v13, v13, 1.0
	v_div_scale_f32 v16, s[2:3], v12, v12, 1.0
	v_rcp_f32_e32 v18, v14
	v_rcp_f32_e32 v19, v16
	v_div_scale_f32 v15, vcc, 1.0, v13, 1.0
	v_fma_f32 v20, -v14, v18, 1.0
	v_fma_f32 v21, -v16, v19, 1.0
	v_fmac_f32_e32 v18, v20, v18
	v_div_scale_f32 v17, s[2:3], 1.0, v12, 1.0
	v_fmac_f32_e32 v19, v21, v19
	v_mul_f32_e32 v20, v15, v18
	v_mul_f32_e32 v21, v17, v19
	v_fma_f32 v22, -v14, v20, v15
	v_fma_f32 v23, -v16, v21, v17
	v_fmac_f32_e32 v20, v22, v18
	v_fmac_f32_e32 v21, v23, v19
	v_fma_f32 v14, -v14, v20, v15
	v_fma_f32 v15, -v16, v21, v17
	v_div_fmas_f32 v14, v14, v18, v20
	s_mov_b64 vcc, s[2:3]
	v_div_fixup_f32 v13, v14, v13, 1.0
	v_div_fmas_f32 v14, v15, v19, v21
	v_div_fixup_f32 v12, v14, v12, 1.0
	v_pk_add_f32 v[10:11], v[12:13], v[10:11]
	ds_write_b64 v4, v[10:11]
	v_add_u32_e32 v4, s22, v4
	s_andn2_b64 exec, exec, s[18:19]
	s_cbranch_execnz .LBB186_2
.LBB186_3:
	s_or_b64 exec, exec, s[16:17]
	s_cmp_lt_i32 s13, 1
	s_waitcnt lgkmcnt(0)
	s_barrier
	s_cbranch_scc1 .LBB186_10
; %bb.4:
	s_add_u32 s2, s4, 64
	s_addc_u32 s3, s5, 0
	v_lshlrev_b32_e32 v4, 1, v0
	s_mov_b32 s12, 0
	v_mov_b32_e32 v5, 0
	v_mov_b32_e32 v6, 0xff800000
                                        ; implicit-def: $vgpr2
                                        ; implicit-def: $vgpr1
	s_branch .LBB186_6
.LBB186_5:                              ;   in Loop: Header=BB186_6 Depth=1
	s_or_b64 exec, exec, s[16:17]
	v_mov_b32_dpp v10, v8 quad_perm:[1,0,3,2] row_mask:0xf bank_mask:0xf
	v_cmp_lt_f32_e32 vcc, v8, v10
	v_cndmask_b32_e32 v8, v8, v10, vcc
	v_mov_b32_dpp v9, v7 quad_perm:[1,0,3,2] row_mask:0xf bank_mask:0xf
	v_cndmask_b32_e32 v7, v7, v9, vcc
	v_mov_b32_dpp v10, v8 quad_perm:[2,3,0,1] row_mask:0xf bank_mask:0xf
	v_cmp_gt_f32_e32 vcc, v10, v8
	v_cndmask_b32_e32 v8, v8, v10, vcc
	v_mov_b32_dpp v9, v7 quad_perm:[2,3,0,1] row_mask:0xf bank_mask:0xf
	v_cndmask_b32_e32 v7, v7, v9, vcc
	v_mov_b32_dpp v10, v8 row_half_mirror row_mask:0xf bank_mask:0xf
	v_cmp_gt_f32_e32 vcc, v10, v8
	v_cndmask_b32_e32 v8, v8, v10, vcc
	v_mov_b32_dpp v9, v7 row_half_mirror row_mask:0xf bank_mask:0xf
	v_cndmask_b32_e32 v7, v7, v9, vcc
	v_mov_b32_dpp v10, v8 row_mirror row_mask:0xf bank_mask:0xf
	v_cmp_gt_f32_e32 vcc, v10, v8
	v_cndmask_b32_e32 v8, v8, v10, vcc
	v_mov_b32_dpp v9, v7 row_mirror row_mask:0xf bank_mask:0xf
	v_cndmask_b32_e32 v7, v7, v9, vcc
	v_mov_b32_dpp v10, v8 row_bcast:15 row_mask:0xf bank_mask:0xf
	v_cmp_gt_f32_e32 vcc, v10, v8
	v_mov_b32_dpp v9, v7 row_bcast:15 row_mask:0xf bank_mask:0xf
	v_cndmask_b32_e32 v8, v8, v10, vcc
	v_cndmask_b32_e32 v7, v7, v9, vcc
	s_nop 0
	v_mov_b32_dpp v10, v8 row_bcast:31 row_mask:0xf bank_mask:0xf
	v_mov_b32_dpp v9, v7 row_bcast:31 row_mask:0xf bank_mask:0xf
	v_cmp_gt_f32_e32 vcc, v10, v8
	v_cndmask_b32_e32 v7, v7, v9, vcc
	v_readlane_b32 s16, v7, 63
	s_ashr_i32 s17, s16, 31
	s_lshl_b64 s[18:19], s[16:17], 1
	s_add_u32 s18, s8, s18
	s_addc_u32 s19, s9, s19
	global_load_ushort v7, v5, s[18:19]
	v_cndmask_b32_e32 v8, v8, v10, vcc
	v_readlane_b32 s17, v8, 63
	v_mov_b32_e32 v8, s16
	s_lshl_b32 s16, s16, 2
	v_cmp_eq_u32_e32 vcc, s12, v0
	s_add_i32 s16, s16, 0
	v_cndmask_b32_e32 v1, v1, v8, vcc
	v_mov_b32_e32 v8, s16
	ds_write_b32 v8, v6
	s_add_i32 s12, s12, 1
	s_cmp_eq_u32 s12, s13
	s_waitcnt vmcnt(0)
	v_and_b32_e32 v8, 0xff, v7
	v_lshlrev_b32_e32 v7, 16, v7
	v_lshlrev_b32_e32 v8, 16, v8
	v_and_b32_e32 v7, 0xff000000, v7
	v_or_b32_e32 v7, v8, v7
	v_sub_f32_e32 v7, s17, v7
	v_cndmask_b32_e32 v2, v2, v7, vcc
	s_cbranch_scc1 .LBB186_11
.LBB186_6:                              ; =>This Loop Header: Depth=1
                                        ;     Child Loop BB186_8 Depth 2
	v_mov_b32_e32 v7, s12
	v_mov_b32_e32 v8, 0xff800000
	s_and_saveexec_b64 s[16:17], s[0:1]
	s_cbranch_execz .LBB186_5
; %bb.7:                                ;   in Loop: Header=BB186_6 Depth=1
	s_load_dword s20, s[2:3], 0xc
	s_mov_b64 s[18:19], 0
	v_mov_b32_e32 v7, s12
	v_mov_b32_e32 v8, 0xff800000
	;; [unrolled: 1-line block ×3, first 2 shown]
	s_waitcnt lgkmcnt(0)
	s_and_b32 s20, s20, 0xffff
	s_lshl_b32 s21, s20, 1
	s_lshl_b32 s22, s20, 3
	v_mov_b32_e32 v10, v4
	v_mov_b32_e32 v11, v0
.LBB186_8:                              ;   Parent Loop BB186_6 Depth=1
                                        ; =>  This Inner Loop Header: Depth=2
	ds_read_b64 v[12:13], v9
	v_add_u32_e32 v11, s20, v11
	v_cmp_le_i32_e32 vcc, s7, v11
	s_or_b64 s[18:19], vcc, s[18:19]
	v_add_u32_e32 v14, 1, v10
	s_waitcnt lgkmcnt(0)
	v_cmp_gt_f32_e32 vcc, v12, v8
	v_cndmask_b32_e32 v8, v8, v12, vcc
	v_cndmask_b32_e32 v7, v7, v10, vcc
	v_cmp_gt_f32_e32 vcc, v13, v8
	v_add_u32_e32 v9, s22, v9
	v_cndmask_b32_e32 v8, v8, v13, vcc
	v_add_u32_e32 v10, s21, v10
	v_cndmask_b32_e32 v7, v7, v14, vcc
	s_andn2_b64 exec, exec, s[18:19]
	s_cbranch_execnz .LBB186_8
; %bb.9:                                ;   in Loop: Header=BB186_6 Depth=1
	s_or_b64 exec, exec, s[18:19]
	s_branch .LBB186_5
.LBB186_10:
                                        ; implicit-def: $vgpr2
                                        ; implicit-def: $vgpr1
.LBB186_11:
	v_cmp_gt_i32_e32 vcc, s13, v0
	s_and_saveexec_b64 s[0:1], vcc
	s_cbranch_execz .LBB186_14
; %bb.12:
	s_load_dword s2, s[4:5], 0x38
	s_load_dwordx2 s[0:1], s[4:5], 0x20
	s_ashr_i32 s3, s6, 31
	s_load_dword s4, s[4:5], 0x4c
	v_mov_b32_e32 v4, s11
	s_waitcnt lgkmcnt(0)
	v_mul_f32_e32 v2, s2, v2
	s_mul_i32 s1, s6, s1
	s_mul_hi_u32 s2, s6, s0
	s_add_i32 s1, s2, s1
	s_mul_i32 s3, s3, s0
	s_add_i32 s5, s1, s3
	s_mul_i32 s2, s6, s0
	s_and_b32 s3, s4, 0xffff
	s_mov_b64 s[0:1], 0
	v_mov_b32_e32 v3, s5
	v_mov_b32_e32 v5, s15
.LBB186_13:                             ; =>This Inner Loop Header: Depth=1
	v_ashrrev_i32_e32 v7, 31, v0
	v_add_co_u32_e32 v6, vcc, s2, v0
	v_addc_co_u32_e32 v7, vcc, v3, v7, vcc
	v_add_u32_e32 v0, s3, v0
	v_cmp_le_i32_e32 vcc, s13, v0
	v_lshlrev_b64 v[6:7], 2, v[6:7]
	s_or_b64 s[0:1], vcc, s[0:1]
	v_add_co_u32_e32 v8, vcc, s10, v6
	v_addc_co_u32_e32 v9, vcc, v4, v7, vcc
	v_add_co_u32_e32 v6, vcc, s14, v6
	v_addc_co_u32_e32 v7, vcc, v5, v7, vcc
	global_store_dword v[8:9], v2, off
	global_store_dword v[6:7], v1, off
	s_andn2_b64 exec, exec, s[0:1]
	s_cbranch_execnz .LBB186_13
.LBB186_14:
	s_endpgm
	.section	.rodata,"a",@progbits
	.p2align	6, 0x0
	.amdhsa_kernel _ZN5aiter19grouped_topk_kernelIN3c108BFloat16EDv2_fLi1ELb0ELb1ELb0EEEvPT_PKS4_PfPimiiiif
		.amdhsa_group_segment_fixed_size 0
		.amdhsa_private_segment_fixed_size 0
		.amdhsa_kernarg_size 320
		.amdhsa_user_sgpr_count 6
		.amdhsa_user_sgpr_private_segment_buffer 1
		.amdhsa_user_sgpr_dispatch_ptr 0
		.amdhsa_user_sgpr_queue_ptr 0
		.amdhsa_user_sgpr_kernarg_segment_ptr 1
		.amdhsa_user_sgpr_dispatch_id 0
		.amdhsa_user_sgpr_flat_scratch_init 0
		.amdhsa_user_sgpr_kernarg_preload_length 0
		.amdhsa_user_sgpr_kernarg_preload_offset 0
		.amdhsa_user_sgpr_private_segment_size 0
		.amdhsa_uses_dynamic_stack 0
		.amdhsa_system_sgpr_private_segment_wavefront_offset 0
		.amdhsa_system_sgpr_workgroup_id_x 1
		.amdhsa_system_sgpr_workgroup_id_y 0
		.amdhsa_system_sgpr_workgroup_id_z 0
		.amdhsa_system_sgpr_workgroup_info 0
		.amdhsa_system_vgpr_workitem_id 0
		.amdhsa_next_free_vgpr 24
		.amdhsa_next_free_sgpr 26
		.amdhsa_accum_offset 24
		.amdhsa_reserve_vcc 1
		.amdhsa_reserve_flat_scratch 0
		.amdhsa_float_round_mode_32 0
		.amdhsa_float_round_mode_16_64 0
		.amdhsa_float_denorm_mode_32 3
		.amdhsa_float_denorm_mode_16_64 3
		.amdhsa_dx10_clamp 1
		.amdhsa_ieee_mode 1
		.amdhsa_fp16_overflow 0
		.amdhsa_tg_split 0
		.amdhsa_exception_fp_ieee_invalid_op 0
		.amdhsa_exception_fp_denorm_src 0
		.amdhsa_exception_fp_ieee_div_zero 0
		.amdhsa_exception_fp_ieee_overflow 0
		.amdhsa_exception_fp_ieee_underflow 0
		.amdhsa_exception_fp_ieee_inexact 0
		.amdhsa_exception_int_div_zero 0
	.end_amdhsa_kernel
	.section	.text._ZN5aiter19grouped_topk_kernelIN3c108BFloat16EDv2_fLi1ELb0ELb1ELb0EEEvPT_PKS4_PfPimiiiif,"axG",@progbits,_ZN5aiter19grouped_topk_kernelIN3c108BFloat16EDv2_fLi1ELb0ELb1ELb0EEEvPT_PKS4_PfPimiiiif,comdat
.Lfunc_end186:
	.size	_ZN5aiter19grouped_topk_kernelIN3c108BFloat16EDv2_fLi1ELb0ELb1ELb0EEEvPT_PKS4_PfPimiiiif, .Lfunc_end186-_ZN5aiter19grouped_topk_kernelIN3c108BFloat16EDv2_fLi1ELb0ELb1ELb0EEEvPT_PKS4_PfPimiiiif
                                        ; -- End function
	.section	.AMDGPU.csdata,"",@progbits
; Kernel info:
; codeLenInByte = 1296
; NumSgprs: 30
; NumVgprs: 24
; NumAgprs: 0
; TotalNumVgprs: 24
; ScratchSize: 0
; MemoryBound: 0
; FloatMode: 240
; IeeeMode: 1
; LDSByteSize: 0 bytes/workgroup (compile time only)
; SGPRBlocks: 3
; VGPRBlocks: 2
; NumSGPRsForWavesPerEU: 30
; NumVGPRsForWavesPerEU: 24
; AccumOffset: 24
; Occupancy: 8
; WaveLimiterHint : 0
; COMPUTE_PGM_RSRC2:SCRATCH_EN: 0
; COMPUTE_PGM_RSRC2:USER_SGPR: 6
; COMPUTE_PGM_RSRC2:TRAP_HANDLER: 0
; COMPUTE_PGM_RSRC2:TGID_X_EN: 1
; COMPUTE_PGM_RSRC2:TGID_Y_EN: 0
; COMPUTE_PGM_RSRC2:TGID_Z_EN: 0
; COMPUTE_PGM_RSRC2:TIDIG_COMP_CNT: 0
; COMPUTE_PGM_RSRC3_GFX90A:ACCUM_OFFSET: 5
; COMPUTE_PGM_RSRC3_GFX90A:TG_SPLIT: 0
	.section	.text._ZN5aiter19grouped_topk_kernelIfDv2_fLi1ELb0ELb0ELb1EEEvPT_PKS2_PfPimiiiif,"axG",@progbits,_ZN5aiter19grouped_topk_kernelIfDv2_fLi1ELb0ELb0ELb1EEEvPT_PKS2_PfPimiiiif,comdat
	.protected	_ZN5aiter19grouped_topk_kernelIfDv2_fLi1ELb0ELb0ELb1EEEvPT_PKS2_PfPimiiiif ; -- Begin function _ZN5aiter19grouped_topk_kernelIfDv2_fLi1ELb0ELb0ELb1EEEvPT_PKS2_PfPimiiiif
	.globl	_ZN5aiter19grouped_topk_kernelIfDv2_fLi1ELb0ELb0ELb1EEEvPT_PKS2_PfPimiiiif
	.p2align	8
	.type	_ZN5aiter19grouped_topk_kernelIfDv2_fLi1ELb0ELb0ELb1EEEvPT_PKS2_PfPimiiiif,@function
_ZN5aiter19grouped_topk_kernelIfDv2_fLi1ELb0ELb0ELb1EEEvPT_PKS2_PfPimiiiif: ; @_ZN5aiter19grouped_topk_kernelIfDv2_fLi1ELb0ELb0ELb1EEEvPT_PKS2_PfPimiiiif
; %bb.0:
	s_load_dwordx2 s[2:3], s[4:5], 0x28
	s_load_dwordx4 s[8:11], s[4:5], 0x10
	v_mov_b32_e32 v1, 0xff800000
	s_waitcnt lgkmcnt(0)
	v_cmp_gt_i32_e32 vcc, s2, v0
	s_and_saveexec_b64 s[12:13], vcc
	s_cbranch_execz .LBB187_4
; %bb.1:
	s_load_dword s0, s[4:5], 0x4c
	s_load_dwordx2 s[14:15], s[4:5], 0x0
	s_mul_i32 s7, s6, s2
	v_lshl_add_u32 v2, v0, 2, 0
	s_mov_b64 s[16:17], 0
	s_waitcnt lgkmcnt(0)
	s_and_b32 s18, s0, 0xffff
	s_lshl_b32 s19, s18, 2
	v_mov_b32_e32 v1, 0xff800000
	v_mov_b32_e32 v3, s15
	;; [unrolled: 1-line block ×3, first 2 shown]
.LBB187_2:                              ; =>This Inner Loop Header: Depth=1
	v_add_u32_e32 v6, s7, v4
	v_ashrrev_i32_e32 v7, 31, v6
	v_lshlrev_b64 v[6:7], 2, v[6:7]
	v_add_co_u32_e64 v6, s[0:1], s14, v6
	v_addc_co_u32_e64 v7, s[0:1], v3, v7, s[0:1]
	global_load_dword v5, v[6:7], off
	v_add_u32_e32 v4, s18, v4
	v_cmp_le_i32_e64 s[0:1], s2, v4
	s_or_b64 s[16:17], s[0:1], s[16:17]
	s_waitcnt vmcnt(0)
	v_cmp_gt_f32_e64 s[0:1], v5, v1
	ds_write_b32 v2, v5
	v_cndmask_b32_e64 v1, v1, v5, s[0:1]
	v_add_u32_e32 v2, s19, v2
	s_andn2_b64 exec, exec, s[16:17]
	s_cbranch_execnz .LBB187_2
; %bb.3:
	s_or_b64 exec, exec, s[16:17]
.LBB187_4:
	s_or_b64 exec, exec, s[12:13]
	v_mov_b32_dpp v2, v1 quad_perm:[1,0,3,2] row_mask:0xf bank_mask:0xf
	v_cmp_lt_f32_e64 s[0:1], v1, v2
	v_cndmask_b32_e64 v1, v1, v2, s[0:1]
	v_bfrev_b32_e32 v3, 0.5
	s_waitcnt lgkmcnt(0)
	v_mov_b32_dpp v2, v1 quad_perm:[2,3,0,1] row_mask:0xf bank_mask:0xf
	v_cmp_lt_f32_e64 s[0:1], v1, v2
	v_cndmask_b32_e64 v1, v1, v2, s[0:1]
	s_barrier
	s_nop 0
	v_mov_b32_dpp v2, v1 row_half_mirror row_mask:0xf bank_mask:0xf
	v_cmp_lt_f32_e64 s[0:1], v1, v2
	v_cndmask_b32_e64 v1, v1, v2, s[0:1]
	s_nop 1
	v_mov_b32_dpp v2, v1 row_mirror row_mask:0xf bank_mask:0xf
	v_cmp_lt_f32_e64 s[0:1], v1, v2
	v_cndmask_b32_e64 v1, v1, v2, s[0:1]
	s_nop 1
	v_mov_b32_dpp v2, v1 row_bcast:15 row_mask:0xf bank_mask:0xf
	v_cmp_lt_f32_e64 s[0:1], v1, v2
	v_cndmask_b32_e64 v1, v1, v2, s[0:1]
	s_nop 1
	v_mov_b32_dpp v2, v1 row_bcast:31 row_mask:0xf bank_mask:0xf
	v_cmp_lt_f32_e64 s[0:1], v1, v2
	v_cndmask_b32_e64 v2, v1, v2, s[0:1]
	v_mbcnt_lo_u32_b32 v1, -1, 0
	v_mbcnt_hi_u32_b32 v1, -1, v1
	v_lshl_or_b32 v1, v1, 2, v3
	ds_bpermute_b32 v3, v1, v2
	v_mov_b32_e32 v2, 0
	s_and_saveexec_b64 s[12:13], vcc
	s_cbranch_execz .LBB187_8
; %bb.5:
	s_load_dword s0, s[4:5], 0x4c
	v_lshl_add_u32 v4, v0, 2, 0
	s_mov_b64 s[14:15], 0
	v_mov_b32_e32 v2, 0
	s_mov_b32 s7, 0x3fb8aa3b
	s_waitcnt lgkmcnt(0)
	s_and_b32 s16, s0, 0xffff
	s_lshl_b32 s17, s16, 2
	s_mov_b32 s18, 0xc2ce8ed0
	s_mov_b32 s19, 0x42b17218
	v_mov_b32_e32 v5, 0x7f800000
	v_mov_b32_e32 v6, v0
.LBB187_6:                              ; =>This Inner Loop Header: Depth=1
	ds_read_b32 v7, v4
	v_add_u32_e32 v6, s16, v6
	s_waitcnt lgkmcnt(0)
	v_sub_f32_e32 v7, v7, v3
	v_mul_f32_e32 v8, 0x3fb8aa3b, v7
	v_fma_f32 v9, v7, s7, -v8
	v_rndne_f32_e32 v10, v8
	v_fmac_f32_e32 v9, 0x32a5705f, v7
	v_sub_f32_e32 v8, v8, v10
	v_add_f32_e32 v8, v8, v9
	v_cvt_i32_f32_e32 v10, v10
	v_exp_f32_e32 v8, v8
	v_cmp_ngt_f32_e64 s[0:1], s18, v7
	v_ldexp_f32 v8, v8, v10
	v_cndmask_b32_e64 v8, 0, v8, s[0:1]
	v_cmp_nlt_f32_e64 s[0:1], s19, v7
	v_cndmask_b32_e64 v7, v5, v8, s[0:1]
	v_cmp_le_i32_e64 s[0:1], s2, v6
	ds_write_b32 v4, v7
	v_add_f32_e32 v2, v2, v7
	s_or_b64 s[14:15], s[0:1], s[14:15]
	v_add_u32_e32 v4, s17, v4
	s_andn2_b64 exec, exec, s[14:15]
	s_cbranch_execnz .LBB187_6
; %bb.7:
	s_or_b64 exec, exec, s[14:15]
.LBB187_8:
	s_or_b64 exec, exec, s[12:13]
	s_waitcnt lgkmcnt(0)
	v_mov_b32_dpp v3, v2 quad_perm:[1,0,3,2] row_mask:0xf bank_mask:0xf
	v_add_f32_e32 v2, v2, v3
	s_barrier
	s_nop 0
	v_mov_b32_dpp v3, v2 quad_perm:[2,3,0,1] row_mask:0xf bank_mask:0xf
	v_add_f32_e32 v2, v2, v3
	s_nop 1
	v_mov_b32_dpp v3, v2 row_half_mirror row_mask:0xf bank_mask:0xf
	v_add_f32_e32 v2, v2, v3
	s_nop 1
	v_mov_b32_dpp v3, v2 row_mirror row_mask:0xf bank_mask:0xf
	v_add_f32_e32 v2, v2, v3
	s_nop 1
	v_mov_b32_dpp v3, v2 row_bcast:15 row_mask:0xf bank_mask:0xf
	v_add_f32_e32 v2, v2, v3
	s_nop 1
	v_mov_b32_dpp v3, v2 row_bcast:31 row_mask:0xf bank_mask:0xf
	v_add_f32_e32 v2, v2, v3
	ds_bpermute_b32 v1, v1, v2
	s_and_saveexec_b64 s[0:1], vcc
	s_cbranch_execz .LBB187_11
; %bb.9:
	s_load_dword s7, s[4:5], 0x4c
	v_lshl_add_u32 v2, v0, 2, 0
	s_mov_b64 s[12:13], 0
	v_mov_b32_e32 v3, v0
	s_waitcnt lgkmcnt(0)
	s_and_b32 s7, s7, 0xffff
	s_lshl_b32 s14, s7, 2
.LBB187_10:                             ; =>This Inner Loop Header: Depth=1
	ds_read_b32 v4, v2
	v_add_u32_e32 v3, s7, v3
	v_cmp_le_i32_e32 vcc, s2, v3
	s_or_b64 s[12:13], vcc, s[12:13]
	s_waitcnt lgkmcnt(0)
	v_div_scale_f32 v5, s[16:17], v1, v1, v4
	v_rcp_f32_e32 v6, v5
	v_div_scale_f32 v7, vcc, v4, v1, v4
	v_fma_f32 v8, -v5, v6, 1.0
	v_fmac_f32_e32 v6, v8, v6
	v_mul_f32_e32 v8, v7, v6
	v_fma_f32 v9, -v5, v8, v7
	v_fmac_f32_e32 v8, v9, v6
	v_fma_f32 v5, -v5, v8, v7
	v_div_fmas_f32 v5, v5, v6, v8
	v_div_fixup_f32 v4, v5, v1, v4
	ds_write_b32 v2, v4
	v_add_u32_e32 v2, s14, v2
	s_andn2_b64 exec, exec, s[12:13]
	s_cbranch_execnz .LBB187_10
.LBB187_11:
	s_or_b64 exec, exec, s[0:1]
	s_cmp_lt_i32 s3, 1
	s_waitcnt lgkmcnt(0)
	s_barrier
	s_cbranch_scc1 .LBB187_18
; %bb.12:
	s_lshr_b32 s0, s2, 31
	s_add_i32 s0, s2, s0
	s_ashr_i32 s2, s0, 1
	s_add_u32 s12, s4, 64
	v_cmp_gt_i32_e32 vcc, s2, v0
	s_addc_u32 s13, s5, 0
	v_lshlrev_b32_e32 v3, 1, v0
	s_mov_b32 s7, 0
	v_lshl_add_u32 v4, v0, 3, 0
	v_mov_b32_e32 v5, 0xff800000
                                        ; implicit-def: $vgpr2
                                        ; implicit-def: $vgpr1
	s_branch .LBB187_14
.LBB187_13:                             ;   in Loop: Header=BB187_14 Depth=1
	s_or_b64 exec, exec, s[14:15]
	v_mov_b32_dpp v9, v7 quad_perm:[1,0,3,2] row_mask:0xf bank_mask:0xf
	v_cmp_lt_f32_e64 s[0:1], v7, v9
	v_cndmask_b32_e64 v7, v7, v9, s[0:1]
	v_mov_b32_dpp v8, v6 quad_perm:[1,0,3,2] row_mask:0xf bank_mask:0xf
	v_cndmask_b32_e64 v6, v6, v8, s[0:1]
	v_mov_b32_dpp v9, v7 quad_perm:[2,3,0,1] row_mask:0xf bank_mask:0xf
	v_cmp_gt_f32_e64 s[0:1], v9, v7
	v_cndmask_b32_e64 v7, v7, v9, s[0:1]
	v_mov_b32_dpp v8, v6 quad_perm:[2,3,0,1] row_mask:0xf bank_mask:0xf
	v_cndmask_b32_e64 v6, v6, v8, s[0:1]
	v_mov_b32_dpp v9, v7 row_half_mirror row_mask:0xf bank_mask:0xf
	v_cmp_gt_f32_e64 s[0:1], v9, v7
	v_cndmask_b32_e64 v7, v7, v9, s[0:1]
	v_mov_b32_dpp v8, v6 row_half_mirror row_mask:0xf bank_mask:0xf
	v_cndmask_b32_e64 v6, v6, v8, s[0:1]
	v_mov_b32_dpp v9, v7 row_mirror row_mask:0xf bank_mask:0xf
	v_cmp_gt_f32_e64 s[0:1], v9, v7
	v_cndmask_b32_e64 v7, v7, v9, s[0:1]
	v_mov_b32_dpp v8, v6 row_mirror row_mask:0xf bank_mask:0xf
	v_cndmask_b32_e64 v6, v6, v8, s[0:1]
	v_mov_b32_dpp v9, v7 row_bcast:15 row_mask:0xf bank_mask:0xf
	v_cmp_gt_f32_e64 s[0:1], v9, v7
	v_mov_b32_dpp v8, v6 row_bcast:15 row_mask:0xf bank_mask:0xf
	v_cndmask_b32_e64 v7, v7, v9, s[0:1]
	v_cndmask_b32_e64 v6, v6, v8, s[0:1]
	s_nop 0
	v_mov_b32_dpp v9, v7 row_bcast:31 row_mask:0xf bank_mask:0xf
	v_mov_b32_dpp v8, v6 row_bcast:31 row_mask:0xf bank_mask:0xf
	v_cmp_gt_f32_e64 s[0:1], v9, v7
	v_cndmask_b32_e64 v6, v6, v8, s[0:1]
	v_cndmask_b32_e64 v7, v7, v9, s[0:1]
	v_readlane_b32 s0, v6, 63
	s_lshl_b32 s1, s0, 2
	s_add_i32 s1, s1, 0
	v_mov_b32_e32 v6, s1
	v_readlane_b32 s14, v7, 63
	ds_write_b32 v6, v5
	v_mov_b32_e32 v6, s0
	v_cmp_eq_u32_e64 s[0:1], s7, v0
	v_cndmask_b32_e64 v1, v1, v6, s[0:1]
	v_mov_b32_e32 v6, s14
	s_add_i32 s7, s7, 1
	s_cmp_eq_u32 s7, s3
	v_cndmask_b32_e64 v2, v2, v6, s[0:1]
	s_cbranch_scc1 .LBB187_19
.LBB187_14:                             ; =>This Loop Header: Depth=1
                                        ;     Child Loop BB187_16 Depth 2
	v_mov_b32_e32 v6, s7
	v_mov_b32_e32 v7, 0xff800000
	s_and_saveexec_b64 s[14:15], vcc
	s_cbranch_execz .LBB187_13
; %bb.15:                               ;   in Loop: Header=BB187_14 Depth=1
	s_load_dword s0, s[12:13], 0xc
	s_mov_b64 s[16:17], 0
	v_mov_b32_e32 v6, s7
	v_mov_b32_e32 v7, 0xff800000
	;; [unrolled: 1-line block ×3, first 2 shown]
	s_waitcnt lgkmcnt(0)
	s_and_b32 s18, s0, 0xffff
	s_lshl_b32 s19, s18, 1
	s_lshl_b32 s20, s18, 3
	v_mov_b32_e32 v9, v3
	v_mov_b32_e32 v10, v0
.LBB187_16:                             ;   Parent Loop BB187_14 Depth=1
                                        ; =>  This Inner Loop Header: Depth=2
	ds_read_b64 v[12:13], v8
	v_add_u32_e32 v10, s18, v10
	v_cmp_le_i32_e64 s[0:1], s2, v10
	s_or_b64 s[16:17], s[0:1], s[16:17]
	v_add_u32_e32 v11, 1, v9
	s_waitcnt lgkmcnt(0)
	v_cmp_gt_f32_e64 s[0:1], v12, v7
	v_cndmask_b32_e64 v7, v7, v12, s[0:1]
	v_cndmask_b32_e64 v6, v6, v9, s[0:1]
	v_cmp_gt_f32_e64 s[0:1], v13, v7
	v_add_u32_e32 v8, s20, v8
	v_cndmask_b32_e64 v7, v7, v13, s[0:1]
	v_add_u32_e32 v9, s19, v9
	v_cndmask_b32_e64 v6, v6, v11, s[0:1]
	s_andn2_b64 exec, exec, s[16:17]
	s_cbranch_execnz .LBB187_16
; %bb.17:                               ;   in Loop: Header=BB187_14 Depth=1
	s_or_b64 exec, exec, s[16:17]
	s_branch .LBB187_13
.LBB187_18:
                                        ; implicit-def: $vgpr2
                                        ; implicit-def: $vgpr1
.LBB187_19:
	v_cmp_gt_i32_e32 vcc, s3, v0
	s_and_saveexec_b64 s[0:1], vcc
	s_cbranch_execz .LBB187_22
; %bb.20:
	s_load_dword s2, s[4:5], 0x38
	s_load_dwordx2 s[0:1], s[4:5], 0x20
	s_ashr_i32 s7, s6, 31
	s_load_dword s4, s[4:5], 0x4c
	v_mov_b32_e32 v4, s9
	s_waitcnt lgkmcnt(0)
	v_mul_f32_e32 v2, s2, v2
	s_mul_i32 s1, s6, s1
	s_mul_hi_u32 s2, s6, s0
	s_add_i32 s1, s2, s1
	s_mul_i32 s7, s7, s0
	s_add_i32 s5, s1, s7
	s_mul_i32 s2, s6, s0
	s_and_b32 s4, s4, 0xffff
	s_mov_b64 s[0:1], 0
	v_mov_b32_e32 v3, s5
	v_mov_b32_e32 v5, s11
.LBB187_21:                             ; =>This Inner Loop Header: Depth=1
	v_ashrrev_i32_e32 v7, 31, v0
	v_add_co_u32_e32 v6, vcc, s2, v0
	v_addc_co_u32_e32 v7, vcc, v3, v7, vcc
	v_add_u32_e32 v0, s4, v0
	v_cmp_le_i32_e32 vcc, s3, v0
	v_lshlrev_b64 v[6:7], 2, v[6:7]
	s_or_b64 s[0:1], vcc, s[0:1]
	v_add_co_u32_e32 v8, vcc, s8, v6
	v_addc_co_u32_e32 v9, vcc, v4, v7, vcc
	v_add_co_u32_e32 v6, vcc, s10, v6
	v_addc_co_u32_e32 v7, vcc, v5, v7, vcc
	global_store_dword v[8:9], v2, off
	global_store_dword v[6:7], v1, off
	s_andn2_b64 exec, exec, s[0:1]
	s_cbranch_execnz .LBB187_21
.LBB187_22:
	s_endpgm
	.section	.rodata,"a",@progbits
	.p2align	6, 0x0
	.amdhsa_kernel _ZN5aiter19grouped_topk_kernelIfDv2_fLi1ELb0ELb0ELb1EEEvPT_PKS2_PfPimiiiif
		.amdhsa_group_segment_fixed_size 0
		.amdhsa_private_segment_fixed_size 0
		.amdhsa_kernarg_size 320
		.amdhsa_user_sgpr_count 6
		.amdhsa_user_sgpr_private_segment_buffer 1
		.amdhsa_user_sgpr_dispatch_ptr 0
		.amdhsa_user_sgpr_queue_ptr 0
		.amdhsa_user_sgpr_kernarg_segment_ptr 1
		.amdhsa_user_sgpr_dispatch_id 0
		.amdhsa_user_sgpr_flat_scratch_init 0
		.amdhsa_user_sgpr_kernarg_preload_length 0
		.amdhsa_user_sgpr_kernarg_preload_offset 0
		.amdhsa_user_sgpr_private_segment_size 0
		.amdhsa_uses_dynamic_stack 0
		.amdhsa_system_sgpr_private_segment_wavefront_offset 0
		.amdhsa_system_sgpr_workgroup_id_x 1
		.amdhsa_system_sgpr_workgroup_id_y 0
		.amdhsa_system_sgpr_workgroup_id_z 0
		.amdhsa_system_sgpr_workgroup_info 0
		.amdhsa_system_vgpr_workitem_id 0
		.amdhsa_next_free_vgpr 14
		.amdhsa_next_free_sgpr 21
		.amdhsa_accum_offset 16
		.amdhsa_reserve_vcc 1
		.amdhsa_reserve_flat_scratch 0
		.amdhsa_float_round_mode_32 0
		.amdhsa_float_round_mode_16_64 0
		.amdhsa_float_denorm_mode_32 3
		.amdhsa_float_denorm_mode_16_64 3
		.amdhsa_dx10_clamp 1
		.amdhsa_ieee_mode 1
		.amdhsa_fp16_overflow 0
		.amdhsa_tg_split 0
		.amdhsa_exception_fp_ieee_invalid_op 0
		.amdhsa_exception_fp_denorm_src 0
		.amdhsa_exception_fp_ieee_div_zero 0
		.amdhsa_exception_fp_ieee_overflow 0
		.amdhsa_exception_fp_ieee_underflow 0
		.amdhsa_exception_fp_ieee_inexact 0
		.amdhsa_exception_int_div_zero 0
	.end_amdhsa_kernel
	.section	.text._ZN5aiter19grouped_topk_kernelIfDv2_fLi1ELb0ELb0ELb1EEEvPT_PKS2_PfPimiiiif,"axG",@progbits,_ZN5aiter19grouped_topk_kernelIfDv2_fLi1ELb0ELb0ELb1EEEvPT_PKS2_PfPimiiiif,comdat
.Lfunc_end187:
	.size	_ZN5aiter19grouped_topk_kernelIfDv2_fLi1ELb0ELb0ELb1EEEvPT_PKS2_PfPimiiiif, .Lfunc_end187-_ZN5aiter19grouped_topk_kernelIfDv2_fLi1ELb0ELb0ELb1EEEvPT_PKS2_PfPimiiiif
                                        ; -- End function
	.section	.AMDGPU.csdata,"",@progbits
; Kernel info:
; codeLenInByte = 1672
; NumSgprs: 25
; NumVgprs: 14
; NumAgprs: 0
; TotalNumVgprs: 14
; ScratchSize: 0
; MemoryBound: 0
; FloatMode: 240
; IeeeMode: 1
; LDSByteSize: 0 bytes/workgroup (compile time only)
; SGPRBlocks: 3
; VGPRBlocks: 1
; NumSGPRsForWavesPerEU: 25
; NumVGPRsForWavesPerEU: 14
; AccumOffset: 16
; Occupancy: 8
; WaveLimiterHint : 0
; COMPUTE_PGM_RSRC2:SCRATCH_EN: 0
; COMPUTE_PGM_RSRC2:USER_SGPR: 6
; COMPUTE_PGM_RSRC2:TRAP_HANDLER: 0
; COMPUTE_PGM_RSRC2:TGID_X_EN: 1
; COMPUTE_PGM_RSRC2:TGID_Y_EN: 0
; COMPUTE_PGM_RSRC2:TGID_Z_EN: 0
; COMPUTE_PGM_RSRC2:TIDIG_COMP_CNT: 0
; COMPUTE_PGM_RSRC3_GFX90A:ACCUM_OFFSET: 3
; COMPUTE_PGM_RSRC3_GFX90A:TG_SPLIT: 0
	.section	.text._ZN5aiter19grouped_topk_kernelIN3c104HalfEDv2_fLi1ELb0ELb0ELb1EEEvPT_PKS4_PfPimiiiif,"axG",@progbits,_ZN5aiter19grouped_topk_kernelIN3c104HalfEDv2_fLi1ELb0ELb0ELb1EEEvPT_PKS4_PfPimiiiif,comdat
	.protected	_ZN5aiter19grouped_topk_kernelIN3c104HalfEDv2_fLi1ELb0ELb0ELb1EEEvPT_PKS4_PfPimiiiif ; -- Begin function _ZN5aiter19grouped_topk_kernelIN3c104HalfEDv2_fLi1ELb0ELb0ELb1EEEvPT_PKS4_PfPimiiiif
	.globl	_ZN5aiter19grouped_topk_kernelIN3c104HalfEDv2_fLi1ELb0ELb0ELb1EEEvPT_PKS4_PfPimiiiif
	.p2align	8
	.type	_ZN5aiter19grouped_topk_kernelIN3c104HalfEDv2_fLi1ELb0ELb0ELb1EEEvPT_PKS4_PfPimiiiif,@function
_ZN5aiter19grouped_topk_kernelIN3c104HalfEDv2_fLi1ELb0ELb0ELb1EEEvPT_PKS4_PfPimiiiif: ; @_ZN5aiter19grouped_topk_kernelIN3c104HalfEDv2_fLi1ELb0ELb0ELb1EEEvPT_PKS4_PfPimiiiif
; %bb.0:
	s_load_dwordx2 s[2:3], s[4:5], 0x28
	s_load_dwordx4 s[8:11], s[4:5], 0x10
	v_mov_b32_e32 v1, 0xff800000
	s_waitcnt lgkmcnt(0)
	v_cmp_gt_i32_e32 vcc, s2, v0
	s_and_saveexec_b64 s[12:13], vcc
	s_cbranch_execz .LBB188_4
; %bb.1:
	s_load_dword s0, s[4:5], 0x4c
	s_load_dwordx2 s[14:15], s[4:5], 0x0
	s_mul_i32 s7, s6, s2
	v_lshl_add_u32 v2, v0, 2, 0
	s_mov_b64 s[16:17], 0
	s_waitcnt lgkmcnt(0)
	s_and_b32 s18, s0, 0xffff
	s_lshl_b32 s19, s18, 2
	v_mov_b32_e32 v1, 0xff800000
	v_mov_b32_e32 v3, s15
	;; [unrolled: 1-line block ×3, first 2 shown]
.LBB188_2:                              ; =>This Inner Loop Header: Depth=1
	v_add_u32_e32 v6, s7, v4
	v_ashrrev_i32_e32 v7, 31, v6
	v_lshlrev_b64 v[6:7], 1, v[6:7]
	v_add_co_u32_e64 v6, s[0:1], s14, v6
	v_addc_co_u32_e64 v7, s[0:1], v3, v7, s[0:1]
	global_load_ushort v5, v[6:7], off
	v_add_u32_e32 v4, s18, v4
	v_cmp_le_i32_e64 s[0:1], s2, v4
	s_or_b64 s[16:17], s[0:1], s[16:17]
	s_waitcnt vmcnt(0)
	v_cvt_f32_f16_e32 v5, v5
	v_cmp_lt_f32_e64 s[0:1], v1, v5
	ds_write_b32 v2, v5
	v_cndmask_b32_e64 v1, v1, v5, s[0:1]
	v_add_u32_e32 v2, s19, v2
	s_andn2_b64 exec, exec, s[16:17]
	s_cbranch_execnz .LBB188_2
; %bb.3:
	s_or_b64 exec, exec, s[16:17]
.LBB188_4:
	s_or_b64 exec, exec, s[12:13]
	v_mov_b32_dpp v2, v1 quad_perm:[1,0,3,2] row_mask:0xf bank_mask:0xf
	v_cmp_lt_f32_e64 s[0:1], v1, v2
	v_cndmask_b32_e64 v1, v1, v2, s[0:1]
	v_bfrev_b32_e32 v3, 0.5
	s_waitcnt lgkmcnt(0)
	v_mov_b32_dpp v2, v1 quad_perm:[2,3,0,1] row_mask:0xf bank_mask:0xf
	v_cmp_lt_f32_e64 s[0:1], v1, v2
	v_cndmask_b32_e64 v1, v1, v2, s[0:1]
	s_barrier
	s_nop 0
	v_mov_b32_dpp v2, v1 row_half_mirror row_mask:0xf bank_mask:0xf
	v_cmp_lt_f32_e64 s[0:1], v1, v2
	v_cndmask_b32_e64 v1, v1, v2, s[0:1]
	s_nop 1
	v_mov_b32_dpp v2, v1 row_mirror row_mask:0xf bank_mask:0xf
	v_cmp_lt_f32_e64 s[0:1], v1, v2
	v_cndmask_b32_e64 v1, v1, v2, s[0:1]
	s_nop 1
	v_mov_b32_dpp v2, v1 row_bcast:15 row_mask:0xf bank_mask:0xf
	v_cmp_lt_f32_e64 s[0:1], v1, v2
	v_cndmask_b32_e64 v1, v1, v2, s[0:1]
	s_nop 1
	v_mov_b32_dpp v2, v1 row_bcast:31 row_mask:0xf bank_mask:0xf
	v_cmp_lt_f32_e64 s[0:1], v1, v2
	v_cndmask_b32_e64 v2, v1, v2, s[0:1]
	v_mbcnt_lo_u32_b32 v1, -1, 0
	v_mbcnt_hi_u32_b32 v1, -1, v1
	v_lshl_or_b32 v1, v1, 2, v3
	ds_bpermute_b32 v3, v1, v2
	v_mov_b32_e32 v2, 0
	s_and_saveexec_b64 s[12:13], vcc
	s_cbranch_execz .LBB188_8
; %bb.5:
	s_load_dword s0, s[4:5], 0x4c
	v_lshl_add_u32 v4, v0, 2, 0
	s_mov_b64 s[14:15], 0
	v_mov_b32_e32 v2, 0
	s_mov_b32 s7, 0x3fb8aa3b
	s_waitcnt lgkmcnt(0)
	s_and_b32 s16, s0, 0xffff
	s_lshl_b32 s17, s16, 2
	s_mov_b32 s18, 0xc2ce8ed0
	s_mov_b32 s19, 0x42b17218
	v_mov_b32_e32 v5, 0x7f800000
	v_mov_b32_e32 v6, v0
.LBB188_6:                              ; =>This Inner Loop Header: Depth=1
	ds_read_b32 v7, v4
	v_add_u32_e32 v6, s16, v6
	s_waitcnt lgkmcnt(0)
	v_sub_f32_e32 v7, v7, v3
	v_mul_f32_e32 v8, 0x3fb8aa3b, v7
	v_fma_f32 v9, v7, s7, -v8
	v_rndne_f32_e32 v10, v8
	v_fmac_f32_e32 v9, 0x32a5705f, v7
	v_sub_f32_e32 v8, v8, v10
	v_add_f32_e32 v8, v8, v9
	v_cvt_i32_f32_e32 v10, v10
	v_exp_f32_e32 v8, v8
	v_cmp_ngt_f32_e64 s[0:1], s18, v7
	v_ldexp_f32 v8, v8, v10
	v_cndmask_b32_e64 v8, 0, v8, s[0:1]
	v_cmp_nlt_f32_e64 s[0:1], s19, v7
	v_cndmask_b32_e64 v7, v5, v8, s[0:1]
	v_cmp_le_i32_e64 s[0:1], s2, v6
	ds_write_b32 v4, v7
	v_add_f32_e32 v2, v2, v7
	s_or_b64 s[14:15], s[0:1], s[14:15]
	v_add_u32_e32 v4, s17, v4
	s_andn2_b64 exec, exec, s[14:15]
	s_cbranch_execnz .LBB188_6
; %bb.7:
	s_or_b64 exec, exec, s[14:15]
.LBB188_8:
	s_or_b64 exec, exec, s[12:13]
	s_waitcnt lgkmcnt(0)
	v_mov_b32_dpp v3, v2 quad_perm:[1,0,3,2] row_mask:0xf bank_mask:0xf
	v_add_f32_e32 v2, v2, v3
	s_barrier
	s_nop 0
	v_mov_b32_dpp v3, v2 quad_perm:[2,3,0,1] row_mask:0xf bank_mask:0xf
	v_add_f32_e32 v2, v2, v3
	s_nop 1
	v_mov_b32_dpp v3, v2 row_half_mirror row_mask:0xf bank_mask:0xf
	v_add_f32_e32 v2, v2, v3
	s_nop 1
	v_mov_b32_dpp v3, v2 row_mirror row_mask:0xf bank_mask:0xf
	v_add_f32_e32 v2, v2, v3
	s_nop 1
	v_mov_b32_dpp v3, v2 row_bcast:15 row_mask:0xf bank_mask:0xf
	v_add_f32_e32 v2, v2, v3
	s_nop 1
	v_mov_b32_dpp v3, v2 row_bcast:31 row_mask:0xf bank_mask:0xf
	v_add_f32_e32 v2, v2, v3
	ds_bpermute_b32 v1, v1, v2
	s_and_saveexec_b64 s[0:1], vcc
	s_cbranch_execz .LBB188_11
; %bb.9:
	s_load_dword s7, s[4:5], 0x4c
	v_lshl_add_u32 v2, v0, 2, 0
	s_mov_b64 s[12:13], 0
	v_mov_b32_e32 v3, v0
	s_waitcnt lgkmcnt(0)
	s_and_b32 s7, s7, 0xffff
	s_lshl_b32 s14, s7, 2
.LBB188_10:                             ; =>This Inner Loop Header: Depth=1
	ds_read_b32 v4, v2
	v_add_u32_e32 v3, s7, v3
	v_cmp_le_i32_e32 vcc, s2, v3
	s_or_b64 s[12:13], vcc, s[12:13]
	s_waitcnt lgkmcnt(0)
	v_div_scale_f32 v5, s[16:17], v1, v1, v4
	v_rcp_f32_e32 v6, v5
	v_div_scale_f32 v7, vcc, v4, v1, v4
	v_fma_f32 v8, -v5, v6, 1.0
	v_fmac_f32_e32 v6, v8, v6
	v_mul_f32_e32 v8, v7, v6
	v_fma_f32 v9, -v5, v8, v7
	v_fmac_f32_e32 v8, v9, v6
	v_fma_f32 v5, -v5, v8, v7
	v_div_fmas_f32 v5, v5, v6, v8
	v_div_fixup_f32 v4, v5, v1, v4
	ds_write_b32 v2, v4
	v_add_u32_e32 v2, s14, v2
	s_andn2_b64 exec, exec, s[12:13]
	s_cbranch_execnz .LBB188_10
.LBB188_11:
	s_or_b64 exec, exec, s[0:1]
	s_cmp_lt_i32 s3, 1
	s_waitcnt lgkmcnt(0)
	s_barrier
	s_cbranch_scc1 .LBB188_18
; %bb.12:
	s_lshr_b32 s0, s2, 31
	s_add_i32 s0, s2, s0
	s_ashr_i32 s2, s0, 1
	s_add_u32 s12, s4, 64
	v_cmp_gt_i32_e32 vcc, s2, v0
	s_addc_u32 s13, s5, 0
	v_lshlrev_b32_e32 v3, 1, v0
	s_mov_b32 s7, 0
	v_lshl_add_u32 v4, v0, 3, 0
	v_mov_b32_e32 v5, 0xff800000
                                        ; implicit-def: $vgpr2
                                        ; implicit-def: $vgpr1
	s_branch .LBB188_14
.LBB188_13:                             ;   in Loop: Header=BB188_14 Depth=1
	s_or_b64 exec, exec, s[14:15]
	v_mov_b32_dpp v9, v7 quad_perm:[1,0,3,2] row_mask:0xf bank_mask:0xf
	v_cmp_lt_f32_e64 s[0:1], v7, v9
	v_cndmask_b32_e64 v7, v7, v9, s[0:1]
	v_mov_b32_dpp v8, v6 quad_perm:[1,0,3,2] row_mask:0xf bank_mask:0xf
	v_cndmask_b32_e64 v6, v6, v8, s[0:1]
	v_mov_b32_dpp v9, v7 quad_perm:[2,3,0,1] row_mask:0xf bank_mask:0xf
	v_cmp_gt_f32_e64 s[0:1], v9, v7
	v_cndmask_b32_e64 v7, v7, v9, s[0:1]
	v_mov_b32_dpp v8, v6 quad_perm:[2,3,0,1] row_mask:0xf bank_mask:0xf
	v_cndmask_b32_e64 v6, v6, v8, s[0:1]
	v_mov_b32_dpp v9, v7 row_half_mirror row_mask:0xf bank_mask:0xf
	v_cmp_gt_f32_e64 s[0:1], v9, v7
	v_cndmask_b32_e64 v7, v7, v9, s[0:1]
	v_mov_b32_dpp v8, v6 row_half_mirror row_mask:0xf bank_mask:0xf
	v_cndmask_b32_e64 v6, v6, v8, s[0:1]
	v_mov_b32_dpp v9, v7 row_mirror row_mask:0xf bank_mask:0xf
	v_cmp_gt_f32_e64 s[0:1], v9, v7
	v_cndmask_b32_e64 v7, v7, v9, s[0:1]
	v_mov_b32_dpp v8, v6 row_mirror row_mask:0xf bank_mask:0xf
	v_cndmask_b32_e64 v6, v6, v8, s[0:1]
	v_mov_b32_dpp v9, v7 row_bcast:15 row_mask:0xf bank_mask:0xf
	v_cmp_gt_f32_e64 s[0:1], v9, v7
	v_mov_b32_dpp v8, v6 row_bcast:15 row_mask:0xf bank_mask:0xf
	v_cndmask_b32_e64 v7, v7, v9, s[0:1]
	v_cndmask_b32_e64 v6, v6, v8, s[0:1]
	s_nop 0
	v_mov_b32_dpp v9, v7 row_bcast:31 row_mask:0xf bank_mask:0xf
	v_mov_b32_dpp v8, v6 row_bcast:31 row_mask:0xf bank_mask:0xf
	v_cmp_gt_f32_e64 s[0:1], v9, v7
	v_cndmask_b32_e64 v6, v6, v8, s[0:1]
	v_cndmask_b32_e64 v7, v7, v9, s[0:1]
	v_readlane_b32 s0, v6, 63
	s_lshl_b32 s1, s0, 2
	s_add_i32 s1, s1, 0
	v_mov_b32_e32 v6, s1
	v_readlane_b32 s14, v7, 63
	ds_write_b32 v6, v5
	v_mov_b32_e32 v6, s0
	v_cmp_eq_u32_e64 s[0:1], s7, v0
	v_cndmask_b32_e64 v1, v1, v6, s[0:1]
	v_mov_b32_e32 v6, s14
	s_add_i32 s7, s7, 1
	s_cmp_eq_u32 s7, s3
	v_cndmask_b32_e64 v2, v2, v6, s[0:1]
	s_cbranch_scc1 .LBB188_19
.LBB188_14:                             ; =>This Loop Header: Depth=1
                                        ;     Child Loop BB188_16 Depth 2
	v_mov_b32_e32 v6, s7
	v_mov_b32_e32 v7, 0xff800000
	s_and_saveexec_b64 s[14:15], vcc
	s_cbranch_execz .LBB188_13
; %bb.15:                               ;   in Loop: Header=BB188_14 Depth=1
	s_load_dword s0, s[12:13], 0xc
	s_mov_b64 s[16:17], 0
	v_mov_b32_e32 v6, s7
	v_mov_b32_e32 v7, 0xff800000
	;; [unrolled: 1-line block ×3, first 2 shown]
	s_waitcnt lgkmcnt(0)
	s_and_b32 s18, s0, 0xffff
	s_lshl_b32 s19, s18, 1
	s_lshl_b32 s20, s18, 3
	v_mov_b32_e32 v9, v3
	v_mov_b32_e32 v10, v0
.LBB188_16:                             ;   Parent Loop BB188_14 Depth=1
                                        ; =>  This Inner Loop Header: Depth=2
	ds_read_b64 v[12:13], v8
	v_add_u32_e32 v10, s18, v10
	v_cmp_le_i32_e64 s[0:1], s2, v10
	s_or_b64 s[16:17], s[0:1], s[16:17]
	v_add_u32_e32 v11, 1, v9
	s_waitcnt lgkmcnt(0)
	v_cmp_gt_f32_e64 s[0:1], v12, v7
	v_cndmask_b32_e64 v7, v7, v12, s[0:1]
	v_cndmask_b32_e64 v6, v6, v9, s[0:1]
	v_cmp_gt_f32_e64 s[0:1], v13, v7
	v_add_u32_e32 v8, s20, v8
	v_cndmask_b32_e64 v7, v7, v13, s[0:1]
	v_add_u32_e32 v9, s19, v9
	v_cndmask_b32_e64 v6, v6, v11, s[0:1]
	s_andn2_b64 exec, exec, s[16:17]
	s_cbranch_execnz .LBB188_16
; %bb.17:                               ;   in Loop: Header=BB188_14 Depth=1
	s_or_b64 exec, exec, s[16:17]
	s_branch .LBB188_13
.LBB188_18:
                                        ; implicit-def: $vgpr2
                                        ; implicit-def: $vgpr1
.LBB188_19:
	v_cmp_gt_i32_e32 vcc, s3, v0
	s_and_saveexec_b64 s[0:1], vcc
	s_cbranch_execz .LBB188_22
; %bb.20:
	s_load_dword s2, s[4:5], 0x38
	s_load_dwordx2 s[0:1], s[4:5], 0x20
	s_ashr_i32 s7, s6, 31
	s_load_dword s4, s[4:5], 0x4c
	v_mov_b32_e32 v4, s9
	s_waitcnt lgkmcnt(0)
	v_mul_f32_e32 v2, s2, v2
	s_mul_i32 s1, s6, s1
	s_mul_hi_u32 s2, s6, s0
	s_add_i32 s1, s2, s1
	s_mul_i32 s7, s7, s0
	s_add_i32 s5, s1, s7
	s_mul_i32 s2, s6, s0
	s_and_b32 s4, s4, 0xffff
	s_mov_b64 s[0:1], 0
	v_mov_b32_e32 v3, s5
	v_mov_b32_e32 v5, s11
.LBB188_21:                             ; =>This Inner Loop Header: Depth=1
	v_ashrrev_i32_e32 v7, 31, v0
	v_add_co_u32_e32 v6, vcc, s2, v0
	v_addc_co_u32_e32 v7, vcc, v3, v7, vcc
	v_add_u32_e32 v0, s4, v0
	v_cmp_le_i32_e32 vcc, s3, v0
	v_lshlrev_b64 v[6:7], 2, v[6:7]
	s_or_b64 s[0:1], vcc, s[0:1]
	v_add_co_u32_e32 v8, vcc, s8, v6
	v_addc_co_u32_e32 v9, vcc, v4, v7, vcc
	v_add_co_u32_e32 v6, vcc, s10, v6
	v_addc_co_u32_e32 v7, vcc, v5, v7, vcc
	global_store_dword v[8:9], v2, off
	global_store_dword v[6:7], v1, off
	s_andn2_b64 exec, exec, s[0:1]
	s_cbranch_execnz .LBB188_21
.LBB188_22:
	s_endpgm
	.section	.rodata,"a",@progbits
	.p2align	6, 0x0
	.amdhsa_kernel _ZN5aiter19grouped_topk_kernelIN3c104HalfEDv2_fLi1ELb0ELb0ELb1EEEvPT_PKS4_PfPimiiiif
		.amdhsa_group_segment_fixed_size 0
		.amdhsa_private_segment_fixed_size 0
		.amdhsa_kernarg_size 320
		.amdhsa_user_sgpr_count 6
		.amdhsa_user_sgpr_private_segment_buffer 1
		.amdhsa_user_sgpr_dispatch_ptr 0
		.amdhsa_user_sgpr_queue_ptr 0
		.amdhsa_user_sgpr_kernarg_segment_ptr 1
		.amdhsa_user_sgpr_dispatch_id 0
		.amdhsa_user_sgpr_flat_scratch_init 0
		.amdhsa_user_sgpr_kernarg_preload_length 0
		.amdhsa_user_sgpr_kernarg_preload_offset 0
		.amdhsa_user_sgpr_private_segment_size 0
		.amdhsa_uses_dynamic_stack 0
		.amdhsa_system_sgpr_private_segment_wavefront_offset 0
		.amdhsa_system_sgpr_workgroup_id_x 1
		.amdhsa_system_sgpr_workgroup_id_y 0
		.amdhsa_system_sgpr_workgroup_id_z 0
		.amdhsa_system_sgpr_workgroup_info 0
		.amdhsa_system_vgpr_workitem_id 0
		.amdhsa_next_free_vgpr 14
		.amdhsa_next_free_sgpr 21
		.amdhsa_accum_offset 16
		.amdhsa_reserve_vcc 1
		.amdhsa_reserve_flat_scratch 0
		.amdhsa_float_round_mode_32 0
		.amdhsa_float_round_mode_16_64 0
		.amdhsa_float_denorm_mode_32 3
		.amdhsa_float_denorm_mode_16_64 3
		.amdhsa_dx10_clamp 1
		.amdhsa_ieee_mode 1
		.amdhsa_fp16_overflow 0
		.amdhsa_tg_split 0
		.amdhsa_exception_fp_ieee_invalid_op 0
		.amdhsa_exception_fp_denorm_src 0
		.amdhsa_exception_fp_ieee_div_zero 0
		.amdhsa_exception_fp_ieee_overflow 0
		.amdhsa_exception_fp_ieee_underflow 0
		.amdhsa_exception_fp_ieee_inexact 0
		.amdhsa_exception_int_div_zero 0
	.end_amdhsa_kernel
	.section	.text._ZN5aiter19grouped_topk_kernelIN3c104HalfEDv2_fLi1ELb0ELb0ELb1EEEvPT_PKS4_PfPimiiiif,"axG",@progbits,_ZN5aiter19grouped_topk_kernelIN3c104HalfEDv2_fLi1ELb0ELb0ELb1EEEvPT_PKS4_PfPimiiiif,comdat
.Lfunc_end188:
	.size	_ZN5aiter19grouped_topk_kernelIN3c104HalfEDv2_fLi1ELb0ELb0ELb1EEEvPT_PKS4_PfPimiiiif, .Lfunc_end188-_ZN5aiter19grouped_topk_kernelIN3c104HalfEDv2_fLi1ELb0ELb0ELb1EEEvPT_PKS4_PfPimiiiif
                                        ; -- End function
	.section	.AMDGPU.csdata,"",@progbits
; Kernel info:
; codeLenInByte = 1676
; NumSgprs: 25
; NumVgprs: 14
; NumAgprs: 0
; TotalNumVgprs: 14
; ScratchSize: 0
; MemoryBound: 0
; FloatMode: 240
; IeeeMode: 1
; LDSByteSize: 0 bytes/workgroup (compile time only)
; SGPRBlocks: 3
; VGPRBlocks: 1
; NumSGPRsForWavesPerEU: 25
; NumVGPRsForWavesPerEU: 14
; AccumOffset: 16
; Occupancy: 8
; WaveLimiterHint : 0
; COMPUTE_PGM_RSRC2:SCRATCH_EN: 0
; COMPUTE_PGM_RSRC2:USER_SGPR: 6
; COMPUTE_PGM_RSRC2:TRAP_HANDLER: 0
; COMPUTE_PGM_RSRC2:TGID_X_EN: 1
; COMPUTE_PGM_RSRC2:TGID_Y_EN: 0
; COMPUTE_PGM_RSRC2:TGID_Z_EN: 0
; COMPUTE_PGM_RSRC2:TIDIG_COMP_CNT: 0
; COMPUTE_PGM_RSRC3_GFX90A:ACCUM_OFFSET: 3
; COMPUTE_PGM_RSRC3_GFX90A:TG_SPLIT: 0
	.section	.text._ZN5aiter19grouped_topk_kernelIN3c108BFloat16EDv2_fLi1ELb0ELb0ELb1EEEvPT_PKS4_PfPimiiiif,"axG",@progbits,_ZN5aiter19grouped_topk_kernelIN3c108BFloat16EDv2_fLi1ELb0ELb0ELb1EEEvPT_PKS4_PfPimiiiif,comdat
	.protected	_ZN5aiter19grouped_topk_kernelIN3c108BFloat16EDv2_fLi1ELb0ELb0ELb1EEEvPT_PKS4_PfPimiiiif ; -- Begin function _ZN5aiter19grouped_topk_kernelIN3c108BFloat16EDv2_fLi1ELb0ELb0ELb1EEEvPT_PKS4_PfPimiiiif
	.globl	_ZN5aiter19grouped_topk_kernelIN3c108BFloat16EDv2_fLi1ELb0ELb0ELb1EEEvPT_PKS4_PfPimiiiif
	.p2align	8
	.type	_ZN5aiter19grouped_topk_kernelIN3c108BFloat16EDv2_fLi1ELb0ELb0ELb1EEEvPT_PKS4_PfPimiiiif,@function
_ZN5aiter19grouped_topk_kernelIN3c108BFloat16EDv2_fLi1ELb0ELb0ELb1EEEvPT_PKS4_PfPimiiiif: ; @_ZN5aiter19grouped_topk_kernelIN3c108BFloat16EDv2_fLi1ELb0ELb0ELb1EEEvPT_PKS4_PfPimiiiif
; %bb.0:
	s_load_dwordx2 s[2:3], s[4:5], 0x28
	s_load_dwordx4 s[8:11], s[4:5], 0x10
	v_mov_b32_e32 v1, 0xff800000
	s_waitcnt lgkmcnt(0)
	v_cmp_gt_i32_e32 vcc, s2, v0
	s_and_saveexec_b64 s[12:13], vcc
	s_cbranch_execz .LBB189_4
; %bb.1:
	s_load_dword s0, s[4:5], 0x4c
	s_load_dwordx2 s[14:15], s[4:5], 0x0
	s_mul_i32 s7, s6, s2
	v_lshl_add_u32 v2, v0, 2, 0
	s_mov_b64 s[16:17], 0
	s_waitcnt lgkmcnt(0)
	s_and_b32 s18, s0, 0xffff
	s_lshl_b32 s19, s18, 2
	v_mov_b32_e32 v1, 0xff800000
	v_mov_b32_e32 v3, s15
	v_mov_b32_e32 v4, v0
.LBB189_2:                              ; =>This Inner Loop Header: Depth=1
	v_add_u32_e32 v6, s7, v4
	v_ashrrev_i32_e32 v7, 31, v6
	v_lshlrev_b64 v[6:7], 1, v[6:7]
	v_add_co_u32_e64 v6, s[0:1], s14, v6
	v_addc_co_u32_e64 v7, s[0:1], v3, v7, s[0:1]
	global_load_ushort v5, v[6:7], off
	v_add_u32_e32 v4, s18, v4
	v_cmp_le_i32_e64 s[0:1], s2, v4
	s_or_b64 s[16:17], s[0:1], s[16:17]
	s_waitcnt vmcnt(0)
	v_lshrrev_b16_e32 v6, 8, v5
	v_and_b32_e32 v5, 0xff, v5
	v_lshlrev_b32_e32 v5, 16, v5
	v_lshl_or_b32 v5, v6, 24, v5
	v_cmp_lt_f32_e64 s[0:1], v1, v5
	ds_write_b32 v2, v5
	v_cndmask_b32_e64 v1, v1, v5, s[0:1]
	v_add_u32_e32 v2, s19, v2
	s_andn2_b64 exec, exec, s[16:17]
	s_cbranch_execnz .LBB189_2
; %bb.3:
	s_or_b64 exec, exec, s[16:17]
.LBB189_4:
	s_or_b64 exec, exec, s[12:13]
	v_mov_b32_dpp v2, v1 quad_perm:[1,0,3,2] row_mask:0xf bank_mask:0xf
	v_cmp_lt_f32_e64 s[0:1], v1, v2
	v_cndmask_b32_e64 v1, v1, v2, s[0:1]
	v_bfrev_b32_e32 v3, 0.5
	s_waitcnt lgkmcnt(0)
	v_mov_b32_dpp v2, v1 quad_perm:[2,3,0,1] row_mask:0xf bank_mask:0xf
	v_cmp_lt_f32_e64 s[0:1], v1, v2
	v_cndmask_b32_e64 v1, v1, v2, s[0:1]
	s_barrier
	s_nop 0
	v_mov_b32_dpp v2, v1 row_half_mirror row_mask:0xf bank_mask:0xf
	v_cmp_lt_f32_e64 s[0:1], v1, v2
	v_cndmask_b32_e64 v1, v1, v2, s[0:1]
	s_nop 1
	v_mov_b32_dpp v2, v1 row_mirror row_mask:0xf bank_mask:0xf
	v_cmp_lt_f32_e64 s[0:1], v1, v2
	v_cndmask_b32_e64 v1, v1, v2, s[0:1]
	s_nop 1
	v_mov_b32_dpp v2, v1 row_bcast:15 row_mask:0xf bank_mask:0xf
	v_cmp_lt_f32_e64 s[0:1], v1, v2
	v_cndmask_b32_e64 v1, v1, v2, s[0:1]
	s_nop 1
	v_mov_b32_dpp v2, v1 row_bcast:31 row_mask:0xf bank_mask:0xf
	v_cmp_lt_f32_e64 s[0:1], v1, v2
	v_cndmask_b32_e64 v2, v1, v2, s[0:1]
	v_mbcnt_lo_u32_b32 v1, -1, 0
	v_mbcnt_hi_u32_b32 v1, -1, v1
	v_lshl_or_b32 v1, v1, 2, v3
	ds_bpermute_b32 v3, v1, v2
	v_mov_b32_e32 v2, 0
	s_and_saveexec_b64 s[12:13], vcc
	s_cbranch_execz .LBB189_8
; %bb.5:
	s_load_dword s0, s[4:5], 0x4c
	v_lshl_add_u32 v4, v0, 2, 0
	s_mov_b64 s[14:15], 0
	v_mov_b32_e32 v2, 0
	s_mov_b32 s7, 0x3fb8aa3b
	s_waitcnt lgkmcnt(0)
	s_and_b32 s16, s0, 0xffff
	s_lshl_b32 s17, s16, 2
	s_mov_b32 s18, 0xc2ce8ed0
	s_mov_b32 s19, 0x42b17218
	v_mov_b32_e32 v5, 0x7f800000
	v_mov_b32_e32 v6, v0
.LBB189_6:                              ; =>This Inner Loop Header: Depth=1
	ds_read_b32 v7, v4
	v_add_u32_e32 v6, s16, v6
	s_waitcnt lgkmcnt(0)
	v_sub_f32_e32 v7, v7, v3
	v_mul_f32_e32 v8, 0x3fb8aa3b, v7
	v_fma_f32 v9, v7, s7, -v8
	v_rndne_f32_e32 v10, v8
	v_fmac_f32_e32 v9, 0x32a5705f, v7
	v_sub_f32_e32 v8, v8, v10
	v_add_f32_e32 v8, v8, v9
	v_cvt_i32_f32_e32 v10, v10
	v_exp_f32_e32 v8, v8
	v_cmp_ngt_f32_e64 s[0:1], s18, v7
	v_ldexp_f32 v8, v8, v10
	v_cndmask_b32_e64 v8, 0, v8, s[0:1]
	v_cmp_nlt_f32_e64 s[0:1], s19, v7
	v_cndmask_b32_e64 v7, v5, v8, s[0:1]
	v_cmp_le_i32_e64 s[0:1], s2, v6
	ds_write_b32 v4, v7
	v_add_f32_e32 v2, v2, v7
	s_or_b64 s[14:15], s[0:1], s[14:15]
	v_add_u32_e32 v4, s17, v4
	s_andn2_b64 exec, exec, s[14:15]
	s_cbranch_execnz .LBB189_6
; %bb.7:
	s_or_b64 exec, exec, s[14:15]
.LBB189_8:
	s_or_b64 exec, exec, s[12:13]
	s_waitcnt lgkmcnt(0)
	v_mov_b32_dpp v3, v2 quad_perm:[1,0,3,2] row_mask:0xf bank_mask:0xf
	v_add_f32_e32 v2, v2, v3
	s_barrier
	s_nop 0
	v_mov_b32_dpp v3, v2 quad_perm:[2,3,0,1] row_mask:0xf bank_mask:0xf
	v_add_f32_e32 v2, v2, v3
	s_nop 1
	v_mov_b32_dpp v3, v2 row_half_mirror row_mask:0xf bank_mask:0xf
	v_add_f32_e32 v2, v2, v3
	s_nop 1
	v_mov_b32_dpp v3, v2 row_mirror row_mask:0xf bank_mask:0xf
	v_add_f32_e32 v2, v2, v3
	s_nop 1
	v_mov_b32_dpp v3, v2 row_bcast:15 row_mask:0xf bank_mask:0xf
	v_add_f32_e32 v2, v2, v3
	s_nop 1
	v_mov_b32_dpp v3, v2 row_bcast:31 row_mask:0xf bank_mask:0xf
	v_add_f32_e32 v2, v2, v3
	ds_bpermute_b32 v1, v1, v2
	s_and_saveexec_b64 s[0:1], vcc
	s_cbranch_execz .LBB189_11
; %bb.9:
	s_load_dword s7, s[4:5], 0x4c
	v_lshl_add_u32 v2, v0, 2, 0
	s_mov_b64 s[12:13], 0
	v_mov_b32_e32 v3, v0
	s_waitcnt lgkmcnt(0)
	s_and_b32 s7, s7, 0xffff
	s_lshl_b32 s14, s7, 2
.LBB189_10:                             ; =>This Inner Loop Header: Depth=1
	ds_read_b32 v4, v2
	v_add_u32_e32 v3, s7, v3
	v_cmp_le_i32_e32 vcc, s2, v3
	s_or_b64 s[12:13], vcc, s[12:13]
	s_waitcnt lgkmcnt(0)
	v_div_scale_f32 v5, s[16:17], v1, v1, v4
	v_rcp_f32_e32 v6, v5
	v_div_scale_f32 v7, vcc, v4, v1, v4
	v_fma_f32 v8, -v5, v6, 1.0
	v_fmac_f32_e32 v6, v8, v6
	v_mul_f32_e32 v8, v7, v6
	v_fma_f32 v9, -v5, v8, v7
	v_fmac_f32_e32 v8, v9, v6
	v_fma_f32 v5, -v5, v8, v7
	v_div_fmas_f32 v5, v5, v6, v8
	v_div_fixup_f32 v4, v5, v1, v4
	ds_write_b32 v2, v4
	v_add_u32_e32 v2, s14, v2
	s_andn2_b64 exec, exec, s[12:13]
	s_cbranch_execnz .LBB189_10
.LBB189_11:
	s_or_b64 exec, exec, s[0:1]
	s_cmp_lt_i32 s3, 1
	s_waitcnt lgkmcnt(0)
	s_barrier
	s_cbranch_scc1 .LBB189_18
; %bb.12:
	s_lshr_b32 s0, s2, 31
	s_add_i32 s0, s2, s0
	s_ashr_i32 s2, s0, 1
	s_add_u32 s12, s4, 64
	v_cmp_gt_i32_e32 vcc, s2, v0
	s_addc_u32 s13, s5, 0
	v_lshlrev_b32_e32 v3, 1, v0
	s_mov_b32 s7, 0
	v_lshl_add_u32 v4, v0, 3, 0
	v_mov_b32_e32 v5, 0xff800000
                                        ; implicit-def: $vgpr2
                                        ; implicit-def: $vgpr1
	s_branch .LBB189_14
.LBB189_13:                             ;   in Loop: Header=BB189_14 Depth=1
	s_or_b64 exec, exec, s[14:15]
	v_mov_b32_dpp v9, v7 quad_perm:[1,0,3,2] row_mask:0xf bank_mask:0xf
	v_cmp_lt_f32_e64 s[0:1], v7, v9
	v_cndmask_b32_e64 v7, v7, v9, s[0:1]
	v_mov_b32_dpp v8, v6 quad_perm:[1,0,3,2] row_mask:0xf bank_mask:0xf
	v_cndmask_b32_e64 v6, v6, v8, s[0:1]
	v_mov_b32_dpp v9, v7 quad_perm:[2,3,0,1] row_mask:0xf bank_mask:0xf
	v_cmp_gt_f32_e64 s[0:1], v9, v7
	v_cndmask_b32_e64 v7, v7, v9, s[0:1]
	v_mov_b32_dpp v8, v6 quad_perm:[2,3,0,1] row_mask:0xf bank_mask:0xf
	v_cndmask_b32_e64 v6, v6, v8, s[0:1]
	v_mov_b32_dpp v9, v7 row_half_mirror row_mask:0xf bank_mask:0xf
	v_cmp_gt_f32_e64 s[0:1], v9, v7
	v_cndmask_b32_e64 v7, v7, v9, s[0:1]
	v_mov_b32_dpp v8, v6 row_half_mirror row_mask:0xf bank_mask:0xf
	v_cndmask_b32_e64 v6, v6, v8, s[0:1]
	v_mov_b32_dpp v9, v7 row_mirror row_mask:0xf bank_mask:0xf
	v_cmp_gt_f32_e64 s[0:1], v9, v7
	v_cndmask_b32_e64 v7, v7, v9, s[0:1]
	v_mov_b32_dpp v8, v6 row_mirror row_mask:0xf bank_mask:0xf
	v_cndmask_b32_e64 v6, v6, v8, s[0:1]
	v_mov_b32_dpp v9, v7 row_bcast:15 row_mask:0xf bank_mask:0xf
	v_cmp_gt_f32_e64 s[0:1], v9, v7
	v_mov_b32_dpp v8, v6 row_bcast:15 row_mask:0xf bank_mask:0xf
	v_cndmask_b32_e64 v7, v7, v9, s[0:1]
	v_cndmask_b32_e64 v6, v6, v8, s[0:1]
	s_nop 0
	v_mov_b32_dpp v9, v7 row_bcast:31 row_mask:0xf bank_mask:0xf
	v_mov_b32_dpp v8, v6 row_bcast:31 row_mask:0xf bank_mask:0xf
	v_cmp_gt_f32_e64 s[0:1], v9, v7
	v_cndmask_b32_e64 v6, v6, v8, s[0:1]
	v_cndmask_b32_e64 v7, v7, v9, s[0:1]
	v_readlane_b32 s0, v6, 63
	s_lshl_b32 s1, s0, 2
	s_add_i32 s1, s1, 0
	v_mov_b32_e32 v6, s1
	v_readlane_b32 s14, v7, 63
	ds_write_b32 v6, v5
	v_mov_b32_e32 v6, s0
	v_cmp_eq_u32_e64 s[0:1], s7, v0
	v_cndmask_b32_e64 v1, v1, v6, s[0:1]
	v_mov_b32_e32 v6, s14
	s_add_i32 s7, s7, 1
	s_cmp_eq_u32 s7, s3
	v_cndmask_b32_e64 v2, v2, v6, s[0:1]
	s_cbranch_scc1 .LBB189_19
.LBB189_14:                             ; =>This Loop Header: Depth=1
                                        ;     Child Loop BB189_16 Depth 2
	v_mov_b32_e32 v6, s7
	v_mov_b32_e32 v7, 0xff800000
	s_and_saveexec_b64 s[14:15], vcc
	s_cbranch_execz .LBB189_13
; %bb.15:                               ;   in Loop: Header=BB189_14 Depth=1
	s_load_dword s0, s[12:13], 0xc
	s_mov_b64 s[16:17], 0
	v_mov_b32_e32 v6, s7
	v_mov_b32_e32 v7, 0xff800000
	;; [unrolled: 1-line block ×3, first 2 shown]
	s_waitcnt lgkmcnt(0)
	s_and_b32 s18, s0, 0xffff
	s_lshl_b32 s19, s18, 1
	s_lshl_b32 s20, s18, 3
	v_mov_b32_e32 v9, v3
	v_mov_b32_e32 v10, v0
.LBB189_16:                             ;   Parent Loop BB189_14 Depth=1
                                        ; =>  This Inner Loop Header: Depth=2
	ds_read_b64 v[12:13], v8
	v_add_u32_e32 v10, s18, v10
	v_cmp_le_i32_e64 s[0:1], s2, v10
	s_or_b64 s[16:17], s[0:1], s[16:17]
	v_add_u32_e32 v11, 1, v9
	s_waitcnt lgkmcnt(0)
	v_cmp_gt_f32_e64 s[0:1], v12, v7
	v_cndmask_b32_e64 v7, v7, v12, s[0:1]
	v_cndmask_b32_e64 v6, v6, v9, s[0:1]
	v_cmp_gt_f32_e64 s[0:1], v13, v7
	v_add_u32_e32 v8, s20, v8
	v_cndmask_b32_e64 v7, v7, v13, s[0:1]
	v_add_u32_e32 v9, s19, v9
	v_cndmask_b32_e64 v6, v6, v11, s[0:1]
	s_andn2_b64 exec, exec, s[16:17]
	s_cbranch_execnz .LBB189_16
; %bb.17:                               ;   in Loop: Header=BB189_14 Depth=1
	s_or_b64 exec, exec, s[16:17]
	s_branch .LBB189_13
.LBB189_18:
                                        ; implicit-def: $vgpr2
                                        ; implicit-def: $vgpr1
.LBB189_19:
	v_cmp_gt_i32_e32 vcc, s3, v0
	s_and_saveexec_b64 s[0:1], vcc
	s_cbranch_execz .LBB189_22
; %bb.20:
	s_load_dword s2, s[4:5], 0x38
	s_load_dwordx2 s[0:1], s[4:5], 0x20
	s_ashr_i32 s7, s6, 31
	s_load_dword s4, s[4:5], 0x4c
	v_mov_b32_e32 v4, s9
	s_waitcnt lgkmcnt(0)
	v_mul_f32_e32 v2, s2, v2
	s_mul_i32 s1, s6, s1
	s_mul_hi_u32 s2, s6, s0
	s_add_i32 s1, s2, s1
	s_mul_i32 s7, s7, s0
	s_add_i32 s5, s1, s7
	s_mul_i32 s2, s6, s0
	s_and_b32 s4, s4, 0xffff
	s_mov_b64 s[0:1], 0
	v_mov_b32_e32 v3, s5
	v_mov_b32_e32 v5, s11
.LBB189_21:                             ; =>This Inner Loop Header: Depth=1
	v_ashrrev_i32_e32 v7, 31, v0
	v_add_co_u32_e32 v6, vcc, s2, v0
	v_addc_co_u32_e32 v7, vcc, v3, v7, vcc
	v_add_u32_e32 v0, s4, v0
	v_cmp_le_i32_e32 vcc, s3, v0
	v_lshlrev_b64 v[6:7], 2, v[6:7]
	s_or_b64 s[0:1], vcc, s[0:1]
	v_add_co_u32_e32 v8, vcc, s8, v6
	v_addc_co_u32_e32 v9, vcc, v4, v7, vcc
	v_add_co_u32_e32 v6, vcc, s10, v6
	v_addc_co_u32_e32 v7, vcc, v5, v7, vcc
	global_store_dword v[8:9], v2, off
	global_store_dword v[6:7], v1, off
	s_andn2_b64 exec, exec, s[0:1]
	s_cbranch_execnz .LBB189_21
.LBB189_22:
	s_endpgm
	.section	.rodata,"a",@progbits
	.p2align	6, 0x0
	.amdhsa_kernel _ZN5aiter19grouped_topk_kernelIN3c108BFloat16EDv2_fLi1ELb0ELb0ELb1EEEvPT_PKS4_PfPimiiiif
		.amdhsa_group_segment_fixed_size 0
		.amdhsa_private_segment_fixed_size 0
		.amdhsa_kernarg_size 320
		.amdhsa_user_sgpr_count 6
		.amdhsa_user_sgpr_private_segment_buffer 1
		.amdhsa_user_sgpr_dispatch_ptr 0
		.amdhsa_user_sgpr_queue_ptr 0
		.amdhsa_user_sgpr_kernarg_segment_ptr 1
		.amdhsa_user_sgpr_dispatch_id 0
		.amdhsa_user_sgpr_flat_scratch_init 0
		.amdhsa_user_sgpr_kernarg_preload_length 0
		.amdhsa_user_sgpr_kernarg_preload_offset 0
		.amdhsa_user_sgpr_private_segment_size 0
		.amdhsa_uses_dynamic_stack 0
		.amdhsa_system_sgpr_private_segment_wavefront_offset 0
		.amdhsa_system_sgpr_workgroup_id_x 1
		.amdhsa_system_sgpr_workgroup_id_y 0
		.amdhsa_system_sgpr_workgroup_id_z 0
		.amdhsa_system_sgpr_workgroup_info 0
		.amdhsa_system_vgpr_workitem_id 0
		.amdhsa_next_free_vgpr 14
		.amdhsa_next_free_sgpr 21
		.amdhsa_accum_offset 16
		.amdhsa_reserve_vcc 1
		.amdhsa_reserve_flat_scratch 0
		.amdhsa_float_round_mode_32 0
		.amdhsa_float_round_mode_16_64 0
		.amdhsa_float_denorm_mode_32 3
		.amdhsa_float_denorm_mode_16_64 3
		.amdhsa_dx10_clamp 1
		.amdhsa_ieee_mode 1
		.amdhsa_fp16_overflow 0
		.amdhsa_tg_split 0
		.amdhsa_exception_fp_ieee_invalid_op 0
		.amdhsa_exception_fp_denorm_src 0
		.amdhsa_exception_fp_ieee_div_zero 0
		.amdhsa_exception_fp_ieee_overflow 0
		.amdhsa_exception_fp_ieee_underflow 0
		.amdhsa_exception_fp_ieee_inexact 0
		.amdhsa_exception_int_div_zero 0
	.end_amdhsa_kernel
	.section	.text._ZN5aiter19grouped_topk_kernelIN3c108BFloat16EDv2_fLi1ELb0ELb0ELb1EEEvPT_PKS4_PfPimiiiif,"axG",@progbits,_ZN5aiter19grouped_topk_kernelIN3c108BFloat16EDv2_fLi1ELb0ELb0ELb1EEEvPT_PKS4_PfPimiiiif,comdat
.Lfunc_end189:
	.size	_ZN5aiter19grouped_topk_kernelIN3c108BFloat16EDv2_fLi1ELb0ELb0ELb1EEEvPT_PKS4_PfPimiiiif, .Lfunc_end189-_ZN5aiter19grouped_topk_kernelIN3c108BFloat16EDv2_fLi1ELb0ELb0ELb1EEEvPT_PKS4_PfPimiiiif
                                        ; -- End function
	.section	.AMDGPU.csdata,"",@progbits
; Kernel info:
; codeLenInByte = 1696
; NumSgprs: 25
; NumVgprs: 14
; NumAgprs: 0
; TotalNumVgprs: 14
; ScratchSize: 0
; MemoryBound: 0
; FloatMode: 240
; IeeeMode: 1
; LDSByteSize: 0 bytes/workgroup (compile time only)
; SGPRBlocks: 3
; VGPRBlocks: 1
; NumSGPRsForWavesPerEU: 25
; NumVGPRsForWavesPerEU: 14
; AccumOffset: 16
; Occupancy: 8
; WaveLimiterHint : 0
; COMPUTE_PGM_RSRC2:SCRATCH_EN: 0
; COMPUTE_PGM_RSRC2:USER_SGPR: 6
; COMPUTE_PGM_RSRC2:TRAP_HANDLER: 0
; COMPUTE_PGM_RSRC2:TGID_X_EN: 1
; COMPUTE_PGM_RSRC2:TGID_Y_EN: 0
; COMPUTE_PGM_RSRC2:TGID_Z_EN: 0
; COMPUTE_PGM_RSRC2:TIDIG_COMP_CNT: 0
; COMPUTE_PGM_RSRC3_GFX90A:ACCUM_OFFSET: 3
; COMPUTE_PGM_RSRC3_GFX90A:TG_SPLIT: 0
	.section	.text._ZN5aiter19grouped_topk_kernelIfDv2_fLi1ELb0ELb0ELb0EEEvPT_PKS2_PfPimiiiif,"axG",@progbits,_ZN5aiter19grouped_topk_kernelIfDv2_fLi1ELb0ELb0ELb0EEEvPT_PKS2_PfPimiiiif,comdat
	.protected	_ZN5aiter19grouped_topk_kernelIfDv2_fLi1ELb0ELb0ELb0EEEvPT_PKS2_PfPimiiiif ; -- Begin function _ZN5aiter19grouped_topk_kernelIfDv2_fLi1ELb0ELb0ELb0EEEvPT_PKS2_PfPimiiiif
	.globl	_ZN5aiter19grouped_topk_kernelIfDv2_fLi1ELb0ELb0ELb0EEEvPT_PKS2_PfPimiiiif
	.p2align	8
	.type	_ZN5aiter19grouped_topk_kernelIfDv2_fLi1ELb0ELb0ELb0EEEvPT_PKS2_PfPimiiiif,@function
_ZN5aiter19grouped_topk_kernelIfDv2_fLi1ELb0ELb0ELb0EEEvPT_PKS2_PfPimiiiif: ; @_ZN5aiter19grouped_topk_kernelIfDv2_fLi1ELb0ELb0ELb0EEEvPT_PKS2_PfPimiiiif
; %bb.0:
	s_load_dwordx2 s[12:13], s[4:5], 0x28
	s_load_dwordx4 s[8:11], s[4:5], 0x10
	s_waitcnt lgkmcnt(0)
	s_lshr_b32 s0, s12, 31
	s_add_i32 s0, s12, s0
	s_ashr_i32 s7, s0, 1
	v_cmp_gt_i32_e64 s[0:1], s7, v0
	s_and_saveexec_b64 s[14:15], s[0:1]
	s_cbranch_execz .LBB190_3
; %bb.1:
	s_load_dword s18, s[4:5], 0x4c
	s_load_dwordx2 s[2:3], s[4:5], 0x0
	s_mul_i32 s16, s6, s12
	s_ashr_i32 s17, s16, 31
	s_lshl_b64 s[16:17], s[16:17], 2
	s_waitcnt lgkmcnt(0)
	s_and_b32 s12, s18, 0xffff
	s_add_u32 s2, s2, s16
	v_lshlrev_b32_e32 v1, 3, v0
	s_addc_u32 s3, s3, s17
	s_mov_b32 s22, 0
	v_mov_b32_e32 v3, s3
	v_add_co_u32_e32 v2, vcc, s2, v1
	v_addc_co_u32_e32 v3, vcc, 0, v3, vcc
	s_lshl_b32 s18, s12, 3
	v_add_u32_e32 v1, 0, v1
	s_mov_b64 s[16:17], 0
	s_mov_b32 s19, 0xbfb8aa3b
	s_mov_b32 s20, 0x42ce8ed0
	;; [unrolled: 1-line block ×3, first 2 shown]
	v_mov_b32_e32 v4, 0x7f800000
	v_mov_b32_e32 v5, s22
	;; [unrolled: 1-line block ×3, first 2 shown]
.LBB190_2:                              ; =>This Inner Loop Header: Depth=1
	global_load_dwordx2 v[8:9], v[2:3], off
	v_add_co_u32_e32 v2, vcc, s18, v2
	v_add_u32_e32 v6, s12, v6
	v_addc_co_u32_e32 v3, vcc, v3, v5, vcc
	v_cmp_le_i32_e32 vcc, s7, v6
	s_or_b64 s[16:17], vcc, s[16:17]
	s_waitcnt vmcnt(0)
	v_mul_f32_e32 v7, 0xbfb8aa3b, v9
	v_mul_f32_e32 v10, 0xbfb8aa3b, v8
	v_rndne_f32_e32 v11, v7
	v_fma_f32 v12, v9, s19, -v7
	v_rndne_f32_e32 v13, v10
	v_fma_f32 v14, v8, s19, -v10
	v_sub_f32_e32 v7, v7, v11
	v_fmac_f32_e32 v12, 0xb2a5705f, v9
	v_sub_f32_e32 v10, v10, v13
	v_fmac_f32_e32 v14, 0xb2a5705f, v8
	v_add_f32_e32 v7, v7, v12
	v_add_f32_e32 v10, v10, v14
	v_cvt_i32_f32_e32 v11, v11
	v_cvt_i32_f32_e32 v13, v13
	v_exp_f32_e32 v7, v7
	v_exp_f32_e32 v10, v10
	v_cmp_nlt_f32_e32 vcc, s20, v8
	v_cmp_nlt_f32_e64 s[2:3], s20, v9
	v_ldexp_f32 v7, v7, v11
	v_ldexp_f32 v10, v10, v13
	v_cndmask_b32_e64 v7, 0, v7, s[2:3]
	v_cndmask_b32_e32 v10, 0, v10, vcc
	v_cmp_ngt_f32_e32 vcc, s21, v8
	v_cmp_ngt_f32_e64 s[2:3], s21, v9
	v_cndmask_b32_e64 v9, v4, v7, s[2:3]
	v_cndmask_b32_e32 v8, v4, v10, vcc
	v_pk_add_f32 v[8:9], v[8:9], 1.0 op_sel_hi:[1,0]
	v_div_scale_f32 v7, s[2:3], v9, v9, 1.0
	v_div_scale_f32 v11, s[2:3], v8, v8, 1.0
	v_rcp_f32_e32 v13, v7
	v_rcp_f32_e32 v14, v11
	v_div_scale_f32 v10, vcc, 1.0, v9, 1.0
	v_fma_f32 v15, -v7, v13, 1.0
	v_fma_f32 v16, -v11, v14, 1.0
	v_fmac_f32_e32 v13, v15, v13
	v_div_scale_f32 v12, s[2:3], 1.0, v8, 1.0
	v_fmac_f32_e32 v14, v16, v14
	v_mul_f32_e32 v15, v10, v13
	v_mul_f32_e32 v16, v12, v14
	v_fma_f32 v17, -v7, v15, v10
	v_fma_f32 v18, -v11, v16, v12
	v_fmac_f32_e32 v15, v17, v13
	v_fmac_f32_e32 v16, v18, v14
	v_fma_f32 v7, -v7, v15, v10
	v_fma_f32 v10, -v11, v16, v12
	v_div_fmas_f32 v7, v7, v13, v15
	s_mov_b64 vcc, s[2:3]
	v_div_fixup_f32 v9, v7, v9, 1.0
	v_div_fmas_f32 v7, v10, v14, v16
	v_div_fixup_f32 v8, v7, v8, 1.0
	ds_write_b64 v1, v[8:9]
	v_add_u32_e32 v1, s18, v1
	s_andn2_b64 exec, exec, s[16:17]
	s_cbranch_execnz .LBB190_2
.LBB190_3:
	s_or_b64 exec, exec, s[14:15]
	s_cmp_lt_i32 s13, 1
	s_waitcnt lgkmcnt(0)
	s_barrier
	s_cbranch_scc1 .LBB190_10
; %bb.4:
	s_add_u32 s2, s4, 64
	s_addc_u32 s3, s5, 0
	v_lshlrev_b32_e32 v3, 1, v0
	s_mov_b32 s12, 0
	v_lshl_add_u32 v4, v0, 3, 0
	v_mov_b32_e32 v5, 0xff800000
                                        ; implicit-def: $vgpr2
                                        ; implicit-def: $vgpr1
	s_branch .LBB190_6
.LBB190_5:                              ;   in Loop: Header=BB190_6 Depth=1
	s_or_b64 exec, exec, s[14:15]
	v_mov_b32_dpp v9, v7 quad_perm:[1,0,3,2] row_mask:0xf bank_mask:0xf
	v_cmp_lt_f32_e32 vcc, v7, v9
	v_cndmask_b32_e32 v7, v7, v9, vcc
	v_mov_b32_dpp v8, v6 quad_perm:[1,0,3,2] row_mask:0xf bank_mask:0xf
	v_cndmask_b32_e32 v6, v6, v8, vcc
	v_mov_b32_dpp v9, v7 quad_perm:[2,3,0,1] row_mask:0xf bank_mask:0xf
	v_cmp_gt_f32_e32 vcc, v9, v7
	v_cndmask_b32_e32 v7, v7, v9, vcc
	v_mov_b32_dpp v8, v6 quad_perm:[2,3,0,1] row_mask:0xf bank_mask:0xf
	v_cndmask_b32_e32 v6, v6, v8, vcc
	v_mov_b32_dpp v9, v7 row_half_mirror row_mask:0xf bank_mask:0xf
	v_cmp_gt_f32_e32 vcc, v9, v7
	v_cndmask_b32_e32 v7, v7, v9, vcc
	v_mov_b32_dpp v8, v6 row_half_mirror row_mask:0xf bank_mask:0xf
	v_cndmask_b32_e32 v6, v6, v8, vcc
	v_mov_b32_dpp v9, v7 row_mirror row_mask:0xf bank_mask:0xf
	v_cmp_gt_f32_e32 vcc, v9, v7
	v_cndmask_b32_e32 v7, v7, v9, vcc
	v_mov_b32_dpp v8, v6 row_mirror row_mask:0xf bank_mask:0xf
	v_cndmask_b32_e32 v6, v6, v8, vcc
	v_mov_b32_dpp v9, v7 row_bcast:15 row_mask:0xf bank_mask:0xf
	v_cmp_gt_f32_e32 vcc, v9, v7
	v_mov_b32_dpp v8, v6 row_bcast:15 row_mask:0xf bank_mask:0xf
	v_cndmask_b32_e32 v7, v7, v9, vcc
	v_cndmask_b32_e32 v6, v6, v8, vcc
	s_nop 0
	v_mov_b32_dpp v9, v7 row_bcast:31 row_mask:0xf bank_mask:0xf
	v_mov_b32_dpp v8, v6 row_bcast:31 row_mask:0xf bank_mask:0xf
	v_cmp_gt_f32_e32 vcc, v9, v7
	v_cndmask_b32_e32 v6, v6, v8, vcc
	v_readlane_b32 s15, v6, 63
	s_lshl_b32 s16, s15, 2
	s_add_i32 s16, s16, 0
	v_cndmask_b32_e32 v7, v7, v9, vcc
	v_mov_b32_e32 v6, s16
	v_readlane_b32 s14, v7, 63
	ds_write_b32 v6, v5
	v_mov_b32_e32 v6, s15
	v_cmp_eq_u32_e32 vcc, s12, v0
	v_cndmask_b32_e32 v1, v1, v6, vcc
	v_mov_b32_e32 v6, s14
	s_add_i32 s12, s12, 1
	s_cmp_eq_u32 s12, s13
	v_cndmask_b32_e32 v2, v2, v6, vcc
	s_cbranch_scc1 .LBB190_11
.LBB190_6:                              ; =>This Loop Header: Depth=1
                                        ;     Child Loop BB190_8 Depth 2
	v_mov_b32_e32 v6, s12
	v_mov_b32_e32 v7, 0xff800000
	s_and_saveexec_b64 s[14:15], s[0:1]
	s_cbranch_execz .LBB190_5
; %bb.7:                                ;   in Loop: Header=BB190_6 Depth=1
	s_load_dword s18, s[2:3], 0xc
	s_mov_b64 s[16:17], 0
	v_mov_b32_e32 v6, s12
	v_mov_b32_e32 v7, 0xff800000
	;; [unrolled: 1-line block ×3, first 2 shown]
	s_waitcnt lgkmcnt(0)
	s_and_b32 s18, s18, 0xffff
	s_lshl_b32 s19, s18, 1
	s_lshl_b32 s20, s18, 3
	v_mov_b32_e32 v9, v3
	v_mov_b32_e32 v10, v0
.LBB190_8:                              ;   Parent Loop BB190_6 Depth=1
                                        ; =>  This Inner Loop Header: Depth=2
	ds_read_b64 v[12:13], v8
	v_add_u32_e32 v10, s18, v10
	v_cmp_le_i32_e32 vcc, s7, v10
	s_or_b64 s[16:17], vcc, s[16:17]
	v_add_u32_e32 v11, 1, v9
	s_waitcnt lgkmcnt(0)
	v_cmp_gt_f32_e32 vcc, v12, v7
	v_cndmask_b32_e32 v7, v7, v12, vcc
	v_cndmask_b32_e32 v6, v6, v9, vcc
	v_cmp_gt_f32_e32 vcc, v13, v7
	v_add_u32_e32 v8, s20, v8
	v_cndmask_b32_e32 v7, v7, v13, vcc
	v_add_u32_e32 v9, s19, v9
	v_cndmask_b32_e32 v6, v6, v11, vcc
	s_andn2_b64 exec, exec, s[16:17]
	s_cbranch_execnz .LBB190_8
; %bb.9:                                ;   in Loop: Header=BB190_6 Depth=1
	s_or_b64 exec, exec, s[16:17]
	s_branch .LBB190_5
.LBB190_10:
                                        ; implicit-def: $vgpr2
                                        ; implicit-def: $vgpr1
.LBB190_11:
	v_cmp_gt_i32_e32 vcc, s13, v0
	s_and_saveexec_b64 s[0:1], vcc
	s_cbranch_execz .LBB190_14
; %bb.12:
	s_load_dword s2, s[4:5], 0x38
	s_load_dwordx2 s[0:1], s[4:5], 0x20
	s_ashr_i32 s3, s6, 31
	s_load_dword s4, s[4:5], 0x4c
	v_mov_b32_e32 v4, s9
	s_waitcnt lgkmcnt(0)
	v_mul_f32_e32 v2, s2, v2
	s_mul_i32 s1, s6, s1
	s_mul_hi_u32 s2, s6, s0
	s_add_i32 s1, s2, s1
	s_mul_i32 s3, s3, s0
	s_add_i32 s5, s1, s3
	s_mul_i32 s2, s6, s0
	s_and_b32 s3, s4, 0xffff
	s_mov_b64 s[0:1], 0
	v_mov_b32_e32 v3, s5
	v_mov_b32_e32 v5, s11
.LBB190_13:                             ; =>This Inner Loop Header: Depth=1
	v_ashrrev_i32_e32 v7, 31, v0
	v_add_co_u32_e32 v6, vcc, s2, v0
	v_addc_co_u32_e32 v7, vcc, v3, v7, vcc
	v_add_u32_e32 v0, s3, v0
	v_cmp_le_i32_e32 vcc, s13, v0
	v_lshlrev_b64 v[6:7], 2, v[6:7]
	s_or_b64 s[0:1], vcc, s[0:1]
	v_add_co_u32_e32 v8, vcc, s8, v6
	v_addc_co_u32_e32 v9, vcc, v4, v7, vcc
	v_add_co_u32_e32 v6, vcc, s10, v6
	v_addc_co_u32_e32 v7, vcc, v5, v7, vcc
	global_store_dword v[8:9], v2, off
	global_store_dword v[6:7], v1, off
	s_andn2_b64 exec, exec, s[0:1]
	s_cbranch_execnz .LBB190_13
.LBB190_14:
	s_endpgm
	.section	.rodata,"a",@progbits
	.p2align	6, 0x0
	.amdhsa_kernel _ZN5aiter19grouped_topk_kernelIfDv2_fLi1ELb0ELb0ELb0EEEvPT_PKS2_PfPimiiiif
		.amdhsa_group_segment_fixed_size 0
		.amdhsa_private_segment_fixed_size 0
		.amdhsa_kernarg_size 320
		.amdhsa_user_sgpr_count 6
		.amdhsa_user_sgpr_private_segment_buffer 1
		.amdhsa_user_sgpr_dispatch_ptr 0
		.amdhsa_user_sgpr_queue_ptr 0
		.amdhsa_user_sgpr_kernarg_segment_ptr 1
		.amdhsa_user_sgpr_dispatch_id 0
		.amdhsa_user_sgpr_flat_scratch_init 0
		.amdhsa_user_sgpr_kernarg_preload_length 0
		.amdhsa_user_sgpr_kernarg_preload_offset 0
		.amdhsa_user_sgpr_private_segment_size 0
		.amdhsa_uses_dynamic_stack 0
		.amdhsa_system_sgpr_private_segment_wavefront_offset 0
		.amdhsa_system_sgpr_workgroup_id_x 1
		.amdhsa_system_sgpr_workgroup_id_y 0
		.amdhsa_system_sgpr_workgroup_id_z 0
		.amdhsa_system_sgpr_workgroup_info 0
		.amdhsa_system_vgpr_workitem_id 0
		.amdhsa_next_free_vgpr 19
		.amdhsa_next_free_sgpr 23
		.amdhsa_accum_offset 20
		.amdhsa_reserve_vcc 1
		.amdhsa_reserve_flat_scratch 0
		.amdhsa_float_round_mode_32 0
		.amdhsa_float_round_mode_16_64 0
		.amdhsa_float_denorm_mode_32 3
		.amdhsa_float_denorm_mode_16_64 3
		.amdhsa_dx10_clamp 1
		.amdhsa_ieee_mode 1
		.amdhsa_fp16_overflow 0
		.amdhsa_tg_split 0
		.amdhsa_exception_fp_ieee_invalid_op 0
		.amdhsa_exception_fp_denorm_src 0
		.amdhsa_exception_fp_ieee_div_zero 0
		.amdhsa_exception_fp_ieee_overflow 0
		.amdhsa_exception_fp_ieee_underflow 0
		.amdhsa_exception_fp_ieee_inexact 0
		.amdhsa_exception_int_div_zero 0
	.end_amdhsa_kernel
	.section	.text._ZN5aiter19grouped_topk_kernelIfDv2_fLi1ELb0ELb0ELb0EEEvPT_PKS2_PfPimiiiif,"axG",@progbits,_ZN5aiter19grouped_topk_kernelIfDv2_fLi1ELb0ELb0ELb0EEEvPT_PKS2_PfPimiiiif,comdat
.Lfunc_end190:
	.size	_ZN5aiter19grouped_topk_kernelIfDv2_fLi1ELb0ELb0ELb0EEEvPT_PKS2_PfPimiiiif, .Lfunc_end190-_ZN5aiter19grouped_topk_kernelIfDv2_fLi1ELb0ELb0ELb0EEEvPT_PKS2_PfPimiiiif
                                        ; -- End function
	.section	.AMDGPU.csdata,"",@progbits
; Kernel info:
; codeLenInByte = 1152
; NumSgprs: 27
; NumVgprs: 19
; NumAgprs: 0
; TotalNumVgprs: 19
; ScratchSize: 0
; MemoryBound: 0
; FloatMode: 240
; IeeeMode: 1
; LDSByteSize: 0 bytes/workgroup (compile time only)
; SGPRBlocks: 3
; VGPRBlocks: 2
; NumSGPRsForWavesPerEU: 27
; NumVGPRsForWavesPerEU: 19
; AccumOffset: 20
; Occupancy: 8
; WaveLimiterHint : 0
; COMPUTE_PGM_RSRC2:SCRATCH_EN: 0
; COMPUTE_PGM_RSRC2:USER_SGPR: 6
; COMPUTE_PGM_RSRC2:TRAP_HANDLER: 0
; COMPUTE_PGM_RSRC2:TGID_X_EN: 1
; COMPUTE_PGM_RSRC2:TGID_Y_EN: 0
; COMPUTE_PGM_RSRC2:TGID_Z_EN: 0
; COMPUTE_PGM_RSRC2:TIDIG_COMP_CNT: 0
; COMPUTE_PGM_RSRC3_GFX90A:ACCUM_OFFSET: 4
; COMPUTE_PGM_RSRC3_GFX90A:TG_SPLIT: 0
	.section	.text._ZN5aiter19grouped_topk_kernelIN3c104HalfEDv2_fLi1ELb0ELb0ELb0EEEvPT_PKS4_PfPimiiiif,"axG",@progbits,_ZN5aiter19grouped_topk_kernelIN3c104HalfEDv2_fLi1ELb0ELb0ELb0EEEvPT_PKS4_PfPimiiiif,comdat
	.protected	_ZN5aiter19grouped_topk_kernelIN3c104HalfEDv2_fLi1ELb0ELb0ELb0EEEvPT_PKS4_PfPimiiiif ; -- Begin function _ZN5aiter19grouped_topk_kernelIN3c104HalfEDv2_fLi1ELb0ELb0ELb0EEEvPT_PKS4_PfPimiiiif
	.globl	_ZN5aiter19grouped_topk_kernelIN3c104HalfEDv2_fLi1ELb0ELb0ELb0EEEvPT_PKS4_PfPimiiiif
	.p2align	8
	.type	_ZN5aiter19grouped_topk_kernelIN3c104HalfEDv2_fLi1ELb0ELb0ELb0EEEvPT_PKS4_PfPimiiiif,@function
_ZN5aiter19grouped_topk_kernelIN3c104HalfEDv2_fLi1ELb0ELb0ELb0EEEvPT_PKS4_PfPimiiiif: ; @_ZN5aiter19grouped_topk_kernelIN3c104HalfEDv2_fLi1ELb0ELb0ELb0EEEvPT_PKS4_PfPimiiiif
; %bb.0:
	s_load_dwordx2 s[12:13], s[4:5], 0x28
	s_load_dwordx4 s[8:11], s[4:5], 0x10
	v_lshl_add_u32 v1, v0, 3, 0
	s_waitcnt lgkmcnt(0)
	s_lshr_b32 s0, s12, 31
	s_add_i32 s0, s12, s0
	s_ashr_i32 s7, s0, 1
	v_cmp_gt_i32_e64 s[0:1], s7, v0
	s_and_saveexec_b64 s[14:15], s[0:1]
	s_cbranch_execz .LBB191_3
; %bb.1:
	s_load_dword s18, s[4:5], 0x4c
	s_load_dwordx2 s[2:3], s[4:5], 0x0
	s_mul_i32 s16, s6, s12
	s_ashr_i32 s17, s16, 31
	s_lshl_b64 s[16:17], s[16:17], 1
	s_waitcnt lgkmcnt(0)
	s_and_b32 s12, s18, 0xffff
	s_add_u32 s2, s2, s16
	v_lshlrev_b32_e32 v2, 2, v0
	s_addc_u32 s3, s3, s17
	s_mov_b32 s24, 0
	v_mov_b32_e32 v3, s3
	v_add_co_u32_e32 v2, vcc, s2, v2
	v_addc_co_u32_e32 v3, vcc, 0, v3, vcc
	s_lshl_b32 s18, s12, 2
	v_lshl_add_u32 v4, v0, 3, 0
	s_lshl_b32 s19, s12, 3
	s_mov_b64 s[16:17], 0
	s_mov_b32 s20, 0x3fb8aa3b
	s_mov_b32 s21, 0x32a5705f
	s_mov_b32 s22, 0xc2ce8ed0
	s_mov_b32 s23, 0x42b17218
	v_mov_b32_e32 v5, 0x7f800000
	v_mov_b32_e32 v6, s24
	;; [unrolled: 1-line block ×3, first 2 shown]
.LBB191_2:                              ; =>This Inner Loop Header: Depth=1
	global_load_dword v8, v[2:3], off
	v_add_co_u32_e32 v2, vcc, s18, v2
	v_add_u32_e32 v7, s12, v7
	v_addc_co_u32_e32 v3, vcc, v3, v6, vcc
	v_cmp_le_i32_e32 vcc, s7, v7
	s_or_b64 s[16:17], vcc, s[16:17]
	s_waitcnt vmcnt(0)
	v_cvt_f32_f16_e64 v9, -v8
	v_cvt_f32_f16_sdwa v10, -v8 dst_sel:DWORD dst_unused:UNUSED_PAD src0_sel:WORD_1
	v_mul_f32_e32 v11, 0x3fb8aa3b, v9
	v_mul_f32_e32 v12, 0x3fb8aa3b, v10
	v_rndne_f32_e32 v13, v11
	v_fma_mix_f32 v14, -v8, s20, -v11 op_sel_hi:[1,0,0]
	v_rndne_f32_e32 v15, v12
	v_fma_mix_f32 v16, -v8, s20, -v12 op_sel:[1,0,0] op_sel_hi:[1,0,0]
	v_sub_f32_e32 v11, v11, v13
	v_fma_mix_f32 v14, -v8, s21, v14 op_sel_hi:[1,0,0]
	v_sub_f32_e32 v12, v12, v15
	v_fma_mix_f32 v8, -v8, s21, v16 op_sel:[1,0,0] op_sel_hi:[1,0,0]
	v_add_f32_e32 v11, v11, v14
	v_add_f32_e32 v8, v12, v8
	v_cvt_i32_f32_e32 v13, v13
	v_cvt_i32_f32_e32 v15, v15
	v_exp_f32_e32 v11, v11
	v_exp_f32_e32 v8, v8
	v_cmp_ngt_f32_e32 vcc, s22, v10
	v_cmp_ngt_f32_e64 s[2:3], s22, v9
	v_ldexp_f32 v11, v11, v13
	v_ldexp_f32 v8, v8, v15
	v_cndmask_b32_e64 v11, 0, v11, s[2:3]
	v_cndmask_b32_e32 v12, 0, v8, vcc
	v_cmp_nlt_f32_e32 vcc, s23, v10
	v_cmp_nlt_f32_e64 s[2:3], s23, v9
	v_cndmask_b32_e64 v8, v5, v11, s[2:3]
	v_cndmask_b32_e32 v9, v5, v12, vcc
	v_pk_add_f32 v[8:9], v[8:9], 1.0 op_sel_hi:[1,0]
	v_div_scale_f32 v10, s[2:3], v9, v9, 1.0
	v_div_scale_f32 v12, s[2:3], v8, v8, 1.0
	v_rcp_f32_e32 v14, v10
	v_rcp_f32_e32 v15, v12
	v_div_scale_f32 v11, vcc, 1.0, v9, 1.0
	v_fma_f32 v16, -v10, v14, 1.0
	v_fma_f32 v17, -v12, v15, 1.0
	v_fmac_f32_e32 v14, v16, v14
	v_div_scale_f32 v13, s[2:3], 1.0, v8, 1.0
	v_fmac_f32_e32 v15, v17, v15
	v_mul_f32_e32 v16, v11, v14
	v_mul_f32_e32 v17, v13, v15
	v_fma_f32 v18, -v10, v16, v11
	v_fma_f32 v19, -v12, v17, v13
	v_fmac_f32_e32 v16, v18, v14
	v_fmac_f32_e32 v17, v19, v15
	v_fma_f32 v10, -v10, v16, v11
	v_fma_f32 v11, -v12, v17, v13
	v_div_fmas_f32 v10, v10, v14, v16
	s_mov_b64 vcc, s[2:3]
	v_div_fixup_f32 v9, v10, v9, 1.0
	v_div_fmas_f32 v10, v11, v15, v17
	v_div_fixup_f32 v8, v10, v8, 1.0
	ds_write_b64 v4, v[8:9]
	v_add_u32_e32 v4, s19, v4
	s_andn2_b64 exec, exec, s[16:17]
	s_cbranch_execnz .LBB191_2
.LBB191_3:
	s_or_b64 exec, exec, s[14:15]
	s_cmp_lt_i32 s13, 1
	s_waitcnt lgkmcnt(0)
	s_barrier
	s_cbranch_scc1 .LBB191_10
; %bb.4:
	s_add_u32 s2, s4, 64
	s_addc_u32 s3, s5, 0
	v_lshlrev_b32_e32 v4, 1, v0
	s_mov_b32 s12, 0
	v_mov_b32_e32 v5, 0xff800000
                                        ; implicit-def: $vgpr3
                                        ; implicit-def: $vgpr2
	s_branch .LBB191_6
.LBB191_5:                              ;   in Loop: Header=BB191_6 Depth=1
	s_or_b64 exec, exec, s[14:15]
	v_mov_b32_dpp v9, v7 quad_perm:[1,0,3,2] row_mask:0xf bank_mask:0xf
	v_cmp_lt_f32_e32 vcc, v7, v9
	v_cndmask_b32_e32 v7, v7, v9, vcc
	v_mov_b32_dpp v8, v6 quad_perm:[1,0,3,2] row_mask:0xf bank_mask:0xf
	v_cndmask_b32_e32 v6, v6, v8, vcc
	v_mov_b32_dpp v9, v7 quad_perm:[2,3,0,1] row_mask:0xf bank_mask:0xf
	v_cmp_gt_f32_e32 vcc, v9, v7
	v_cndmask_b32_e32 v7, v7, v9, vcc
	v_mov_b32_dpp v8, v6 quad_perm:[2,3,0,1] row_mask:0xf bank_mask:0xf
	v_cndmask_b32_e32 v6, v6, v8, vcc
	v_mov_b32_dpp v9, v7 row_half_mirror row_mask:0xf bank_mask:0xf
	v_cmp_gt_f32_e32 vcc, v9, v7
	v_cndmask_b32_e32 v7, v7, v9, vcc
	v_mov_b32_dpp v8, v6 row_half_mirror row_mask:0xf bank_mask:0xf
	v_cndmask_b32_e32 v6, v6, v8, vcc
	v_mov_b32_dpp v9, v7 row_mirror row_mask:0xf bank_mask:0xf
	v_cmp_gt_f32_e32 vcc, v9, v7
	v_cndmask_b32_e32 v7, v7, v9, vcc
	v_mov_b32_dpp v8, v6 row_mirror row_mask:0xf bank_mask:0xf
	v_cndmask_b32_e32 v6, v6, v8, vcc
	v_mov_b32_dpp v9, v7 row_bcast:15 row_mask:0xf bank_mask:0xf
	v_cmp_gt_f32_e32 vcc, v9, v7
	v_mov_b32_dpp v8, v6 row_bcast:15 row_mask:0xf bank_mask:0xf
	v_cndmask_b32_e32 v7, v7, v9, vcc
	v_cndmask_b32_e32 v6, v6, v8, vcc
	s_nop 0
	v_mov_b32_dpp v9, v7 row_bcast:31 row_mask:0xf bank_mask:0xf
	v_mov_b32_dpp v8, v6 row_bcast:31 row_mask:0xf bank_mask:0xf
	v_cmp_gt_f32_e32 vcc, v9, v7
	v_cndmask_b32_e32 v6, v6, v8, vcc
	v_readlane_b32 s15, v6, 63
	s_lshl_b32 s16, s15, 2
	s_add_i32 s16, s16, 0
	v_cndmask_b32_e32 v7, v7, v9, vcc
	v_mov_b32_e32 v6, s16
	v_readlane_b32 s14, v7, 63
	ds_write_b32 v6, v5
	v_mov_b32_e32 v6, s15
	v_cmp_eq_u32_e32 vcc, s12, v0
	v_cndmask_b32_e32 v2, v2, v6, vcc
	v_mov_b32_e32 v6, s14
	s_add_i32 s12, s12, 1
	s_cmp_eq_u32 s12, s13
	v_cndmask_b32_e32 v3, v3, v6, vcc
	s_cbranch_scc1 .LBB191_11
.LBB191_6:                              ; =>This Loop Header: Depth=1
                                        ;     Child Loop BB191_8 Depth 2
	v_mov_b32_e32 v6, s12
	v_mov_b32_e32 v7, 0xff800000
	s_and_saveexec_b64 s[14:15], s[0:1]
	s_cbranch_execz .LBB191_5
; %bb.7:                                ;   in Loop: Header=BB191_6 Depth=1
	s_load_dword s18, s[2:3], 0xc
	s_mov_b64 s[16:17], 0
	v_mov_b32_e32 v6, s12
	v_mov_b32_e32 v7, 0xff800000
	;; [unrolled: 1-line block ×3, first 2 shown]
	s_waitcnt lgkmcnt(0)
	s_and_b32 s18, s18, 0xffff
	s_lshl_b32 s19, s18, 1
	s_lshl_b32 s20, s18, 3
	v_mov_b32_e32 v9, v4
	v_mov_b32_e32 v10, v0
.LBB191_8:                              ;   Parent Loop BB191_6 Depth=1
                                        ; =>  This Inner Loop Header: Depth=2
	ds_read_b64 v[12:13], v8
	v_add_u32_e32 v10, s18, v10
	v_cmp_le_i32_e32 vcc, s7, v10
	s_or_b64 s[16:17], vcc, s[16:17]
	v_add_u32_e32 v11, 1, v9
	s_waitcnt lgkmcnt(0)
	v_cmp_gt_f32_e32 vcc, v12, v7
	v_cndmask_b32_e32 v7, v7, v12, vcc
	v_cndmask_b32_e32 v6, v6, v9, vcc
	v_cmp_gt_f32_e32 vcc, v13, v7
	v_add_u32_e32 v8, s20, v8
	v_cndmask_b32_e32 v7, v7, v13, vcc
	v_add_u32_e32 v9, s19, v9
	v_cndmask_b32_e32 v6, v6, v11, vcc
	s_andn2_b64 exec, exec, s[16:17]
	s_cbranch_execnz .LBB191_8
; %bb.9:                                ;   in Loop: Header=BB191_6 Depth=1
	s_or_b64 exec, exec, s[16:17]
	s_branch .LBB191_5
.LBB191_10:
                                        ; implicit-def: $vgpr3
                                        ; implicit-def: $vgpr2
.LBB191_11:
	v_cmp_gt_i32_e32 vcc, s13, v0
	s_and_saveexec_b64 s[0:1], vcc
	s_cbranch_execz .LBB191_14
; %bb.12:
	s_load_dword s2, s[4:5], 0x38
	s_load_dwordx2 s[0:1], s[4:5], 0x20
	s_ashr_i32 s3, s6, 31
	s_load_dword s4, s[4:5], 0x4c
	v_mov_b32_e32 v4, s9
	s_waitcnt lgkmcnt(0)
	v_mul_f32_e32 v1, s2, v3
	s_mul_i32 s1, s6, s1
	s_mul_hi_u32 s2, s6, s0
	s_add_i32 s1, s2, s1
	s_mul_i32 s3, s3, s0
	s_add_i32 s5, s1, s3
	s_mul_i32 s2, s6, s0
	s_and_b32 s3, s4, 0xffff
	s_mov_b64 s[0:1], 0
	v_mov_b32_e32 v3, s5
	v_mov_b32_e32 v5, s11
.LBB191_13:                             ; =>This Inner Loop Header: Depth=1
	v_ashrrev_i32_e32 v7, 31, v0
	v_add_co_u32_e32 v6, vcc, s2, v0
	v_addc_co_u32_e32 v7, vcc, v3, v7, vcc
	v_add_u32_e32 v0, s3, v0
	v_cmp_le_i32_e32 vcc, s13, v0
	v_lshlrev_b64 v[6:7], 2, v[6:7]
	s_or_b64 s[0:1], vcc, s[0:1]
	v_add_co_u32_e32 v8, vcc, s8, v6
	v_addc_co_u32_e32 v9, vcc, v4, v7, vcc
	v_add_co_u32_e32 v6, vcc, s10, v6
	v_addc_co_u32_e32 v7, vcc, v5, v7, vcc
	global_store_dword v[8:9], v1, off
	global_store_dword v[6:7], v2, off
	s_andn2_b64 exec, exec, s[0:1]
	s_cbranch_execnz .LBB191_13
.LBB191_14:
	s_endpgm
	.section	.rodata,"a",@progbits
	.p2align	6, 0x0
	.amdhsa_kernel _ZN5aiter19grouped_topk_kernelIN3c104HalfEDv2_fLi1ELb0ELb0ELb0EEEvPT_PKS4_PfPimiiiif
		.amdhsa_group_segment_fixed_size 0
		.amdhsa_private_segment_fixed_size 0
		.amdhsa_kernarg_size 320
		.amdhsa_user_sgpr_count 6
		.amdhsa_user_sgpr_private_segment_buffer 1
		.amdhsa_user_sgpr_dispatch_ptr 0
		.amdhsa_user_sgpr_queue_ptr 0
		.amdhsa_user_sgpr_kernarg_segment_ptr 1
		.amdhsa_user_sgpr_dispatch_id 0
		.amdhsa_user_sgpr_flat_scratch_init 0
		.amdhsa_user_sgpr_kernarg_preload_length 0
		.amdhsa_user_sgpr_kernarg_preload_offset 0
		.amdhsa_user_sgpr_private_segment_size 0
		.amdhsa_uses_dynamic_stack 0
		.amdhsa_system_sgpr_private_segment_wavefront_offset 0
		.amdhsa_system_sgpr_workgroup_id_x 1
		.amdhsa_system_sgpr_workgroup_id_y 0
		.amdhsa_system_sgpr_workgroup_id_z 0
		.amdhsa_system_sgpr_workgroup_info 0
		.amdhsa_system_vgpr_workitem_id 0
		.amdhsa_next_free_vgpr 20
		.amdhsa_next_free_sgpr 25
		.amdhsa_accum_offset 20
		.amdhsa_reserve_vcc 1
		.amdhsa_reserve_flat_scratch 0
		.amdhsa_float_round_mode_32 0
		.amdhsa_float_round_mode_16_64 0
		.amdhsa_float_denorm_mode_32 3
		.amdhsa_float_denorm_mode_16_64 3
		.amdhsa_dx10_clamp 1
		.amdhsa_ieee_mode 1
		.amdhsa_fp16_overflow 0
		.amdhsa_tg_split 0
		.amdhsa_exception_fp_ieee_invalid_op 0
		.amdhsa_exception_fp_denorm_src 0
		.amdhsa_exception_fp_ieee_div_zero 0
		.amdhsa_exception_fp_ieee_overflow 0
		.amdhsa_exception_fp_ieee_underflow 0
		.amdhsa_exception_fp_ieee_inexact 0
		.amdhsa_exception_int_div_zero 0
	.end_amdhsa_kernel
	.section	.text._ZN5aiter19grouped_topk_kernelIN3c104HalfEDv2_fLi1ELb0ELb0ELb0EEEvPT_PKS4_PfPimiiiif,"axG",@progbits,_ZN5aiter19grouped_topk_kernelIN3c104HalfEDv2_fLi1ELb0ELb0ELb0EEEvPT_PKS4_PfPimiiiif,comdat
.Lfunc_end191:
	.size	_ZN5aiter19grouped_topk_kernelIN3c104HalfEDv2_fLi1ELb0ELb0ELb0EEEvPT_PKS4_PfPimiiiif, .Lfunc_end191-_ZN5aiter19grouped_topk_kernelIN3c104HalfEDv2_fLi1ELb0ELb0ELb0EEEvPT_PKS4_PfPimiiiif
                                        ; -- End function
	.section	.AMDGPU.csdata,"",@progbits
; Kernel info:
; codeLenInByte = 1184
; NumSgprs: 29
; NumVgprs: 20
; NumAgprs: 0
; TotalNumVgprs: 20
; ScratchSize: 0
; MemoryBound: 0
; FloatMode: 240
; IeeeMode: 1
; LDSByteSize: 0 bytes/workgroup (compile time only)
; SGPRBlocks: 3
; VGPRBlocks: 2
; NumSGPRsForWavesPerEU: 29
; NumVGPRsForWavesPerEU: 20
; AccumOffset: 20
; Occupancy: 8
; WaveLimiterHint : 0
; COMPUTE_PGM_RSRC2:SCRATCH_EN: 0
; COMPUTE_PGM_RSRC2:USER_SGPR: 6
; COMPUTE_PGM_RSRC2:TRAP_HANDLER: 0
; COMPUTE_PGM_RSRC2:TGID_X_EN: 1
; COMPUTE_PGM_RSRC2:TGID_Y_EN: 0
; COMPUTE_PGM_RSRC2:TGID_Z_EN: 0
; COMPUTE_PGM_RSRC2:TIDIG_COMP_CNT: 0
; COMPUTE_PGM_RSRC3_GFX90A:ACCUM_OFFSET: 4
; COMPUTE_PGM_RSRC3_GFX90A:TG_SPLIT: 0
	.section	.text._ZN5aiter19grouped_topk_kernelIN3c108BFloat16EDv2_fLi1ELb0ELb0ELb0EEEvPT_PKS4_PfPimiiiif,"axG",@progbits,_ZN5aiter19grouped_topk_kernelIN3c108BFloat16EDv2_fLi1ELb0ELb0ELb0EEEvPT_PKS4_PfPimiiiif,comdat
	.protected	_ZN5aiter19grouped_topk_kernelIN3c108BFloat16EDv2_fLi1ELb0ELb0ELb0EEEvPT_PKS4_PfPimiiiif ; -- Begin function _ZN5aiter19grouped_topk_kernelIN3c108BFloat16EDv2_fLi1ELb0ELb0ELb0EEEvPT_PKS4_PfPimiiiif
	.globl	_ZN5aiter19grouped_topk_kernelIN3c108BFloat16EDv2_fLi1ELb0ELb0ELb0EEEvPT_PKS4_PfPimiiiif
	.p2align	8
	.type	_ZN5aiter19grouped_topk_kernelIN3c108BFloat16EDv2_fLi1ELb0ELb0ELb0EEEvPT_PKS4_PfPimiiiif,@function
_ZN5aiter19grouped_topk_kernelIN3c108BFloat16EDv2_fLi1ELb0ELb0ELb0EEEvPT_PKS4_PfPimiiiif: ; @_ZN5aiter19grouped_topk_kernelIN3c108BFloat16EDv2_fLi1ELb0ELb0ELb0EEEvPT_PKS4_PfPimiiiif
; %bb.0:
	s_load_dwordx2 s[12:13], s[4:5], 0x28
	s_load_dwordx4 s[8:11], s[4:5], 0x10
	v_lshl_add_u32 v1, v0, 3, 0
	s_waitcnt lgkmcnt(0)
	s_lshr_b32 s0, s12, 31
	s_add_i32 s0, s12, s0
	s_ashr_i32 s7, s0, 1
	v_cmp_gt_i32_e64 s[0:1], s7, v0
	s_and_saveexec_b64 s[14:15], s[0:1]
	s_cbranch_execz .LBB192_3
; %bb.1:
	s_load_dword s18, s[4:5], 0x4c
	s_load_dwordx2 s[2:3], s[4:5], 0x0
	s_mul_i32 s16, s6, s12
	s_ashr_i32 s17, s16, 31
	s_lshl_b64 s[16:17], s[16:17], 1
	s_waitcnt lgkmcnt(0)
	s_and_b32 s12, s18, 0xffff
	s_add_u32 s2, s2, s16
	v_lshlrev_b32_e32 v2, 2, v0
	s_addc_u32 s3, s3, s17
	s_mov_b32 s23, 0
	v_mov_b32_e32 v3, s3
	v_add_co_u32_e32 v2, vcc, s2, v2
	v_addc_co_u32_e32 v3, vcc, 0, v3, vcc
	s_lshl_b32 s18, s12, 2
	v_lshl_add_u32 v4, v0, 3, 0
	s_lshl_b32 s19, s12, 3
	s_mov_b64 s[16:17], 0
	s_mov_b32 s20, 0xbfb8aa3b
	s_mov_b32 s21, 0x42ce8ed0
	;; [unrolled: 1-line block ×3, first 2 shown]
	v_mov_b32_e32 v5, 0x7f800000
	v_mov_b32_e32 v6, s23
	;; [unrolled: 1-line block ×3, first 2 shown]
.LBB192_2:                              ; =>This Inner Loop Header: Depth=1
	global_load_dword v8, v[2:3], off
	v_add_co_u32_e32 v2, vcc, s18, v2
	v_add_u32_e32 v7, s12, v7
	v_addc_co_u32_e32 v3, vcc, v3, v6, vcc
	v_cmp_le_i32_e32 vcc, s7, v7
	s_or_b64 s[16:17], vcc, s[16:17]
	s_waitcnt vmcnt(0)
	v_cvt_f32_u32_sdwa v9, v8 dst_sel:DWORD dst_unused:UNUSED_PAD src0_sel:WORD_1
	v_cvt_f32_u32_sdwa v8, v8 dst_sel:DWORD dst_unused:UNUSED_PAD src0_sel:WORD_0
	v_mul_f32_e32 v10, 0xbfb8aa3b, v9
	v_mul_f32_e32 v11, 0xbfb8aa3b, v8
	v_fma_f32 v12, v9, s20, -v10
	v_rndne_f32_e32 v13, v10
	v_fma_f32 v14, v8, s20, -v11
	v_rndne_f32_e32 v15, v11
	v_fmac_f32_e32 v12, 0xb2a5705f, v9
	v_sub_f32_e32 v10, v10, v13
	v_fmac_f32_e32 v14, 0xb2a5705f, v8
	v_sub_f32_e32 v11, v11, v15
	v_add_f32_e32 v10, v10, v12
	v_add_f32_e32 v11, v11, v14
	v_cvt_i32_f32_e32 v13, v13
	v_cvt_i32_f32_e32 v15, v15
	v_exp_f32_e32 v10, v10
	v_exp_f32_e32 v11, v11
	v_cmp_nlt_f32_e32 vcc, s21, v8
	v_cmp_nlt_f32_e64 s[2:3], s21, v9
	v_ldexp_f32 v10, v10, v13
	v_ldexp_f32 v11, v11, v15
	v_cndmask_b32_e64 v10, 0, v10, s[2:3]
	v_cndmask_b32_e32 v11, 0, v11, vcc
	v_cmp_ngt_f32_e32 vcc, s22, v8
	v_cmp_ngt_f32_e64 s[2:3], s22, v9
	v_cndmask_b32_e64 v9, v5, v10, s[2:3]
	v_cndmask_b32_e32 v8, v5, v11, vcc
	v_pk_add_f32 v[8:9], v[8:9], 1.0 op_sel_hi:[1,0]
	v_div_scale_f32 v10, s[2:3], v9, v9, 1.0
	v_div_scale_f32 v12, s[2:3], v8, v8, 1.0
	v_rcp_f32_e32 v14, v10
	v_rcp_f32_e32 v15, v12
	v_div_scale_f32 v11, vcc, 1.0, v9, 1.0
	v_fma_f32 v16, -v10, v14, 1.0
	v_fma_f32 v17, -v12, v15, 1.0
	v_fmac_f32_e32 v14, v16, v14
	v_div_scale_f32 v13, s[2:3], 1.0, v8, 1.0
	v_fmac_f32_e32 v15, v17, v15
	v_mul_f32_e32 v16, v11, v14
	v_mul_f32_e32 v17, v13, v15
	v_fma_f32 v18, -v10, v16, v11
	v_fma_f32 v19, -v12, v17, v13
	v_fmac_f32_e32 v16, v18, v14
	v_fmac_f32_e32 v17, v19, v15
	v_fma_f32 v10, -v10, v16, v11
	v_fma_f32 v11, -v12, v17, v13
	v_div_fmas_f32 v10, v10, v14, v16
	s_mov_b64 vcc, s[2:3]
	v_div_fixup_f32 v9, v10, v9, 1.0
	v_div_fmas_f32 v10, v11, v15, v17
	v_div_fixup_f32 v8, v10, v8, 1.0
	ds_write_b64 v4, v[8:9]
	v_add_u32_e32 v4, s19, v4
	s_andn2_b64 exec, exec, s[16:17]
	s_cbranch_execnz .LBB192_2
.LBB192_3:
	s_or_b64 exec, exec, s[14:15]
	s_cmp_lt_i32 s13, 1
	s_waitcnt lgkmcnt(0)
	s_barrier
	s_cbranch_scc1 .LBB192_10
; %bb.4:
	s_add_u32 s2, s4, 64
	s_addc_u32 s3, s5, 0
	v_lshlrev_b32_e32 v4, 1, v0
	s_mov_b32 s12, 0
	v_mov_b32_e32 v5, 0xff800000
                                        ; implicit-def: $vgpr3
                                        ; implicit-def: $vgpr2
	s_branch .LBB192_6
.LBB192_5:                              ;   in Loop: Header=BB192_6 Depth=1
	s_or_b64 exec, exec, s[14:15]
	v_mov_b32_dpp v9, v7 quad_perm:[1,0,3,2] row_mask:0xf bank_mask:0xf
	v_cmp_lt_f32_e32 vcc, v7, v9
	v_cndmask_b32_e32 v7, v7, v9, vcc
	v_mov_b32_dpp v8, v6 quad_perm:[1,0,3,2] row_mask:0xf bank_mask:0xf
	v_cndmask_b32_e32 v6, v6, v8, vcc
	v_mov_b32_dpp v9, v7 quad_perm:[2,3,0,1] row_mask:0xf bank_mask:0xf
	v_cmp_gt_f32_e32 vcc, v9, v7
	v_cndmask_b32_e32 v7, v7, v9, vcc
	v_mov_b32_dpp v8, v6 quad_perm:[2,3,0,1] row_mask:0xf bank_mask:0xf
	v_cndmask_b32_e32 v6, v6, v8, vcc
	v_mov_b32_dpp v9, v7 row_half_mirror row_mask:0xf bank_mask:0xf
	v_cmp_gt_f32_e32 vcc, v9, v7
	v_cndmask_b32_e32 v7, v7, v9, vcc
	v_mov_b32_dpp v8, v6 row_half_mirror row_mask:0xf bank_mask:0xf
	v_cndmask_b32_e32 v6, v6, v8, vcc
	v_mov_b32_dpp v9, v7 row_mirror row_mask:0xf bank_mask:0xf
	v_cmp_gt_f32_e32 vcc, v9, v7
	v_cndmask_b32_e32 v7, v7, v9, vcc
	v_mov_b32_dpp v8, v6 row_mirror row_mask:0xf bank_mask:0xf
	v_cndmask_b32_e32 v6, v6, v8, vcc
	v_mov_b32_dpp v9, v7 row_bcast:15 row_mask:0xf bank_mask:0xf
	v_cmp_gt_f32_e32 vcc, v9, v7
	v_mov_b32_dpp v8, v6 row_bcast:15 row_mask:0xf bank_mask:0xf
	v_cndmask_b32_e32 v7, v7, v9, vcc
	v_cndmask_b32_e32 v6, v6, v8, vcc
	s_nop 0
	v_mov_b32_dpp v9, v7 row_bcast:31 row_mask:0xf bank_mask:0xf
	v_mov_b32_dpp v8, v6 row_bcast:31 row_mask:0xf bank_mask:0xf
	v_cmp_gt_f32_e32 vcc, v9, v7
	v_cndmask_b32_e32 v6, v6, v8, vcc
	v_readlane_b32 s15, v6, 63
	s_lshl_b32 s16, s15, 2
	s_add_i32 s16, s16, 0
	v_cndmask_b32_e32 v7, v7, v9, vcc
	v_mov_b32_e32 v6, s16
	v_readlane_b32 s14, v7, 63
	ds_write_b32 v6, v5
	v_mov_b32_e32 v6, s15
	v_cmp_eq_u32_e32 vcc, s12, v0
	v_cndmask_b32_e32 v2, v2, v6, vcc
	v_mov_b32_e32 v6, s14
	s_add_i32 s12, s12, 1
	s_cmp_eq_u32 s12, s13
	v_cndmask_b32_e32 v3, v3, v6, vcc
	s_cbranch_scc1 .LBB192_11
.LBB192_6:                              ; =>This Loop Header: Depth=1
                                        ;     Child Loop BB192_8 Depth 2
	v_mov_b32_e32 v6, s12
	v_mov_b32_e32 v7, 0xff800000
	s_and_saveexec_b64 s[14:15], s[0:1]
	s_cbranch_execz .LBB192_5
; %bb.7:                                ;   in Loop: Header=BB192_6 Depth=1
	s_load_dword s18, s[2:3], 0xc
	s_mov_b64 s[16:17], 0
	v_mov_b32_e32 v6, s12
	v_mov_b32_e32 v7, 0xff800000
	;; [unrolled: 1-line block ×3, first 2 shown]
	s_waitcnt lgkmcnt(0)
	s_and_b32 s18, s18, 0xffff
	s_lshl_b32 s19, s18, 1
	s_lshl_b32 s20, s18, 3
	v_mov_b32_e32 v9, v4
	v_mov_b32_e32 v10, v0
.LBB192_8:                              ;   Parent Loop BB192_6 Depth=1
                                        ; =>  This Inner Loop Header: Depth=2
	ds_read_b64 v[12:13], v8
	v_add_u32_e32 v10, s18, v10
	v_cmp_le_i32_e32 vcc, s7, v10
	s_or_b64 s[16:17], vcc, s[16:17]
	v_add_u32_e32 v11, 1, v9
	s_waitcnt lgkmcnt(0)
	v_cmp_gt_f32_e32 vcc, v12, v7
	v_cndmask_b32_e32 v7, v7, v12, vcc
	v_cndmask_b32_e32 v6, v6, v9, vcc
	v_cmp_gt_f32_e32 vcc, v13, v7
	v_add_u32_e32 v8, s20, v8
	v_cndmask_b32_e32 v7, v7, v13, vcc
	v_add_u32_e32 v9, s19, v9
	v_cndmask_b32_e32 v6, v6, v11, vcc
	s_andn2_b64 exec, exec, s[16:17]
	s_cbranch_execnz .LBB192_8
; %bb.9:                                ;   in Loop: Header=BB192_6 Depth=1
	s_or_b64 exec, exec, s[16:17]
	s_branch .LBB192_5
.LBB192_10:
                                        ; implicit-def: $vgpr3
                                        ; implicit-def: $vgpr2
.LBB192_11:
	v_cmp_gt_i32_e32 vcc, s13, v0
	s_and_saveexec_b64 s[0:1], vcc
	s_cbranch_execz .LBB192_14
; %bb.12:
	s_load_dword s2, s[4:5], 0x38
	s_load_dwordx2 s[0:1], s[4:5], 0x20
	s_ashr_i32 s3, s6, 31
	s_load_dword s4, s[4:5], 0x4c
	v_mov_b32_e32 v4, s9
	s_waitcnt lgkmcnt(0)
	v_mul_f32_e32 v1, s2, v3
	s_mul_i32 s1, s6, s1
	s_mul_hi_u32 s2, s6, s0
	s_add_i32 s1, s2, s1
	s_mul_i32 s3, s3, s0
	s_add_i32 s5, s1, s3
	s_mul_i32 s2, s6, s0
	s_and_b32 s3, s4, 0xffff
	s_mov_b64 s[0:1], 0
	v_mov_b32_e32 v3, s5
	v_mov_b32_e32 v5, s11
.LBB192_13:                             ; =>This Inner Loop Header: Depth=1
	v_ashrrev_i32_e32 v7, 31, v0
	v_add_co_u32_e32 v6, vcc, s2, v0
	v_addc_co_u32_e32 v7, vcc, v3, v7, vcc
	v_add_u32_e32 v0, s3, v0
	v_cmp_le_i32_e32 vcc, s13, v0
	v_lshlrev_b64 v[6:7], 2, v[6:7]
	s_or_b64 s[0:1], vcc, s[0:1]
	v_add_co_u32_e32 v8, vcc, s8, v6
	v_addc_co_u32_e32 v9, vcc, v4, v7, vcc
	v_add_co_u32_e32 v6, vcc, s10, v6
	v_addc_co_u32_e32 v7, vcc, v5, v7, vcc
	global_store_dword v[8:9], v1, off
	global_store_dword v[6:7], v2, off
	s_andn2_b64 exec, exec, s[0:1]
	s_cbranch_execnz .LBB192_13
.LBB192_14:
	s_endpgm
	.section	.rodata,"a",@progbits
	.p2align	6, 0x0
	.amdhsa_kernel _ZN5aiter19grouped_topk_kernelIN3c108BFloat16EDv2_fLi1ELb0ELb0ELb0EEEvPT_PKS4_PfPimiiiif
		.amdhsa_group_segment_fixed_size 0
		.amdhsa_private_segment_fixed_size 0
		.amdhsa_kernarg_size 320
		.amdhsa_user_sgpr_count 6
		.amdhsa_user_sgpr_private_segment_buffer 1
		.amdhsa_user_sgpr_dispatch_ptr 0
		.amdhsa_user_sgpr_queue_ptr 0
		.amdhsa_user_sgpr_kernarg_segment_ptr 1
		.amdhsa_user_sgpr_dispatch_id 0
		.amdhsa_user_sgpr_flat_scratch_init 0
		.amdhsa_user_sgpr_kernarg_preload_length 0
		.amdhsa_user_sgpr_kernarg_preload_offset 0
		.amdhsa_user_sgpr_private_segment_size 0
		.amdhsa_uses_dynamic_stack 0
		.amdhsa_system_sgpr_private_segment_wavefront_offset 0
		.amdhsa_system_sgpr_workgroup_id_x 1
		.amdhsa_system_sgpr_workgroup_id_y 0
		.amdhsa_system_sgpr_workgroup_id_z 0
		.amdhsa_system_sgpr_workgroup_info 0
		.amdhsa_system_vgpr_workitem_id 0
		.amdhsa_next_free_vgpr 20
		.amdhsa_next_free_sgpr 24
		.amdhsa_accum_offset 20
		.amdhsa_reserve_vcc 1
		.amdhsa_reserve_flat_scratch 0
		.amdhsa_float_round_mode_32 0
		.amdhsa_float_round_mode_16_64 0
		.amdhsa_float_denorm_mode_32 3
		.amdhsa_float_denorm_mode_16_64 3
		.amdhsa_dx10_clamp 1
		.amdhsa_ieee_mode 1
		.amdhsa_fp16_overflow 0
		.amdhsa_tg_split 0
		.amdhsa_exception_fp_ieee_invalid_op 0
		.amdhsa_exception_fp_denorm_src 0
		.amdhsa_exception_fp_ieee_div_zero 0
		.amdhsa_exception_fp_ieee_overflow 0
		.amdhsa_exception_fp_ieee_underflow 0
		.amdhsa_exception_fp_ieee_inexact 0
		.amdhsa_exception_int_div_zero 0
	.end_amdhsa_kernel
	.section	.text._ZN5aiter19grouped_topk_kernelIN3c108BFloat16EDv2_fLi1ELb0ELb0ELb0EEEvPT_PKS4_PfPimiiiif,"axG",@progbits,_ZN5aiter19grouped_topk_kernelIN3c108BFloat16EDv2_fLi1ELb0ELb0ELb0EEEvPT_PKS4_PfPimiiiif,comdat
.Lfunc_end192:
	.size	_ZN5aiter19grouped_topk_kernelIN3c108BFloat16EDv2_fLi1ELb0ELb0ELb0EEEvPT_PKS4_PfPimiiiif, .Lfunc_end192-_ZN5aiter19grouped_topk_kernelIN3c108BFloat16EDv2_fLi1ELb0ELb0ELb0EEEvPT_PKS4_PfPimiiiif
                                        ; -- End function
	.section	.AMDGPU.csdata,"",@progbits
; Kernel info:
; codeLenInByte = 1176
; NumSgprs: 28
; NumVgprs: 20
; NumAgprs: 0
; TotalNumVgprs: 20
; ScratchSize: 0
; MemoryBound: 0
; FloatMode: 240
; IeeeMode: 1
; LDSByteSize: 0 bytes/workgroup (compile time only)
; SGPRBlocks: 3
; VGPRBlocks: 2
; NumSGPRsForWavesPerEU: 28
; NumVGPRsForWavesPerEU: 20
; AccumOffset: 20
; Occupancy: 8
; WaveLimiterHint : 0
; COMPUTE_PGM_RSRC2:SCRATCH_EN: 0
; COMPUTE_PGM_RSRC2:USER_SGPR: 6
; COMPUTE_PGM_RSRC2:TRAP_HANDLER: 0
; COMPUTE_PGM_RSRC2:TGID_X_EN: 1
; COMPUTE_PGM_RSRC2:TGID_Y_EN: 0
; COMPUTE_PGM_RSRC2:TGID_Z_EN: 0
; COMPUTE_PGM_RSRC2:TIDIG_COMP_CNT: 0
; COMPUTE_PGM_RSRC3_GFX90A:ACCUM_OFFSET: 4
; COMPUTE_PGM_RSRC3_GFX90A:TG_SPLIT: 0
	.section	.text._ZN5aiter28grouped_topk_opt_sort_kernelIfDv1_fLi8ELb1ELb1ELb0EEEvPT_PKS2_PfPimiiiif,"axG",@progbits,_ZN5aiter28grouped_topk_opt_sort_kernelIfDv1_fLi8ELb1ELb1ELb0EEEvPT_PKS2_PfPimiiiif,comdat
	.protected	_ZN5aiter28grouped_topk_opt_sort_kernelIfDv1_fLi8ELb1ELb1ELb0EEEvPT_PKS2_PfPimiiiif ; -- Begin function _ZN5aiter28grouped_topk_opt_sort_kernelIfDv1_fLi8ELb1ELb1ELb0EEEvPT_PKS2_PfPimiiiif
	.globl	_ZN5aiter28grouped_topk_opt_sort_kernelIfDv1_fLi8ELb1ELb1ELb0EEEvPT_PKS2_PfPimiiiif
	.p2align	8
	.type	_ZN5aiter28grouped_topk_opt_sort_kernelIfDv1_fLi8ELb1ELb1ELb0EEEvPT_PKS2_PfPimiiiif,@function
_ZN5aiter28grouped_topk_opt_sort_kernelIfDv1_fLi8ELb1ELb1ELb0EEEvPT_PKS2_PfPimiiiif: ; @_ZN5aiter28grouped_topk_opt_sort_kernelIfDv1_fLi8ELb1ELb1ELb0EEEvPT_PKS2_PfPimiiiif
; %bb.0:
	s_load_dwordx4 s[16:19], s[4:5], 0x28
	s_load_dwordx4 s[12:15], s[4:5], 0x0
	v_lshlrev_b32_e32 v1, 2, v0
	v_bfe_u32 v15, v0, 1, 1
	v_and_b32_e32 v14, 1, v0
	s_waitcnt lgkmcnt(0)
	s_lshl_b32 s1, s16, 2
	s_mul_i32 s0, s6, s16
	s_add_i32 s7, s1, 0
	s_ashr_i32 s1, s0, 31
	s_lshl_b64 s[0:1], s[0:1], 2
	s_add_u32 s0, s12, s0
	s_addc_u32 s1, s13, s1
	global_load_dword v7, v1, s[0:1]
	global_load_dword v10, v1, s[14:15]
	s_mov_b32 s0, 0x652b82fe
	s_mov_b32 s1, 0xbff71547
	v_mov_b32_e32 v3, 0xff800000
	v_mov_b32_e32 v4, 0x7f800000
	v_bfe_u32 v5, v0, 2, 1
	v_cmp_eq_u32_e32 vcc, v14, v15
	v_cndmask_b32_e32 v16, v3, v4, vcc
	v_cmp_eq_u32_e32 vcc, v15, v5
	s_mov_b32 s2, 0xc2fc0000
	v_cndmask_b32_e32 v17, v3, v4, vcc
	v_cmp_eq_u32_e32 vcc, v14, v5
	v_mov_b32_e32 v11, 0x42800000
	v_cndmask_b32_e32 v18, v3, v4, vcc
	v_mov_b32_e32 v12, 0x1f800000
	v_mov_b32_dpp v6, v3 quad_perm:[1,0,3,2] row_mask:0xf bank_mask:0xf bound_ctrl:1
	v_max_f32_e32 v20, v6, v6
	v_mbcnt_lo_u32_b32 v2, -1, 0
	v_mbcnt_hi_u32_b32 v2, -1, v2
	v_lshlrev_b32_e32 v13, 3, v0
	v_and_b32_e32 v6, 64, v2
	v_and_b32_e32 v19, 4, v0
	s_waitcnt vmcnt(1)
	v_cvt_f64_f32_e32 v[8:9], v7
	v_mul_f64 v[8:9], v[8:9], s[0:1]
	v_cvt_f32_f64_e32 v7, v[8:9]
	v_cmp_gt_f32_e32 vcc, s2, v7
	v_cndmask_b32_e32 v8, 0, v11, vcc
	v_add_f32_e32 v7, v7, v8
	v_exp_f32_e32 v7, v7
	v_cndmask_b32_e32 v9, 1.0, v12, vcc
	v_and_or_b32 v11, v13, 56, v6
	v_cmp_eq_u32_e64 s[0:1], 0, v19
	v_fma_f32 v7, v7, v9, 1.0
	v_rcp_f32_e32 v7, v7
	v_max_f32_e32 v9, 0xff800000, v20
	v_lshlrev_b32_e32 v11, 2, v11
	v_cndmask_b32_e64 v8, v3, v4, s[0:1]
	s_waitcnt vmcnt(0)
	v_add_f32_e32 v7, v10, v7
	v_cmp_o_f32_e32 vcc, v7, v7
	v_cndmask_b32_e32 v7, v3, v7, vcc
	v_cmp_eq_u32_e32 vcc, 0, v15
	s_nop 0
	v_mov_b32_dpp v10, v7 quad_perm:[1,0,3,2] row_mask:0xf bank_mask:0xf bound_ctrl:1
	v_med3_f32 v9, v10, v7, v9
	v_max_f32_e32 v10, v10, v10
	v_max_f32_e32 v10, v10, v7
	v_mov_b32_dpp v12, v9 quad_perm:[2,3,0,1] row_mask:0xf bank_mask:0xf bound_ctrl:1
	v_max_f32_e32 v12, v12, v12
	v_mov_b32_dpp v13, v10 quad_perm:[2,3,0,1] row_mask:0xf bank_mask:0xf bound_ctrl:1
	v_max_f32_e32 v9, v12, v9
	v_max_f32_e32 v12, v13, v13
	v_med3_f32 v9, v13, v10, v9
	v_max_f32_e32 v10, v12, v10
	s_nop 0
	v_mov_b32_dpp v13, v9 row_half_mirror row_mask:0xf bank_mask:0xf bound_ctrl:1
	v_mov_b32_dpp v12, v10 row_half_mirror row_mask:0xf bank_mask:0xf bound_ctrl:1
	v_max_f32_e32 v13, v13, v13
	v_max_f32_e32 v19, v12, v12
	;; [unrolled: 1-line block ×4, first 2 shown]
	v_med3_f32 v9, v12, v10, v9
	v_add_f32_e32 v9, v13, v9
	ds_bpermute_b32 v12, v11, v9
	v_cndmask_b32_e32 v9, v3, v4, vcc
	v_cmp_eq_u32_e32 vcc, 0, v14
	v_cndmask_b32_e32 v10, v3, v4, vcc
	v_lshlrev_b32_e32 v11, 2, v6
	s_waitcnt lgkmcnt(0)
	v_mov_b32_dpp v13, v12 quad_perm:[1,0,3,2] row_mask:0xf bank_mask:0xf bound_ctrl:1
	v_med3_f32 v13, v12, v13, v16
	s_nop 1
	v_mov_b32_dpp v19, v13 quad_perm:[2,3,0,1] row_mask:0xf bank_mask:0xf bound_ctrl:1
	v_med3_f32 v13, v13, v19, v17
	s_nop 1
	v_mov_b32_dpp v19, v13 quad_perm:[1,0,3,2] row_mask:0xf bank_mask:0xf bound_ctrl:1
	v_med3_f32 v13, v13, v19, v18
	s_nop 1
	v_mov_b32_dpp v19, v13 row_shl:4 row_mask:0xf bank_mask:0x5 bound_ctrl:1
	s_nop 1
	v_mov_b32_dpp v19, v13 row_shr:4 row_mask:0xf bank_mask:0xa bound_ctrl:1
	v_med3_f32 v8, v13, v19, v8
	v_bfe_i32 v19, v2, 3, 1
	s_nop 0
	v_mov_b32_dpp v13, v8 quad_perm:[2,3,0,1] row_mask:0xf bank_mask:0xf bound_ctrl:1
	v_med3_f32 v8, v8, v13, v9
	s_nop 1
	v_mov_b32_dpp v13, v8 quad_perm:[1,0,3,2] row_mask:0xf bank_mask:0xf bound_ctrl:1
	v_med3_f32 v8, v8, v13, v10
	ds_bpermute_b32 v8, v11, v8 offset:12
	v_add_u32_e32 v13, 0, v1
	ds_write_b32 v13, v7
	s_waitcnt lgkmcnt(1)
	v_cmp_gt_f32_e32 vcc, v12, v8
	v_cndmask_b32_e64 v7, 0, 1, vcc
	v_cmp_eq_f32_e64 s[0:1], v12, v8
	v_cmp_ge_f32_e64 s[2:3], v12, v8
	v_mov_b32_dpp v7, v7 row_shr:1 row_mask:0xf bank_mask:0xf bound_ctrl:1
	v_addc_co_u32_e64 v12, s[8:9], 0, v7, vcc
	v_cndmask_b32_e64 v13, 0, 1, s[0:1]
	s_nop 0
	v_mov_b32_dpp v12, v12 row_shr:2 row_mask:0xf bank_mask:0xf bound_ctrl:1
	v_addc_co_u32_e32 v7, vcc, v12, v7, vcc
	v_mov_b32_dpp v8, v13 row_shr:1 row_mask:0xf bank_mask:0xf bound_ctrl:1
	v_addc_co_u32_e64 v13, s[8:9], 0, v8, s[0:1]
	v_add_u32_dpp v7, v7, v7 row_shr:4 row_mask:0xf bank_mask:0xf bound_ctrl:1
	s_nop 0
	v_mov_b32_dpp v13, v13 row_shr:2 row_mask:0xf bank_mask:0xf bound_ctrl:1
	v_addc_co_u32_e64 v8, vcc, v13, v8, s[0:1]
	v_add_u32_dpp v7, v7, v7 row_shr:8 row_mask:0xf bank_mask:0xf bound_ctrl:1
	s_nop 0
	v_add_u32_dpp v8, v8, v8 row_shr:4 row_mask:0xf bank_mask:0xf bound_ctrl:1
	v_and_b32_dpp v12, v7, v19 row_newbcast:7 row_mask:0xf bank_mask:0xf bound_ctrl:1
	v_sub_u32_e32 v7, v7, v12
	v_add_u32_dpp v8, v8, v8 row_shr:8 row_mask:0xf bank_mask:0xf bound_ctrl:1
	v_readlane_b32 s8, v7, 7
	s_nop 0
	v_and_b32_dpp v13, v8, v19 row_newbcast:7 row_mask:0xf bank_mask:0xf bound_ctrl:1
	v_add_u32_e32 v8, s8, v8
	v_sub_u32_e32 v8, v8, v13
	v_cndmask_b32_e64 v7, v7, v8, s[0:1]
	v_cmp_ge_i32_e32 vcc, s18, v7
	s_and_b64 s[0:1], s[2:3], vcc
	v_cmp_gt_u32_e32 vcc, 8, v0
	s_and_b64 s[2:3], vcc, s[0:1]
	s_and_saveexec_b64 s[0:1], s[2:3]
	s_cbranch_execz .LBB193_2
; %bb.1:
	v_lshl_add_u32 v7, v7, 2, s7
	ds_write_b32 v7, v0 offset:28
.LBB193_2:
	s_or_b64 exec, exec, s[0:1]
	v_lshrrev_b32_e32 v7, 3, v0
	v_and_b32_e32 v7, 0x7c, v7
	v_add_u32_e32 v7, s7, v7
	s_waitcnt lgkmcnt(0)
	s_barrier
	ds_read_b32 v7, v7 offset:32
	v_add_u32_e32 v8, 64, v0
	v_and_b32_e32 v19, 31, v0
	v_lshrrev_b32_e32 v8, 3, v8
	v_and_b32_e32 v8, 0xfc, v8
	s_waitcnt lgkmcnt(0)
	v_lshl_or_b32 v12, v7, 5, v19
	v_add_u32_e32 v8, s7, v8
	v_lshl_add_u32 v7, v12, 2, 0
	ds_read_b32 v8, v8 offset:32
	ds_read_b32 v13, v7
	v_bfe_u32 v22, v0, 3, 1
	v_cmp_eq_u32_e32 vcc, v5, v22
	v_cndmask_b32_e32 v23, v3, v4, vcc
	v_cmp_eq_u32_e32 vcc, v15, v22
	s_waitcnt lgkmcnt(0)
	v_mov_b32_dpp v20, v13 quad_perm:[1,0,3,2] row_mask:0xf bank_mask:0xf bound_ctrl:1
	v_med3_f32 v20, v13, v20, v16
	v_cndmask_b32_e32 v24, v3, v4, vcc
	v_cmp_eq_u32_e32 vcc, v14, v22
	v_mov_b32_dpp v21, v20 quad_perm:[2,3,0,1] row_mask:0xf bank_mask:0xf bound_ctrl:1
	v_med3_f32 v20, v20, v21, v17
	v_cndmask_b32_e32 v25, v3, v4, vcc
	v_bfe_u32 v26, v0, 4, 1
	v_mov_b32_dpp v21, v20 quad_perm:[1,0,3,2] row_mask:0xf bank_mask:0xf bound_ctrl:1
	v_med3_f32 v20, v20, v21, v18
	v_cmp_eq_u32_e32 vcc, v22, v26
	v_cndmask_b32_e32 v27, v3, v4, vcc
	v_mov_b32_dpp v21, v20 row_shl:4 row_mask:0xf bank_mask:0x5 bound_ctrl:1
	v_lshl_or_b32 v7, v8, 5, v19
	v_lshl_add_u32 v8, v7, 2, 0
	v_mov_b32_dpp v21, v20 row_shr:4 row_mask:0xf bank_mask:0xa bound_ctrl:1
	v_med3_f32 v20, v20, v21, v23
	v_cmp_eq_u32_e32 vcc, v5, v26
	ds_read_b32 v8, v8
	v_mov_b32_dpp v21, v20 quad_perm:[2,3,0,1] row_mask:0xf bank_mask:0xf bound_ctrl:1
	v_med3_f32 v20, v20, v21, v24
	v_cndmask_b32_e32 v28, v3, v4, vcc
	v_cmp_eq_u32_e32 vcc, v15, v26
	v_mov_b32_dpp v21, v20 quad_perm:[1,0,3,2] row_mask:0xf bank_mask:0xf bound_ctrl:1
	v_med3_f32 v20, v20, v21, v25
	v_cndmask_b32_e32 v15, v3, v4, vcc
	v_cmp_eq_u32_e32 vcc, v14, v26
	v_mov_b32_dpp v21, v20 row_shl:8 row_mask:0xf bank_mask:0x3 bound_ctrl:1
	v_cndmask_b32_e32 v14, v3, v4, vcc
	v_cmp_gt_u32_e32 vcc, 32, v0
	v_mov_b32_dpp v21, v20 row_shr:8 row_mask:0xf bank_mask:0xc bound_ctrl:1
	v_med3_f32 v20, v20, v21, v27
	v_cmp_lt_u32_e64 s[2:3], 15, v2
	s_lshl_b32 s8, s17, 2
	v_mov_b32_dpp v21, v20 row_shl:4 row_mask:0xf bank_mask:0x5 bound_ctrl:1
	s_add_i32 s12, s7, s8
	s_add_i32 s13, s7, 64
	v_mov_b32_dpp v21, v20 row_shr:4 row_mask:0xf bank_mask:0xa bound_ctrl:1
	v_med3_f32 v20, v20, v21, v28
	s_add_i32 s16, s12, 64
	s_nop 0
	v_mov_b32_dpp v21, v20 quad_perm:[2,3,0,1] row_mask:0xf bank_mask:0xf bound_ctrl:1
	v_med3_f32 v20, v20, v21, v15
	s_nop 1
	v_mov_b32_dpp v21, v20 quad_perm:[1,0,3,2] row_mask:0xf bank_mask:0xf bound_ctrl:1
	v_med3_f32 v20, v20, v21, v14
	s_waitcnt lgkmcnt(0)
	v_mov_b32_dpp v21, v8 quad_perm:[1,0,3,2] row_mask:0xf bank_mask:0xf bound_ctrl:1
	v_med3_f32 v16, v8, v21, v16
	s_nop 1
	v_mov_b32_dpp v21, v16 quad_perm:[2,3,0,1] row_mask:0xf bank_mask:0xf bound_ctrl:1
	v_med3_f32 v16, v16, v21, v17
	s_nop 1
	;; [unrolled: 3-line block ×3, first 2 shown]
	v_mov_b32_dpp v17, v16 row_shl:4 row_mask:0xf bank_mask:0x5 bound_ctrl:1
	s_nop 1
	v_mov_b32_dpp v17, v16 row_shr:4 row_mask:0xf bank_mask:0xa bound_ctrl:1
	v_med3_f32 v16, v16, v17, v23
	s_nop 1
	v_mov_b32_dpp v17, v16 quad_perm:[2,3,0,1] row_mask:0xf bank_mask:0xf bound_ctrl:1
	v_med3_f32 v16, v16, v17, v24
	s_nop 1
	v_mov_b32_dpp v17, v16 quad_perm:[1,0,3,2] row_mask:0xf bank_mask:0xf bound_ctrl:1
	v_med3_f32 v16, v16, v17, v25
	s_nop 1
	v_mov_b32_dpp v17, v16 row_shl:8 row_mask:0xf bank_mask:0x3 bound_ctrl:1
	s_nop 1
	v_mov_b32_dpp v17, v16 row_shr:8 row_mask:0xf bank_mask:0xc bound_ctrl:1
	v_med3_f32 v16, v16, v17, v27
	s_nop 1
	v_mov_b32_dpp v17, v16 row_shl:4 row_mask:0xf bank_mask:0x5 bound_ctrl:1
	s_nop 1
	v_mov_b32_dpp v17, v16 row_shr:4 row_mask:0xf bank_mask:0xa bound_ctrl:1
	v_med3_f32 v16, v16, v17, v28
	s_nop 1
	v_mov_b32_dpp v17, v16 quad_perm:[2,3,0,1] row_mask:0xf bank_mask:0xf bound_ctrl:1
	v_med3_f32 v16, v16, v17, v15
	s_nop 1
	v_mov_b32_dpp v17, v16 quad_perm:[1,0,3,2] row_mask:0xf bank_mask:0xf bound_ctrl:1
	v_med3_f32 v16, v16, v17, v14
	v_lshlrev_b32_e32 v17, 1, v0
	v_bfi_b32 v18, 48, v17, v19
	v_or_b32_e32 v18, v6, v18
	v_lshlrev_b32_e32 v18, 2, v18
	ds_bpermute_b32 v20, v18, v20
	ds_bpermute_b32 v16, v18, v16
	v_xor_b32_e32 v17, v19, v17
	v_and_b32_e32 v17, 48, v17
	s_waitcnt lgkmcnt(0)
	v_cndmask_b32_e32 v16, v16, v20, vcc
	s_nop 1
	v_mov_b32_dpp v18, v16 row_shl:8 row_mask:0xf bank_mask:0x3 bound_ctrl:1
	v_cmp_eq_u32_e32 vcc, 0, v22
	s_nop 0
	v_mov_b32_dpp v18, v16 row_shr:8 row_mask:0xf bank_mask:0xc bound_ctrl:1
	v_med3_f32 v16, v16, v18, v27
	s_nop 1
	v_mov_b32_dpp v18, v16 row_shl:4 row_mask:0xf bank_mask:0x5 bound_ctrl:1
	s_nop 1
	v_mov_b32_dpp v18, v16 row_shr:4 row_mask:0xf bank_mask:0xa bound_ctrl:1
	v_med3_f32 v16, v16, v18, v28
	s_nop 1
	v_mov_b32_dpp v18, v16 quad_perm:[2,3,0,1] row_mask:0xf bank_mask:0xf bound_ctrl:1
	v_med3_f32 v16, v16, v18, v15
	s_nop 1
	v_mov_b32_dpp v18, v16 quad_perm:[1,0,3,2] row_mask:0xf bank_mask:0xf bound_ctrl:1
	v_med3_f32 v16, v16, v18, v14
	v_and_b32_e32 v18, 63, v0
	v_xor_b32_e32 v17, v17, v18
	v_or_b32_e32 v6, v6, v17
	v_lshlrev_b32_e32 v6, 2, v6
	ds_bpermute_b32 v16, v6, v16
	s_waitcnt lgkmcnt(0)
	s_nop 0
	v_mov_b32_dpp v17, v16 row_shl:8 row_mask:0xf bank_mask:0x3 bound_ctrl:1
	s_nop 1
	v_mov_b32_dpp v17, v16 row_shr:8 row_mask:0xf bank_mask:0xc bound_ctrl:1
	v_med3_f32 v16, v16, v17, v27
	s_nop 1
	v_mov_b32_dpp v17, v16 row_shl:4 row_mask:0xf bank_mask:0x5 bound_ctrl:1
	s_nop 1
	v_mov_b32_dpp v17, v16 row_shr:4 row_mask:0xf bank_mask:0xa bound_ctrl:1
	v_med3_f32 v16, v16, v17, v28
	s_nop 1
	v_mov_b32_dpp v17, v16 quad_perm:[2,3,0,1] row_mask:0xf bank_mask:0xf bound_ctrl:1
	v_med3_f32 v15, v16, v17, v15
	s_nop 1
	v_mov_b32_dpp v16, v15 quad_perm:[1,0,3,2] row_mask:0xf bank_mask:0xf bound_ctrl:1
	v_med3_f32 v14, v15, v16, v14
	ds_bpermute_b32 v6, v6, v14
	v_cndmask_b32_e32 v15, v3, v4, vcc
	v_cmp_eq_u32_e32 vcc, 0, v5
	v_cndmask_b32_e32 v3, v3, v4, vcc
	s_waitcnt lgkmcnt(0)
	v_mov_b32_dpp v14, v6 row_shl:8 row_mask:0xf bank_mask:0x3 bound_ctrl:1
	s_nop 1
	v_mov_b32_dpp v14, v6 row_shr:8 row_mask:0xf bank_mask:0xc bound_ctrl:1
	v_med3_f32 v6, v6, v14, v15
	s_nop 1
	v_mov_b32_dpp v14, v6 row_shl:4 row_mask:0xf bank_mask:0x5 bound_ctrl:1
	s_nop 1
	v_mov_b32_dpp v14, v6 row_shr:4 row_mask:0xf bank_mask:0xa bound_ctrl:1
	v_med3_f32 v3, v6, v14, v3
	s_nop 1
	v_mov_b32_dpp v4, v3 quad_perm:[2,3,0,1] row_mask:0xf bank_mask:0xf bound_ctrl:1
	v_med3_f32 v3, v3, v4, v9
	s_nop 1
	v_mov_b32_dpp v4, v3 quad_perm:[1,0,3,2] row_mask:0xf bank_mask:0xf bound_ctrl:1
	v_med3_f32 v3, v3, v4, v10
	ds_bpermute_b32 v3, v11, v3 offset:28
	v_lshlrev_b32_e32 v4, 2, v2
	v_and_b32_e32 v4, 0xc0, v4
	v_add_u32_e32 v5, -4, v4
	v_add_u32_e32 v10, 0xffffffbc, v4
	s_waitcnt lgkmcnt(0)
	v_cmp_gt_f32_e32 vcc, v13, v3
	v_cndmask_b32_e64 v6, 0, 1, vcc
	v_cmp_eq_f32_e64 s[8:9], v13, v3
	s_nop 0
	v_mov_b32_dpp v6, v6 row_shr:1 row_mask:0xf bank_mask:0xf bound_ctrl:1
	v_addc_co_u32_e64 v9, s[0:1], 0, v6, vcc
	s_nop 1
	v_mov_b32_dpp v9, v9 row_shr:2 row_mask:0xf bank_mask:0xf bound_ctrl:1
	v_addc_co_u32_e32 v6, vcc, v9, v6, vcc
	v_cmp_gt_f32_e32 vcc, v8, v3
	s_nop 0
	v_add_u32_dpp v6, v6, v6 row_shr:4 row_mask:0xf bank_mask:0xf bound_ctrl:1
	s_nop 1
	v_add_u32_dpp v6, v6, v6 row_shr:8 row_mask:0xf bank_mask:0xf bound_ctrl:1
	ds_bpermute_b32 v9, v5, v6
	s_waitcnt lgkmcnt(0)
	v_cndmask_b32_e64 v4, 0, v9, s[2:3]
	v_cndmask_b32_e64 v9, 0, 1, vcc
	v_add_u32_e32 v4, v4, v6
	ds_bpermute_b32 v6, v10, v4
	v_mov_b32_dpp v9, v9 row_shr:1 row_mask:0xf bank_mask:0xf bound_ctrl:1
	v_addc_co_u32_e64 v11, s[0:1], 0, v9, vcc
	s_nop 1
	v_mov_b32_dpp v11, v11 row_shr:2 row_mask:0xf bank_mask:0xf bound_ctrl:1
	v_addc_co_u32_e32 v9, vcc, v11, v9, vcc
	v_cmp_lt_u32_e32 vcc, 31, v2
	s_nop 0
	v_add_u32_dpp v9, v9, v9 row_shr:4 row_mask:0xf bank_mask:0xf bound_ctrl:1
	s_waitcnt lgkmcnt(0)
	v_cndmask_b32_e32 v2, 0, v6, vcc
	v_add_u32_e32 v15, v4, v2
	v_add_u32_dpp v9, v9, v9 row_shr:8 row_mask:0xf bank_mask:0xf bound_ctrl:1
	ds_bpermute_b32 v11, v5, v9
	s_waitcnt lgkmcnt(0)
	v_cndmask_b32_e64 v6, 0, v11, s[2:3]
	v_cndmask_b32_e64 v11, 0, 1, s[8:9]
	v_add_u32_e32 v6, v6, v9
	ds_bpermute_b32 v9, v10, v6
	v_mov_b32_dpp v11, v11 row_shr:1 row_mask:0xf bank_mask:0xf bound_ctrl:1
	v_addc_co_u32_e64 v14, s[0:1], 0, v11, s[8:9]
	s_waitcnt lgkmcnt(0)
	v_cndmask_b32_e32 v2, 0, v9, vcc
	v_mov_b32_dpp v14, v14 row_shr:2 row_mask:0xf bank_mask:0xf bound_ctrl:1
	v_addc_co_u32_e64 v11, s[0:1], v14, v11, s[8:9]
	v_readlane_b32 s0, v15, 63
	s_nop 0
	v_add_u32_dpp v11, v11, v11 row_shr:4 row_mask:0xf bank_mask:0xf bound_ctrl:1
	v_add3_u32 v2, v6, s0, v2
	v_cmp_eq_f32_e64 s[0:1], v8, v3
	v_add_u32_dpp v11, v11, v11 row_shr:8 row_mask:0xf bank_mask:0xf bound_ctrl:1
	ds_bpermute_b32 v14, v5, v11
	v_cndmask_b32_e64 v9, 0, 1, s[0:1]
	s_waitcnt lgkmcnt(0)
	v_cndmask_b32_e64 v4, 0, v14, s[2:3]
	v_mov_b32_dpp v9, v9 row_shr:1 row_mask:0xf bank_mask:0xf bound_ctrl:1
	v_add_u32_e32 v4, v4, v11
	v_addc_co_u32_e64 v11, s[10:11], 0, v9, s[0:1]
	ds_bpermute_b32 v6, v10, v4
	s_nop 0
	v_mov_b32_dpp v11, v11 row_shr:2 row_mask:0xf bank_mask:0xf bound_ctrl:1
	v_addc_co_u32_e64 v9, s[10:11], v11, v9, s[0:1]
	v_readlane_b32 s10, v2, 63
	s_nop 0
	v_add_u32_dpp v9, v9, v9 row_shr:4 row_mask:0xf bank_mask:0xf bound_ctrl:1
	s_waitcnt lgkmcnt(0)
	v_cndmask_b32_e32 v6, 0, v6, vcc
	v_add3_u32 v6, v4, s10, v6
	v_add_u32_dpp v9, v9, v9 row_shr:8 row_mask:0xf bank_mask:0xf bound_ctrl:1
	ds_bpermute_b32 v5, v5, v9
	v_readlane_b32 s10, v6, 63
	v_cndmask_b32_e64 v6, v15, v6, s[8:9]
	v_cmp_ge_i32_e64 s[8:9], s17, v6
	s_waitcnt lgkmcnt(0)
	v_cndmask_b32_e64 v4, 0, v5, s[2:3]
	v_add_u32_e32 v4, v4, v9
	ds_bpermute_b32 v5, v10, v4
	v_cmp_ge_f32_e64 s[2:3], v13, v3
	s_and_b64 s[8:9], s[2:3], s[8:9]
	s_and_saveexec_b64 s[2:3], s[8:9]
	s_cbranch_execz .LBB193_4
; %bb.3:
	v_lshl_add_u32 v6, v6, 2, -4
	v_add_u32_e32 v9, s16, v6
	v_add_u32_e32 v6, s13, v6
	ds_write_b32 v6, v12
	ds_write_b32 v9, v13
.LBB193_4:
	s_or_b64 exec, exec, s[2:3]
	s_waitcnt lgkmcnt(0)
	v_cndmask_b32_e32 v5, 0, v5, vcc
	v_add3_u32 v4, v4, s10, v5
	v_cndmask_b32_e64 v2, v2, v4, s[0:1]
	v_cmp_ge_f32_e32 vcc, v8, v3
	v_cmp_ge_i32_e64 s[0:1], s17, v2
	s_and_b64 s[2:3], vcc, s[0:1]
	s_and_saveexec_b64 s[0:1], s[2:3]
	s_cbranch_execz .LBB193_6
; %bb.5:
	v_lshl_add_u32 v2, v2, 2, -4
	v_add_u32_e32 v3, s16, v2
	v_add_u32_e32 v2, s13, v2
	ds_write_b32 v2, v7
	ds_write_b32 v3, v8
.LBB193_6:
	s_or_b64 exec, exec, s[0:1]
	v_cmp_gt_u32_e32 vcc, s17, v0
	s_waitcnt lgkmcnt(0)
	s_barrier
	s_and_saveexec_b64 s[0:1], vcc
	s_cbranch_execz .LBB193_8
; %bb.7:
	v_add_u32_e32 v0, s7, v1
	ds_read_b32 v2, v0 offset:64
	v_mov_b32_e32 v0, s15
	s_load_dwordx2 s[8:9], s[4:5], 0x20
	s_waitcnt lgkmcnt(0)
	v_ashrrev_i32_e32 v3, 31, v2
	v_lshlrev_b64 v[4:5], 2, v[2:3]
	v_add_co_u32_e32 v4, vcc, s14, v4
	v_addc_co_u32_e32 v5, vcc, v0, v5, vcc
	global_load_dword v0, v[4:5], off
	v_add_u32_e32 v3, s12, v1
	ds_read_b32 v3, v3 offset:64
	s_load_dwordx4 s[0:3], s[4:5], 0x10
	s_load_dword s7, s[4:5], 0x38
	s_ashr_i32 s4, s6, 31
	s_mul_i32 s5, s6, s9
	s_mul_hi_u32 s9, s6, s8
	s_mul_i32 s10, s4, s8
	s_add_i32 s5, s9, s5
	s_mul_i32 s4, s6, s8
	s_add_i32 s5, s5, s10
	s_lshl_b64 s[4:5], s[4:5], 2
	s_waitcnt lgkmcnt(0)
	s_add_u32 s0, s0, s4
	s_addc_u32 s1, s1, s5
	s_add_u32 s2, s2, s4
	s_addc_u32 s3, s3, s5
	s_waitcnt vmcnt(0)
	v_sub_f32_e32 v0, v3, v0
	s_nop 1
	v_mov_b32_dpp v3, v0 quad_perm:[1,0,3,2] row_mask:0xf bank_mask:0xf
	v_add_f32_e32 v3, v0, v3
	v_mul_f32_e32 v0, s7, v0
	s_nop 0
	v_mov_b32_dpp v4, v3 quad_perm:[2,3,0,1] row_mask:0xf bank_mask:0xf
	v_add_f32_e32 v3, v3, v4
	s_nop 1
	v_mov_b32_dpp v4, v3 row_half_mirror row_mask:0xf bank_mask:0xf
	v_add_f32_e32 v3, v3, v4
	v_rcp_f32_e32 v3, v3
	v_mul_f32_e32 v0, v0, v3
	global_store_dword v1, v0, s[0:1]
	global_store_dword v1, v2, s[2:3]
.LBB193_8:
	s_endpgm
	.section	.rodata,"a",@progbits
	.p2align	6, 0x0
	.amdhsa_kernel _ZN5aiter28grouped_topk_opt_sort_kernelIfDv1_fLi8ELb1ELb1ELb0EEEvPT_PKS2_PfPimiiiif
		.amdhsa_group_segment_fixed_size 0
		.amdhsa_private_segment_fixed_size 0
		.amdhsa_kernarg_size 60
		.amdhsa_user_sgpr_count 6
		.amdhsa_user_sgpr_private_segment_buffer 1
		.amdhsa_user_sgpr_dispatch_ptr 0
		.amdhsa_user_sgpr_queue_ptr 0
		.amdhsa_user_sgpr_kernarg_segment_ptr 1
		.amdhsa_user_sgpr_dispatch_id 0
		.amdhsa_user_sgpr_flat_scratch_init 0
		.amdhsa_user_sgpr_kernarg_preload_length 0
		.amdhsa_user_sgpr_kernarg_preload_offset 0
		.amdhsa_user_sgpr_private_segment_size 0
		.amdhsa_uses_dynamic_stack 0
		.amdhsa_system_sgpr_private_segment_wavefront_offset 0
		.amdhsa_system_sgpr_workgroup_id_x 1
		.amdhsa_system_sgpr_workgroup_id_y 0
		.amdhsa_system_sgpr_workgroup_id_z 0
		.amdhsa_system_sgpr_workgroup_info 0
		.amdhsa_system_vgpr_workitem_id 0
		.amdhsa_next_free_vgpr 29
		.amdhsa_next_free_sgpr 20
		.amdhsa_accum_offset 32
		.amdhsa_reserve_vcc 1
		.amdhsa_reserve_flat_scratch 0
		.amdhsa_float_round_mode_32 0
		.amdhsa_float_round_mode_16_64 0
		.amdhsa_float_denorm_mode_32 3
		.amdhsa_float_denorm_mode_16_64 3
		.amdhsa_dx10_clamp 1
		.amdhsa_ieee_mode 1
		.amdhsa_fp16_overflow 0
		.amdhsa_tg_split 0
		.amdhsa_exception_fp_ieee_invalid_op 0
		.amdhsa_exception_fp_denorm_src 0
		.amdhsa_exception_fp_ieee_div_zero 0
		.amdhsa_exception_fp_ieee_overflow 0
		.amdhsa_exception_fp_ieee_underflow 0
		.amdhsa_exception_fp_ieee_inexact 0
		.amdhsa_exception_int_div_zero 0
	.end_amdhsa_kernel
	.section	.text._ZN5aiter28grouped_topk_opt_sort_kernelIfDv1_fLi8ELb1ELb1ELb0EEEvPT_PKS2_PfPimiiiif,"axG",@progbits,_ZN5aiter28grouped_topk_opt_sort_kernelIfDv1_fLi8ELb1ELb1ELb0EEEvPT_PKS2_PfPimiiiif,comdat
.Lfunc_end193:
	.size	_ZN5aiter28grouped_topk_opt_sort_kernelIfDv1_fLi8ELb1ELb1ELb0EEEvPT_PKS2_PfPimiiiif, .Lfunc_end193-_ZN5aiter28grouped_topk_opt_sort_kernelIfDv1_fLi8ELb1ELb1ELb0EEEvPT_PKS2_PfPimiiiif
                                        ; -- End function
	.section	.AMDGPU.csdata,"",@progbits
; Kernel info:
; codeLenInByte = 2828
; NumSgprs: 24
; NumVgprs: 29
; NumAgprs: 0
; TotalNumVgprs: 29
; ScratchSize: 0
; MemoryBound: 0
; FloatMode: 240
; IeeeMode: 1
; LDSByteSize: 0 bytes/workgroup (compile time only)
; SGPRBlocks: 2
; VGPRBlocks: 3
; NumSGPRsForWavesPerEU: 24
; NumVGPRsForWavesPerEU: 29
; AccumOffset: 32
; Occupancy: 8
; WaveLimiterHint : 0
; COMPUTE_PGM_RSRC2:SCRATCH_EN: 0
; COMPUTE_PGM_RSRC2:USER_SGPR: 6
; COMPUTE_PGM_RSRC2:TRAP_HANDLER: 0
; COMPUTE_PGM_RSRC2:TGID_X_EN: 1
; COMPUTE_PGM_RSRC2:TGID_Y_EN: 0
; COMPUTE_PGM_RSRC2:TGID_Z_EN: 0
; COMPUTE_PGM_RSRC2:TIDIG_COMP_CNT: 0
; COMPUTE_PGM_RSRC3_GFX90A:ACCUM_OFFSET: 7
; COMPUTE_PGM_RSRC3_GFX90A:TG_SPLIT: 0
	.section	.text._ZN5aiter28grouped_topk_opt_sort_kernelIN3c104HalfEDv1_fLi8ELb1ELb1ELb0EEEvPT_PKS4_PfPimiiiif,"axG",@progbits,_ZN5aiter28grouped_topk_opt_sort_kernelIN3c104HalfEDv1_fLi8ELb1ELb1ELb0EEEvPT_PKS4_PfPimiiiif,comdat
	.protected	_ZN5aiter28grouped_topk_opt_sort_kernelIN3c104HalfEDv1_fLi8ELb1ELb1ELb0EEEvPT_PKS4_PfPimiiiif ; -- Begin function _ZN5aiter28grouped_topk_opt_sort_kernelIN3c104HalfEDv1_fLi8ELb1ELb1ELb0EEEvPT_PKS4_PfPimiiiif
	.globl	_ZN5aiter28grouped_topk_opt_sort_kernelIN3c104HalfEDv1_fLi8ELb1ELb1ELb0EEEvPT_PKS4_PfPimiiiif
	.p2align	8
	.type	_ZN5aiter28grouped_topk_opt_sort_kernelIN3c104HalfEDv1_fLi8ELb1ELb1ELb0EEEvPT_PKS4_PfPimiiiif,@function
_ZN5aiter28grouped_topk_opt_sort_kernelIN3c104HalfEDv1_fLi8ELb1ELb1ELb0EEEvPT_PKS4_PfPimiiiif: ; @_ZN5aiter28grouped_topk_opt_sort_kernelIN3c104HalfEDv1_fLi8ELb1ELb1ELb0EEEvPT_PKS4_PfPimiiiif
; %bb.0:
	s_load_dwordx4 s[16:19], s[4:5], 0x28
	s_load_dwordx4 s[12:15], s[4:5], 0x0
	v_lshlrev_b32_e32 v3, 1, v0
	v_bfe_u32 v15, v0, 1, 1
	v_and_b32_e32 v14, 1, v0
	s_waitcnt lgkmcnt(0)
	s_lshl_b32 s1, s16, 2
	s_mul_i32 s0, s6, s16
	s_add_i32 s7, s1, 0
	s_ashr_i32 s1, s0, 31
	s_lshl_b64 s[0:1], s[0:1], 1
	s_add_u32 s0, s12, s0
	s_addc_u32 s1, s13, s1
	global_load_ushort v7, v3, s[0:1]
	global_load_ushort v10, v3, s[14:15]
	s_mov_b32 s0, 0x652b82fe
	s_mov_b32 s1, 0xbff71547
	v_mov_b32_e32 v2, 0xff800000
	v_mov_b32_e32 v4, 0x7f800000
	v_bfe_u32 v5, v0, 2, 1
	v_cmp_eq_u32_e32 vcc, v14, v15
	v_cndmask_b32_e32 v16, v2, v4, vcc
	v_cmp_eq_u32_e32 vcc, v15, v5
	s_mov_b32 s2, 0xc2fc0000
	v_cndmask_b32_e32 v17, v2, v4, vcc
	v_cmp_eq_u32_e32 vcc, v14, v5
	v_mov_b32_e32 v11, 0x42800000
	v_cndmask_b32_e32 v18, v2, v4, vcc
	v_mov_b32_e32 v12, 0x1f800000
	v_mov_b32_dpp v6, v2 quad_perm:[1,0,3,2] row_mask:0xf bank_mask:0xf bound_ctrl:1
	v_max_f32_e32 v20, v6, v6
	v_mbcnt_lo_u32_b32 v1, -1, 0
	v_mbcnt_hi_u32_b32 v1, -1, v1
	v_lshlrev_b32_e32 v13, 3, v0
	v_and_b32_e32 v6, 64, v1
	v_and_b32_e32 v19, 4, v0
	s_waitcnt vmcnt(1)
	v_cvt_f32_f16_e32 v7, v7
	v_cvt_f64_f32_e32 v[8:9], v7
	v_mul_f64 v[8:9], v[8:9], s[0:1]
	v_cvt_f32_f64_e32 v7, v[8:9]
	v_cmp_gt_f32_e32 vcc, s2, v7
	v_cndmask_b32_e32 v8, 0, v11, vcc
	v_add_f32_e32 v7, v7, v8
	v_exp_f32_e32 v7, v7
	s_waitcnt vmcnt(0)
	v_cvt_f32_f16_e32 v9, v10
	v_cndmask_b32_e32 v10, 1.0, v12, vcc
	v_and_or_b32 v11, v13, 56, v6
	v_fma_f32 v7, v7, v10, 1.0
	v_rcp_f32_e32 v7, v7
	v_max_f32_e32 v10, 0xff800000, v20
	v_cmp_eq_u32_e64 s[0:1], 0, v19
	v_lshlrev_b32_e32 v11, 2, v11
	v_add_f32_e32 v7, v7, v9
	v_cmp_o_f32_e32 vcc, v7, v7
	v_cndmask_b32_e32 v7, v2, v7, vcc
	v_cndmask_b32_e64 v8, v2, v4, s[0:1]
	v_cmp_eq_u32_e32 vcc, 0, v15
	v_mov_b32_dpp v9, v7 quad_perm:[1,0,3,2] row_mask:0xf bank_mask:0xf bound_ctrl:1
	v_med3_f32 v10, v9, v7, v10
	v_max_f32_e32 v9, v9, v9
	v_max_f32_e32 v9, v9, v7
	v_mov_b32_dpp v12, v10 quad_perm:[2,3,0,1] row_mask:0xf bank_mask:0xf bound_ctrl:1
	v_max_f32_e32 v12, v12, v12
	v_mov_b32_dpp v13, v9 quad_perm:[2,3,0,1] row_mask:0xf bank_mask:0xf bound_ctrl:1
	v_max_f32_e32 v10, v12, v10
	v_max_f32_e32 v12, v13, v13
	v_med3_f32 v10, v13, v9, v10
	v_max_f32_e32 v9, v12, v9
	s_nop 0
	v_mov_b32_dpp v13, v10 row_half_mirror row_mask:0xf bank_mask:0xf bound_ctrl:1
	v_mov_b32_dpp v12, v9 row_half_mirror row_mask:0xf bank_mask:0xf bound_ctrl:1
	v_max_f32_e32 v13, v13, v13
	v_max_f32_e32 v19, v12, v12
	;; [unrolled: 1-line block ×4, first 2 shown]
	v_med3_f32 v9, v12, v9, v10
	v_add_f32_e32 v9, v13, v9
	ds_bpermute_b32 v12, v11, v9
	v_cndmask_b32_e32 v9, v2, v4, vcc
	v_cmp_eq_u32_e32 vcc, 0, v14
	v_cndmask_b32_e32 v10, v2, v4, vcc
	v_lshlrev_b32_e32 v11, 2, v6
	s_waitcnt lgkmcnt(0)
	v_mov_b32_dpp v13, v12 quad_perm:[1,0,3,2] row_mask:0xf bank_mask:0xf bound_ctrl:1
	v_med3_f32 v13, v12, v13, v16
	s_nop 1
	v_mov_b32_dpp v19, v13 quad_perm:[2,3,0,1] row_mask:0xf bank_mask:0xf bound_ctrl:1
	v_med3_f32 v13, v13, v19, v17
	s_nop 1
	;; [unrolled: 3-line block ×3, first 2 shown]
	v_mov_b32_dpp v19, v13 row_shl:4 row_mask:0xf bank_mask:0x5 bound_ctrl:1
	s_nop 1
	v_mov_b32_dpp v19, v13 row_shr:4 row_mask:0xf bank_mask:0xa bound_ctrl:1
	v_med3_f32 v8, v13, v19, v8
	v_bfe_i32 v19, v1, 3, 1
	s_nop 0
	v_mov_b32_dpp v13, v8 quad_perm:[2,3,0,1] row_mask:0xf bank_mask:0xf bound_ctrl:1
	v_med3_f32 v8, v8, v13, v9
	s_nop 1
	v_mov_b32_dpp v13, v8 quad_perm:[1,0,3,2] row_mask:0xf bank_mask:0xf bound_ctrl:1
	v_med3_f32 v8, v8, v13, v10
	ds_bpermute_b32 v8, v11, v8 offset:12
	v_lshl_add_u32 v13, v0, 2, 0
	ds_write_b32 v13, v7
	s_waitcnt lgkmcnt(1)
	v_cmp_gt_f32_e32 vcc, v12, v8
	v_cndmask_b32_e64 v7, 0, 1, vcc
	v_cmp_eq_f32_e64 s[0:1], v12, v8
	v_cmp_ge_f32_e64 s[2:3], v12, v8
	v_mov_b32_dpp v7, v7 row_shr:1 row_mask:0xf bank_mask:0xf bound_ctrl:1
	v_addc_co_u32_e64 v12, s[8:9], 0, v7, vcc
	v_cndmask_b32_e64 v13, 0, 1, s[0:1]
	s_nop 0
	v_mov_b32_dpp v12, v12 row_shr:2 row_mask:0xf bank_mask:0xf bound_ctrl:1
	v_addc_co_u32_e32 v7, vcc, v12, v7, vcc
	v_mov_b32_dpp v8, v13 row_shr:1 row_mask:0xf bank_mask:0xf bound_ctrl:1
	v_addc_co_u32_e64 v13, s[8:9], 0, v8, s[0:1]
	v_add_u32_dpp v7, v7, v7 row_shr:4 row_mask:0xf bank_mask:0xf bound_ctrl:1
	s_nop 0
	v_mov_b32_dpp v13, v13 row_shr:2 row_mask:0xf bank_mask:0xf bound_ctrl:1
	v_addc_co_u32_e64 v8, vcc, v13, v8, s[0:1]
	v_add_u32_dpp v7, v7, v7 row_shr:8 row_mask:0xf bank_mask:0xf bound_ctrl:1
	s_nop 0
	v_add_u32_dpp v8, v8, v8 row_shr:4 row_mask:0xf bank_mask:0xf bound_ctrl:1
	v_and_b32_dpp v12, v7, v19 row_newbcast:7 row_mask:0xf bank_mask:0xf bound_ctrl:1
	v_sub_u32_e32 v7, v7, v12
	v_add_u32_dpp v8, v8, v8 row_shr:8 row_mask:0xf bank_mask:0xf bound_ctrl:1
	v_readlane_b32 s8, v7, 7
	s_nop 0
	v_and_b32_dpp v13, v8, v19 row_newbcast:7 row_mask:0xf bank_mask:0xf bound_ctrl:1
	v_add_u32_e32 v8, s8, v8
	v_sub_u32_e32 v8, v8, v13
	v_cndmask_b32_e64 v7, v7, v8, s[0:1]
	v_cmp_ge_i32_e32 vcc, s18, v7
	s_and_b64 s[0:1], s[2:3], vcc
	v_cmp_gt_u32_e32 vcc, 8, v0
	s_and_b64 s[2:3], vcc, s[0:1]
	s_and_saveexec_b64 s[0:1], s[2:3]
	s_cbranch_execz .LBB194_2
; %bb.1:
	v_lshl_add_u32 v7, v7, 2, s7
	ds_write_b32 v7, v0 offset:28
.LBB194_2:
	s_or_b64 exec, exec, s[0:1]
	v_lshrrev_b32_e32 v7, 3, v0
	v_and_b32_e32 v7, 0x7c, v7
	v_add_u32_e32 v7, s7, v7
	s_waitcnt lgkmcnt(0)
	s_barrier
	ds_read_b32 v7, v7 offset:32
	v_add_u32_e32 v8, 64, v0
	v_and_b32_e32 v19, 31, v0
	v_lshrrev_b32_e32 v8, 3, v8
	v_and_b32_e32 v8, 0xfc, v8
	s_waitcnt lgkmcnt(0)
	v_lshl_or_b32 v12, v7, 5, v19
	v_add_u32_e32 v8, s7, v8
	v_lshl_add_u32 v7, v12, 2, 0
	ds_read_b32 v8, v8 offset:32
	ds_read_b32 v13, v7
	v_bfe_u32 v22, v0, 3, 1
	v_cmp_eq_u32_e32 vcc, v5, v22
	v_cndmask_b32_e32 v23, v2, v4, vcc
	v_cmp_eq_u32_e32 vcc, v15, v22
	s_waitcnt lgkmcnt(0)
	v_mov_b32_dpp v20, v13 quad_perm:[1,0,3,2] row_mask:0xf bank_mask:0xf bound_ctrl:1
	v_med3_f32 v20, v13, v20, v16
	v_cndmask_b32_e32 v24, v2, v4, vcc
	v_cmp_eq_u32_e32 vcc, v14, v22
	v_mov_b32_dpp v21, v20 quad_perm:[2,3,0,1] row_mask:0xf bank_mask:0xf bound_ctrl:1
	v_med3_f32 v20, v20, v21, v17
	v_cndmask_b32_e32 v25, v2, v4, vcc
	v_bfe_u32 v26, v0, 4, 1
	v_mov_b32_dpp v21, v20 quad_perm:[1,0,3,2] row_mask:0xf bank_mask:0xf bound_ctrl:1
	v_med3_f32 v20, v20, v21, v18
	v_cmp_eq_u32_e32 vcc, v22, v26
	v_cndmask_b32_e32 v27, v2, v4, vcc
	v_mov_b32_dpp v21, v20 row_shl:4 row_mask:0xf bank_mask:0x5 bound_ctrl:1
	v_lshl_or_b32 v7, v8, 5, v19
	v_lshl_add_u32 v8, v7, 2, 0
	v_mov_b32_dpp v21, v20 row_shr:4 row_mask:0xf bank_mask:0xa bound_ctrl:1
	v_med3_f32 v20, v20, v21, v23
	v_cmp_eq_u32_e32 vcc, v5, v26
	ds_read_b32 v8, v8
	v_mov_b32_dpp v21, v20 quad_perm:[2,3,0,1] row_mask:0xf bank_mask:0xf bound_ctrl:1
	v_med3_f32 v20, v20, v21, v24
	v_cndmask_b32_e32 v28, v2, v4, vcc
	v_cmp_eq_u32_e32 vcc, v15, v26
	v_mov_b32_dpp v21, v20 quad_perm:[1,0,3,2] row_mask:0xf bank_mask:0xf bound_ctrl:1
	v_med3_f32 v20, v20, v21, v25
	v_cndmask_b32_e32 v15, v2, v4, vcc
	v_cmp_eq_u32_e32 vcc, v14, v26
	v_mov_b32_dpp v21, v20 row_shl:8 row_mask:0xf bank_mask:0x3 bound_ctrl:1
	v_cndmask_b32_e32 v14, v2, v4, vcc
	v_cmp_gt_u32_e32 vcc, 32, v0
	v_mov_b32_dpp v21, v20 row_shr:8 row_mask:0xf bank_mask:0xc bound_ctrl:1
	v_med3_f32 v20, v20, v21, v27
	v_cmp_lt_u32_e64 s[2:3], 15, v1
	s_lshl_b32 s8, s17, 2
	v_mov_b32_dpp v21, v20 row_shl:4 row_mask:0xf bank_mask:0x5 bound_ctrl:1
	s_add_i32 s12, s7, s8
	s_add_i32 s13, s7, 64
	v_mov_b32_dpp v21, v20 row_shr:4 row_mask:0xf bank_mask:0xa bound_ctrl:1
	v_med3_f32 v20, v20, v21, v28
	s_add_i32 s16, s12, 64
	s_nop 0
	v_mov_b32_dpp v21, v20 quad_perm:[2,3,0,1] row_mask:0xf bank_mask:0xf bound_ctrl:1
	v_med3_f32 v20, v20, v21, v15
	s_nop 1
	v_mov_b32_dpp v21, v20 quad_perm:[1,0,3,2] row_mask:0xf bank_mask:0xf bound_ctrl:1
	v_med3_f32 v20, v20, v21, v14
	s_waitcnt lgkmcnt(0)
	v_mov_b32_dpp v21, v8 quad_perm:[1,0,3,2] row_mask:0xf bank_mask:0xf bound_ctrl:1
	v_med3_f32 v16, v8, v21, v16
	s_nop 1
	v_mov_b32_dpp v21, v16 quad_perm:[2,3,0,1] row_mask:0xf bank_mask:0xf bound_ctrl:1
	v_med3_f32 v16, v16, v21, v17
	s_nop 1
	;; [unrolled: 3-line block ×3, first 2 shown]
	v_mov_b32_dpp v17, v16 row_shl:4 row_mask:0xf bank_mask:0x5 bound_ctrl:1
	s_nop 1
	v_mov_b32_dpp v17, v16 row_shr:4 row_mask:0xf bank_mask:0xa bound_ctrl:1
	v_med3_f32 v16, v16, v17, v23
	s_nop 1
	v_mov_b32_dpp v17, v16 quad_perm:[2,3,0,1] row_mask:0xf bank_mask:0xf bound_ctrl:1
	v_med3_f32 v16, v16, v17, v24
	s_nop 1
	v_mov_b32_dpp v17, v16 quad_perm:[1,0,3,2] row_mask:0xf bank_mask:0xf bound_ctrl:1
	v_med3_f32 v16, v16, v17, v25
	s_nop 1
	v_mov_b32_dpp v17, v16 row_shl:8 row_mask:0xf bank_mask:0x3 bound_ctrl:1
	s_nop 1
	v_mov_b32_dpp v17, v16 row_shr:8 row_mask:0xf bank_mask:0xc bound_ctrl:1
	v_med3_f32 v16, v16, v17, v27
	s_nop 1
	v_mov_b32_dpp v17, v16 row_shl:4 row_mask:0xf bank_mask:0x5 bound_ctrl:1
	s_nop 1
	v_mov_b32_dpp v17, v16 row_shr:4 row_mask:0xf bank_mask:0xa bound_ctrl:1
	v_med3_f32 v16, v16, v17, v28
	s_nop 1
	v_mov_b32_dpp v17, v16 quad_perm:[2,3,0,1] row_mask:0xf bank_mask:0xf bound_ctrl:1
	v_med3_f32 v16, v16, v17, v15
	s_nop 1
	v_mov_b32_dpp v17, v16 quad_perm:[1,0,3,2] row_mask:0xf bank_mask:0xf bound_ctrl:1
	v_med3_f32 v16, v16, v17, v14
	v_bfi_b32 v17, 48, v3, v19
	v_or_b32_e32 v17, v6, v17
	v_lshlrev_b32_e32 v17, 2, v17
	ds_bpermute_b32 v18, v17, v20
	ds_bpermute_b32 v16, v17, v16
	v_xor_b32_e32 v3, v19, v3
	v_and_b32_e32 v3, 48, v3
	s_waitcnt lgkmcnt(0)
	v_cndmask_b32_e32 v16, v16, v18, vcc
	s_nop 1
	v_mov_b32_dpp v17, v16 row_shl:8 row_mask:0xf bank_mask:0x3 bound_ctrl:1
	v_cmp_eq_u32_e32 vcc, 0, v22
	s_nop 0
	v_mov_b32_dpp v17, v16 row_shr:8 row_mask:0xf bank_mask:0xc bound_ctrl:1
	v_med3_f32 v16, v16, v17, v27
	s_nop 1
	v_mov_b32_dpp v17, v16 row_shl:4 row_mask:0xf bank_mask:0x5 bound_ctrl:1
	s_nop 1
	v_mov_b32_dpp v17, v16 row_shr:4 row_mask:0xf bank_mask:0xa bound_ctrl:1
	v_med3_f32 v16, v16, v17, v28
	s_nop 1
	v_mov_b32_dpp v17, v16 quad_perm:[2,3,0,1] row_mask:0xf bank_mask:0xf bound_ctrl:1
	v_med3_f32 v16, v16, v17, v15
	s_nop 1
	v_mov_b32_dpp v17, v16 quad_perm:[1,0,3,2] row_mask:0xf bank_mask:0xf bound_ctrl:1
	v_med3_f32 v16, v16, v17, v14
	v_and_b32_e32 v17, 63, v0
	v_xor_b32_e32 v3, v3, v17
	v_or_b32_e32 v3, v6, v3
	v_lshlrev_b32_e32 v3, 2, v3
	ds_bpermute_b32 v6, v3, v16
	s_waitcnt lgkmcnt(0)
	s_nop 0
	v_mov_b32_dpp v16, v6 row_shl:8 row_mask:0xf bank_mask:0x3 bound_ctrl:1
	s_nop 1
	v_mov_b32_dpp v16, v6 row_shr:8 row_mask:0xf bank_mask:0xc bound_ctrl:1
	v_med3_f32 v6, v6, v16, v27
	s_nop 1
	v_mov_b32_dpp v16, v6 row_shl:4 row_mask:0xf bank_mask:0x5 bound_ctrl:1
	s_nop 1
	v_mov_b32_dpp v16, v6 row_shr:4 row_mask:0xf bank_mask:0xa bound_ctrl:1
	v_med3_f32 v6, v6, v16, v28
	s_nop 1
	v_mov_b32_dpp v16, v6 quad_perm:[2,3,0,1] row_mask:0xf bank_mask:0xf bound_ctrl:1
	v_med3_f32 v6, v6, v16, v15
	s_nop 1
	v_mov_b32_dpp v15, v6 quad_perm:[1,0,3,2] row_mask:0xf bank_mask:0xf bound_ctrl:1
	v_med3_f32 v6, v6, v15, v14
	ds_bpermute_b32 v3, v3, v6
	v_cndmask_b32_e32 v14, v2, v4, vcc
	v_cmp_eq_u32_e32 vcc, 0, v5
	v_cndmask_b32_e32 v2, v2, v4, vcc
	s_waitcnt lgkmcnt(0)
	v_mov_b32_dpp v6, v3 row_shl:8 row_mask:0xf bank_mask:0x3 bound_ctrl:1
	s_nop 1
	v_mov_b32_dpp v6, v3 row_shr:8 row_mask:0xf bank_mask:0xc bound_ctrl:1
	v_med3_f32 v3, v3, v6, v14
	s_nop 1
	v_mov_b32_dpp v6, v3 row_shl:4 row_mask:0xf bank_mask:0x5 bound_ctrl:1
	s_nop 1
	v_mov_b32_dpp v6, v3 row_shr:4 row_mask:0xf bank_mask:0xa bound_ctrl:1
	v_med3_f32 v2, v3, v6, v2
	s_nop 1
	v_mov_b32_dpp v3, v2 quad_perm:[2,3,0,1] row_mask:0xf bank_mask:0xf bound_ctrl:1
	v_med3_f32 v2, v2, v3, v9
	s_nop 1
	v_mov_b32_dpp v3, v2 quad_perm:[1,0,3,2] row_mask:0xf bank_mask:0xf bound_ctrl:1
	v_med3_f32 v2, v2, v3, v10
	ds_bpermute_b32 v2, v11, v2 offset:28
	v_lshlrev_b32_e32 v3, 2, v1
	v_and_b32_e32 v3, 0xc0, v3
	v_add_u32_e32 v4, -4, v3
	v_add_u32_e32 v9, 0xffffffbc, v3
	s_waitcnt lgkmcnt(0)
	v_cmp_gt_f32_e32 vcc, v13, v2
	v_cndmask_b32_e64 v5, 0, 1, vcc
	v_cmp_eq_f32_e64 s[8:9], v13, v2
	s_nop 0
	v_mov_b32_dpp v5, v5 row_shr:1 row_mask:0xf bank_mask:0xf bound_ctrl:1
	v_addc_co_u32_e64 v6, s[0:1], 0, v5, vcc
	s_nop 1
	v_mov_b32_dpp v6, v6 row_shr:2 row_mask:0xf bank_mask:0xf bound_ctrl:1
	v_addc_co_u32_e32 v5, vcc, v6, v5, vcc
	v_cmp_gt_f32_e32 vcc, v8, v2
	s_nop 0
	v_add_u32_dpp v5, v5, v5 row_shr:4 row_mask:0xf bank_mask:0xf bound_ctrl:1
	s_nop 1
	v_add_u32_dpp v5, v5, v5 row_shr:8 row_mask:0xf bank_mask:0xf bound_ctrl:1
	ds_bpermute_b32 v6, v4, v5
	s_waitcnt lgkmcnt(0)
	v_cndmask_b32_e64 v3, 0, v6, s[2:3]
	v_cndmask_b32_e64 v6, 0, 1, vcc
	v_add_u32_e32 v3, v3, v5
	ds_bpermute_b32 v5, v9, v3
	v_mov_b32_dpp v6, v6 row_shr:1 row_mask:0xf bank_mask:0xf bound_ctrl:1
	v_addc_co_u32_e64 v10, s[0:1], 0, v6, vcc
	s_nop 1
	v_mov_b32_dpp v10, v10 row_shr:2 row_mask:0xf bank_mask:0xf bound_ctrl:1
	v_addc_co_u32_e32 v6, vcc, v10, v6, vcc
	v_cmp_lt_u32_e32 vcc, 31, v1
	s_nop 0
	v_add_u32_dpp v6, v6, v6 row_shr:4 row_mask:0xf bank_mask:0xf bound_ctrl:1
	s_waitcnt lgkmcnt(0)
	v_cndmask_b32_e32 v1, 0, v5, vcc
	v_add_u32_e32 v14, v3, v1
	v_add_u32_dpp v6, v6, v6 row_shr:8 row_mask:0xf bank_mask:0xf bound_ctrl:1
	ds_bpermute_b32 v10, v4, v6
	s_waitcnt lgkmcnt(0)
	v_cndmask_b32_e64 v5, 0, v10, s[2:3]
	v_cndmask_b32_e64 v10, 0, 1, s[8:9]
	v_add_u32_e32 v5, v5, v6
	ds_bpermute_b32 v6, v9, v5
	v_mov_b32_dpp v10, v10 row_shr:1 row_mask:0xf bank_mask:0xf bound_ctrl:1
	v_addc_co_u32_e64 v11, s[0:1], 0, v10, s[8:9]
	s_waitcnt lgkmcnt(0)
	v_cndmask_b32_e32 v1, 0, v6, vcc
	v_mov_b32_dpp v11, v11 row_shr:2 row_mask:0xf bank_mask:0xf bound_ctrl:1
	v_addc_co_u32_e64 v10, s[0:1], v11, v10, s[8:9]
	v_readlane_b32 s0, v14, 63
	s_nop 0
	v_add_u32_dpp v10, v10, v10 row_shr:4 row_mask:0xf bank_mask:0xf bound_ctrl:1
	v_add3_u32 v1, v5, s0, v1
	v_cmp_eq_f32_e64 s[0:1], v8, v2
	v_add_u32_dpp v10, v10, v10 row_shr:8 row_mask:0xf bank_mask:0xf bound_ctrl:1
	ds_bpermute_b32 v11, v4, v10
	v_cndmask_b32_e64 v6, 0, 1, s[0:1]
	s_waitcnt lgkmcnt(0)
	v_cndmask_b32_e64 v3, 0, v11, s[2:3]
	v_mov_b32_dpp v6, v6 row_shr:1 row_mask:0xf bank_mask:0xf bound_ctrl:1
	v_add_u32_e32 v3, v3, v10
	v_addc_co_u32_e64 v10, s[10:11], 0, v6, s[0:1]
	ds_bpermute_b32 v5, v9, v3
	s_nop 0
	v_mov_b32_dpp v10, v10 row_shr:2 row_mask:0xf bank_mask:0xf bound_ctrl:1
	v_addc_co_u32_e64 v6, s[10:11], v10, v6, s[0:1]
	v_readlane_b32 s10, v1, 63
	s_nop 0
	v_add_u32_dpp v6, v6, v6 row_shr:4 row_mask:0xf bank_mask:0xf bound_ctrl:1
	s_waitcnt lgkmcnt(0)
	v_cndmask_b32_e32 v5, 0, v5, vcc
	v_add3_u32 v5, v3, s10, v5
	v_add_u32_dpp v6, v6, v6 row_shr:8 row_mask:0xf bank_mask:0xf bound_ctrl:1
	ds_bpermute_b32 v4, v4, v6
	v_readlane_b32 s10, v5, 63
	v_cndmask_b32_e64 v5, v14, v5, s[8:9]
	v_cmp_ge_i32_e64 s[8:9], s17, v5
	s_waitcnt lgkmcnt(0)
	v_cndmask_b32_e64 v3, 0, v4, s[2:3]
	v_add_u32_e32 v3, v3, v6
	ds_bpermute_b32 v4, v9, v3
	v_cmp_ge_f32_e64 s[2:3], v13, v2
	s_and_b64 s[8:9], s[2:3], s[8:9]
	s_and_saveexec_b64 s[2:3], s[8:9]
	s_cbranch_execz .LBB194_4
; %bb.3:
	v_lshl_add_u32 v5, v5, 2, -4
	v_add_u32_e32 v6, s16, v5
	v_add_u32_e32 v5, s13, v5
	ds_write_b32 v5, v12
	ds_write_b32 v6, v13
.LBB194_4:
	s_or_b64 exec, exec, s[2:3]
	s_waitcnt lgkmcnt(0)
	v_cndmask_b32_e32 v4, 0, v4, vcc
	v_add3_u32 v3, v3, s10, v4
	v_cndmask_b32_e64 v1, v1, v3, s[0:1]
	v_cmp_ge_f32_e32 vcc, v8, v2
	v_cmp_ge_i32_e64 s[0:1], s17, v1
	s_and_b64 s[2:3], vcc, s[0:1]
	s_and_saveexec_b64 s[0:1], s[2:3]
	s_cbranch_execz .LBB194_6
; %bb.5:
	v_lshl_add_u32 v1, v1, 2, -4
	v_add_u32_e32 v2, s16, v1
	v_add_u32_e32 v1, s13, v1
	ds_write_b32 v1, v7
	ds_write_b32 v2, v8
.LBB194_6:
	s_or_b64 exec, exec, s[0:1]
	v_cmp_gt_u32_e32 vcc, s17, v0
	s_waitcnt lgkmcnt(0)
	s_barrier
	s_and_saveexec_b64 s[0:1], vcc
	s_cbranch_execz .LBB194_8
; %bb.7:
	v_lshlrev_b32_e32 v4, 2, v0
	v_add_u32_e32 v0, s7, v4
	ds_read_b32 v0, v0 offset:64
	v_mov_b32_e32 v5, s15
	s_load_dwordx2 s[8:9], s[4:5], 0x20
	s_waitcnt lgkmcnt(0)
	v_ashrrev_i32_e32 v1, 31, v0
	v_lshlrev_b64 v[2:3], 1, v[0:1]
	v_add_co_u32_e32 v2, vcc, s14, v2
	v_addc_co_u32_e32 v3, vcc, v5, v3, vcc
	global_load_ushort v1, v[2:3], off
	v_add_u32_e32 v2, s12, v4
	ds_read_b32 v2, v2 offset:64
	s_load_dwordx4 s[0:3], s[4:5], 0x10
	s_load_dword s7, s[4:5], 0x38
	s_ashr_i32 s4, s6, 31
	s_mul_i32 s5, s6, s9
	s_mul_hi_u32 s9, s6, s8
	s_mul_i32 s10, s4, s8
	s_add_i32 s5, s9, s5
	s_mul_i32 s4, s6, s8
	s_add_i32 s5, s5, s10
	s_lshl_b64 s[4:5], s[4:5], 2
	s_waitcnt lgkmcnt(0)
	s_add_u32 s0, s0, s4
	s_addc_u32 s1, s1, s5
	s_add_u32 s2, s2, s4
	s_addc_u32 s3, s3, s5
	s_waitcnt vmcnt(0)
	v_cvt_f32_f16_e32 v1, v1
	v_sub_f32_e32 v1, v2, v1
	s_nop 1
	v_mov_b32_dpp v2, v1 quad_perm:[1,0,3,2] row_mask:0xf bank_mask:0xf
	v_add_f32_e32 v2, v1, v2
	v_mul_f32_e32 v1, s7, v1
	s_nop 0
	v_mov_b32_dpp v3, v2 quad_perm:[2,3,0,1] row_mask:0xf bank_mask:0xf
	v_add_f32_e32 v2, v2, v3
	s_nop 1
	v_mov_b32_dpp v3, v2 row_half_mirror row_mask:0xf bank_mask:0xf
	v_add_f32_e32 v2, v2, v3
	v_rcp_f32_e32 v2, v2
	v_mul_f32_e32 v1, v1, v2
	global_store_dword v4, v1, s[0:1]
	global_store_dword v4, v0, s[2:3]
.LBB194_8:
	s_endpgm
	.section	.rodata,"a",@progbits
	.p2align	6, 0x0
	.amdhsa_kernel _ZN5aiter28grouped_topk_opt_sort_kernelIN3c104HalfEDv1_fLi8ELb1ELb1ELb0EEEvPT_PKS4_PfPimiiiif
		.amdhsa_group_segment_fixed_size 0
		.amdhsa_private_segment_fixed_size 0
		.amdhsa_kernarg_size 60
		.amdhsa_user_sgpr_count 6
		.amdhsa_user_sgpr_private_segment_buffer 1
		.amdhsa_user_sgpr_dispatch_ptr 0
		.amdhsa_user_sgpr_queue_ptr 0
		.amdhsa_user_sgpr_kernarg_segment_ptr 1
		.amdhsa_user_sgpr_dispatch_id 0
		.amdhsa_user_sgpr_flat_scratch_init 0
		.amdhsa_user_sgpr_kernarg_preload_length 0
		.amdhsa_user_sgpr_kernarg_preload_offset 0
		.amdhsa_user_sgpr_private_segment_size 0
		.amdhsa_uses_dynamic_stack 0
		.amdhsa_system_sgpr_private_segment_wavefront_offset 0
		.amdhsa_system_sgpr_workgroup_id_x 1
		.amdhsa_system_sgpr_workgroup_id_y 0
		.amdhsa_system_sgpr_workgroup_id_z 0
		.amdhsa_system_sgpr_workgroup_info 0
		.amdhsa_system_vgpr_workitem_id 0
		.amdhsa_next_free_vgpr 29
		.amdhsa_next_free_sgpr 20
		.amdhsa_accum_offset 32
		.amdhsa_reserve_vcc 1
		.amdhsa_reserve_flat_scratch 0
		.amdhsa_float_round_mode_32 0
		.amdhsa_float_round_mode_16_64 0
		.amdhsa_float_denorm_mode_32 3
		.amdhsa_float_denorm_mode_16_64 3
		.amdhsa_dx10_clamp 1
		.amdhsa_ieee_mode 1
		.amdhsa_fp16_overflow 0
		.amdhsa_tg_split 0
		.amdhsa_exception_fp_ieee_invalid_op 0
		.amdhsa_exception_fp_denorm_src 0
		.amdhsa_exception_fp_ieee_div_zero 0
		.amdhsa_exception_fp_ieee_overflow 0
		.amdhsa_exception_fp_ieee_underflow 0
		.amdhsa_exception_fp_ieee_inexact 0
		.amdhsa_exception_int_div_zero 0
	.end_amdhsa_kernel
	.section	.text._ZN5aiter28grouped_topk_opt_sort_kernelIN3c104HalfEDv1_fLi8ELb1ELb1ELb0EEEvPT_PKS4_PfPimiiiif,"axG",@progbits,_ZN5aiter28grouped_topk_opt_sort_kernelIN3c104HalfEDv1_fLi8ELb1ELb1ELb0EEEvPT_PKS4_PfPimiiiif,comdat
.Lfunc_end194:
	.size	_ZN5aiter28grouped_topk_opt_sort_kernelIN3c104HalfEDv1_fLi8ELb1ELb1ELb0EEEvPT_PKS4_PfPimiiiif, .Lfunc_end194-_ZN5aiter28grouped_topk_opt_sort_kernelIN3c104HalfEDv1_fLi8ELb1ELb1ELb0EEEvPT_PKS4_PfPimiiiif
                                        ; -- End function
	.section	.AMDGPU.csdata,"",@progbits
; Kernel info:
; codeLenInByte = 2840
; NumSgprs: 24
; NumVgprs: 29
; NumAgprs: 0
; TotalNumVgprs: 29
; ScratchSize: 0
; MemoryBound: 0
; FloatMode: 240
; IeeeMode: 1
; LDSByteSize: 0 bytes/workgroup (compile time only)
; SGPRBlocks: 2
; VGPRBlocks: 3
; NumSGPRsForWavesPerEU: 24
; NumVGPRsForWavesPerEU: 29
; AccumOffset: 32
; Occupancy: 8
; WaveLimiterHint : 0
; COMPUTE_PGM_RSRC2:SCRATCH_EN: 0
; COMPUTE_PGM_RSRC2:USER_SGPR: 6
; COMPUTE_PGM_RSRC2:TRAP_HANDLER: 0
; COMPUTE_PGM_RSRC2:TGID_X_EN: 1
; COMPUTE_PGM_RSRC2:TGID_Y_EN: 0
; COMPUTE_PGM_RSRC2:TGID_Z_EN: 0
; COMPUTE_PGM_RSRC2:TIDIG_COMP_CNT: 0
; COMPUTE_PGM_RSRC3_GFX90A:ACCUM_OFFSET: 7
; COMPUTE_PGM_RSRC3_GFX90A:TG_SPLIT: 0
	.section	.text._ZN5aiter28grouped_topk_opt_sort_kernelIN3c108BFloat16EDv1_fLi8ELb1ELb1ELb0EEEvPT_PKS4_PfPimiiiif,"axG",@progbits,_ZN5aiter28grouped_topk_opt_sort_kernelIN3c108BFloat16EDv1_fLi8ELb1ELb1ELb0EEEvPT_PKS4_PfPimiiiif,comdat
	.protected	_ZN5aiter28grouped_topk_opt_sort_kernelIN3c108BFloat16EDv1_fLi8ELb1ELb1ELb0EEEvPT_PKS4_PfPimiiiif ; -- Begin function _ZN5aiter28grouped_topk_opt_sort_kernelIN3c108BFloat16EDv1_fLi8ELb1ELb1ELb0EEEvPT_PKS4_PfPimiiiif
	.globl	_ZN5aiter28grouped_topk_opt_sort_kernelIN3c108BFloat16EDv1_fLi8ELb1ELb1ELb0EEEvPT_PKS4_PfPimiiiif
	.p2align	8
	.type	_ZN5aiter28grouped_topk_opt_sort_kernelIN3c108BFloat16EDv1_fLi8ELb1ELb1ELb0EEEvPT_PKS4_PfPimiiiif,@function
_ZN5aiter28grouped_topk_opt_sort_kernelIN3c108BFloat16EDv1_fLi8ELb1ELb1ELb0EEEvPT_PKS4_PfPimiiiif: ; @_ZN5aiter28grouped_topk_opt_sort_kernelIN3c108BFloat16EDv1_fLi8ELb1ELb1ELb0EEEvPT_PKS4_PfPimiiiif
; %bb.0:
	s_load_dwordx4 s[16:19], s[4:5], 0x28
	s_load_dwordx4 s[12:15], s[4:5], 0x0
	v_lshlrev_b32_e32 v3, 1, v0
	v_bfe_u32 v15, v0, 1, 1
	v_and_b32_e32 v14, 1, v0
	s_waitcnt lgkmcnt(0)
	s_lshl_b32 s1, s16, 2
	s_mul_i32 s0, s6, s16
	s_add_i32 s7, s1, 0
	s_ashr_i32 s1, s0, 31
	s_lshl_b64 s[0:1], s[0:1], 1
	s_add_u32 s0, s12, s0
	s_addc_u32 s1, s13, s1
	global_load_ushort v7, v3, s[0:1]
	global_load_ushort v10, v3, s[14:15]
	s_mov_b32 s0, 0x652b82fe
	s_mov_b32 s1, 0xbff71547
	v_mov_b32_e32 v2, 0xff800000
	v_mov_b32_e32 v4, 0x7f800000
	v_bfe_u32 v5, v0, 2, 1
	v_cmp_eq_u32_e32 vcc, v14, v15
	v_cndmask_b32_e32 v16, v2, v4, vcc
	v_cmp_eq_u32_e32 vcc, v15, v5
	s_mov_b32 s2, 0xc2fc0000
	v_cndmask_b32_e32 v17, v2, v4, vcc
	v_cmp_eq_u32_e32 vcc, v14, v5
	v_mov_b32_e32 v11, 0x42800000
	v_cndmask_b32_e32 v18, v2, v4, vcc
	v_mov_b32_e32 v12, 0x1f800000
	v_mov_b32_dpp v6, v2 quad_perm:[1,0,3,2] row_mask:0xf bank_mask:0xf bound_ctrl:1
	v_max_f32_e32 v20, v6, v6
	v_mbcnt_lo_u32_b32 v1, -1, 0
	v_mbcnt_hi_u32_b32 v1, -1, v1
	v_lshlrev_b32_e32 v13, 3, v0
	v_and_b32_e32 v6, 64, v1
	v_and_b32_e32 v19, 4, v0
	s_waitcnt vmcnt(1)
	v_cvt_f64_u32_e32 v[8:9], v7
	v_mul_f64 v[8:9], v[8:9], s[0:1]
	v_cvt_f32_f64_e32 v7, v[8:9]
	v_cmp_gt_f32_e32 vcc, s2, v7
	v_cndmask_b32_e32 v8, 0, v11, vcc
	v_add_f32_e32 v7, v7, v8
	v_exp_f32_e32 v7, v7
	s_waitcnt vmcnt(0)
	v_cvt_f32_u32_e32 v9, v10
	v_cndmask_b32_e32 v10, 1.0, v12, vcc
	v_and_or_b32 v11, v13, 56, v6
	v_fma_f32 v7, v7, v10, 1.0
	v_rcp_f32_e32 v7, v7
	v_max_f32_e32 v10, 0xff800000, v20
	v_cmp_eq_u32_e64 s[0:1], 0, v19
	v_lshlrev_b32_e32 v11, 2, v11
	v_add_f32_e32 v7, v7, v9
	v_cmp_o_f32_e32 vcc, v7, v7
	v_cndmask_b32_e32 v7, v2, v7, vcc
	v_cndmask_b32_e64 v8, v2, v4, s[0:1]
	v_cmp_eq_u32_e32 vcc, 0, v15
	v_mov_b32_dpp v9, v7 quad_perm:[1,0,3,2] row_mask:0xf bank_mask:0xf bound_ctrl:1
	v_med3_f32 v10, v9, v7, v10
	v_max_f32_e32 v9, v9, v9
	v_max_f32_e32 v9, v9, v7
	v_mov_b32_dpp v12, v10 quad_perm:[2,3,0,1] row_mask:0xf bank_mask:0xf bound_ctrl:1
	v_max_f32_e32 v12, v12, v12
	v_mov_b32_dpp v13, v9 quad_perm:[2,3,0,1] row_mask:0xf bank_mask:0xf bound_ctrl:1
	v_max_f32_e32 v10, v12, v10
	v_max_f32_e32 v12, v13, v13
	v_med3_f32 v10, v13, v9, v10
	v_max_f32_e32 v9, v12, v9
	s_nop 0
	v_mov_b32_dpp v13, v10 row_half_mirror row_mask:0xf bank_mask:0xf bound_ctrl:1
	v_mov_b32_dpp v12, v9 row_half_mirror row_mask:0xf bank_mask:0xf bound_ctrl:1
	v_max_f32_e32 v13, v13, v13
	v_max_f32_e32 v19, v12, v12
	;; [unrolled: 1-line block ×4, first 2 shown]
	v_med3_f32 v9, v12, v9, v10
	v_add_f32_e32 v9, v13, v9
	ds_bpermute_b32 v12, v11, v9
	v_cndmask_b32_e32 v9, v2, v4, vcc
	v_cmp_eq_u32_e32 vcc, 0, v14
	v_cndmask_b32_e32 v10, v2, v4, vcc
	v_lshlrev_b32_e32 v11, 2, v6
	s_waitcnt lgkmcnt(0)
	v_mov_b32_dpp v13, v12 quad_perm:[1,0,3,2] row_mask:0xf bank_mask:0xf bound_ctrl:1
	v_med3_f32 v13, v12, v13, v16
	s_nop 1
	v_mov_b32_dpp v19, v13 quad_perm:[2,3,0,1] row_mask:0xf bank_mask:0xf bound_ctrl:1
	v_med3_f32 v13, v13, v19, v17
	s_nop 1
	;; [unrolled: 3-line block ×3, first 2 shown]
	v_mov_b32_dpp v19, v13 row_shl:4 row_mask:0xf bank_mask:0x5 bound_ctrl:1
	s_nop 1
	v_mov_b32_dpp v19, v13 row_shr:4 row_mask:0xf bank_mask:0xa bound_ctrl:1
	v_med3_f32 v8, v13, v19, v8
	v_bfe_i32 v19, v1, 3, 1
	s_nop 0
	v_mov_b32_dpp v13, v8 quad_perm:[2,3,0,1] row_mask:0xf bank_mask:0xf bound_ctrl:1
	v_med3_f32 v8, v8, v13, v9
	s_nop 1
	v_mov_b32_dpp v13, v8 quad_perm:[1,0,3,2] row_mask:0xf bank_mask:0xf bound_ctrl:1
	v_med3_f32 v8, v8, v13, v10
	ds_bpermute_b32 v8, v11, v8 offset:12
	v_lshl_add_u32 v13, v0, 2, 0
	ds_write_b32 v13, v7
	s_waitcnt lgkmcnt(1)
	v_cmp_gt_f32_e32 vcc, v12, v8
	v_cndmask_b32_e64 v7, 0, 1, vcc
	v_cmp_eq_f32_e64 s[0:1], v12, v8
	v_cmp_ge_f32_e64 s[2:3], v12, v8
	v_mov_b32_dpp v7, v7 row_shr:1 row_mask:0xf bank_mask:0xf bound_ctrl:1
	v_addc_co_u32_e64 v12, s[8:9], 0, v7, vcc
	v_cndmask_b32_e64 v13, 0, 1, s[0:1]
	s_nop 0
	v_mov_b32_dpp v12, v12 row_shr:2 row_mask:0xf bank_mask:0xf bound_ctrl:1
	v_addc_co_u32_e32 v7, vcc, v12, v7, vcc
	v_mov_b32_dpp v8, v13 row_shr:1 row_mask:0xf bank_mask:0xf bound_ctrl:1
	v_addc_co_u32_e64 v13, s[8:9], 0, v8, s[0:1]
	v_add_u32_dpp v7, v7, v7 row_shr:4 row_mask:0xf bank_mask:0xf bound_ctrl:1
	s_nop 0
	v_mov_b32_dpp v13, v13 row_shr:2 row_mask:0xf bank_mask:0xf bound_ctrl:1
	v_addc_co_u32_e64 v8, vcc, v13, v8, s[0:1]
	v_add_u32_dpp v7, v7, v7 row_shr:8 row_mask:0xf bank_mask:0xf bound_ctrl:1
	s_nop 0
	v_add_u32_dpp v8, v8, v8 row_shr:4 row_mask:0xf bank_mask:0xf bound_ctrl:1
	v_and_b32_dpp v12, v7, v19 row_newbcast:7 row_mask:0xf bank_mask:0xf bound_ctrl:1
	v_sub_u32_e32 v7, v7, v12
	v_add_u32_dpp v8, v8, v8 row_shr:8 row_mask:0xf bank_mask:0xf bound_ctrl:1
	v_readlane_b32 s8, v7, 7
	s_nop 0
	v_and_b32_dpp v13, v8, v19 row_newbcast:7 row_mask:0xf bank_mask:0xf bound_ctrl:1
	v_add_u32_e32 v8, s8, v8
	v_sub_u32_e32 v8, v8, v13
	v_cndmask_b32_e64 v7, v7, v8, s[0:1]
	v_cmp_ge_i32_e32 vcc, s18, v7
	s_and_b64 s[0:1], s[2:3], vcc
	v_cmp_gt_u32_e32 vcc, 8, v0
	s_and_b64 s[2:3], vcc, s[0:1]
	s_and_saveexec_b64 s[0:1], s[2:3]
	s_cbranch_execz .LBB195_2
; %bb.1:
	v_lshl_add_u32 v7, v7, 2, s7
	ds_write_b32 v7, v0 offset:28
.LBB195_2:
	s_or_b64 exec, exec, s[0:1]
	v_lshrrev_b32_e32 v7, 3, v0
	v_and_b32_e32 v7, 0x7c, v7
	v_add_u32_e32 v7, s7, v7
	s_waitcnt lgkmcnt(0)
	s_barrier
	ds_read_b32 v7, v7 offset:32
	v_add_u32_e32 v8, 64, v0
	v_and_b32_e32 v19, 31, v0
	v_lshrrev_b32_e32 v8, 3, v8
	v_and_b32_e32 v8, 0xfc, v8
	s_waitcnt lgkmcnt(0)
	v_lshl_or_b32 v12, v7, 5, v19
	v_add_u32_e32 v8, s7, v8
	v_lshl_add_u32 v7, v12, 2, 0
	ds_read_b32 v8, v8 offset:32
	ds_read_b32 v13, v7
	v_bfe_u32 v22, v0, 3, 1
	v_cmp_eq_u32_e32 vcc, v5, v22
	v_cndmask_b32_e32 v23, v2, v4, vcc
	v_cmp_eq_u32_e32 vcc, v15, v22
	s_waitcnt lgkmcnt(0)
	v_mov_b32_dpp v20, v13 quad_perm:[1,0,3,2] row_mask:0xf bank_mask:0xf bound_ctrl:1
	v_med3_f32 v20, v13, v20, v16
	v_cndmask_b32_e32 v24, v2, v4, vcc
	v_cmp_eq_u32_e32 vcc, v14, v22
	v_mov_b32_dpp v21, v20 quad_perm:[2,3,0,1] row_mask:0xf bank_mask:0xf bound_ctrl:1
	v_med3_f32 v20, v20, v21, v17
	v_cndmask_b32_e32 v25, v2, v4, vcc
	v_bfe_u32 v26, v0, 4, 1
	v_mov_b32_dpp v21, v20 quad_perm:[1,0,3,2] row_mask:0xf bank_mask:0xf bound_ctrl:1
	v_med3_f32 v20, v20, v21, v18
	v_cmp_eq_u32_e32 vcc, v22, v26
	v_cndmask_b32_e32 v27, v2, v4, vcc
	v_mov_b32_dpp v21, v20 row_shl:4 row_mask:0xf bank_mask:0x5 bound_ctrl:1
	v_lshl_or_b32 v7, v8, 5, v19
	v_lshl_add_u32 v8, v7, 2, 0
	v_mov_b32_dpp v21, v20 row_shr:4 row_mask:0xf bank_mask:0xa bound_ctrl:1
	v_med3_f32 v20, v20, v21, v23
	v_cmp_eq_u32_e32 vcc, v5, v26
	ds_read_b32 v8, v8
	v_mov_b32_dpp v21, v20 quad_perm:[2,3,0,1] row_mask:0xf bank_mask:0xf bound_ctrl:1
	v_med3_f32 v20, v20, v21, v24
	v_cndmask_b32_e32 v28, v2, v4, vcc
	v_cmp_eq_u32_e32 vcc, v15, v26
	v_mov_b32_dpp v21, v20 quad_perm:[1,0,3,2] row_mask:0xf bank_mask:0xf bound_ctrl:1
	v_med3_f32 v20, v20, v21, v25
	v_cndmask_b32_e32 v15, v2, v4, vcc
	v_cmp_eq_u32_e32 vcc, v14, v26
	v_mov_b32_dpp v21, v20 row_shl:8 row_mask:0xf bank_mask:0x3 bound_ctrl:1
	v_cndmask_b32_e32 v14, v2, v4, vcc
	v_cmp_gt_u32_e32 vcc, 32, v0
	v_mov_b32_dpp v21, v20 row_shr:8 row_mask:0xf bank_mask:0xc bound_ctrl:1
	v_med3_f32 v20, v20, v21, v27
	v_cmp_lt_u32_e64 s[2:3], 15, v1
	s_lshl_b32 s8, s17, 2
	v_mov_b32_dpp v21, v20 row_shl:4 row_mask:0xf bank_mask:0x5 bound_ctrl:1
	s_add_i32 s12, s7, s8
	s_add_i32 s13, s7, 64
	v_mov_b32_dpp v21, v20 row_shr:4 row_mask:0xf bank_mask:0xa bound_ctrl:1
	v_med3_f32 v20, v20, v21, v28
	s_add_i32 s16, s12, 64
	s_nop 0
	v_mov_b32_dpp v21, v20 quad_perm:[2,3,0,1] row_mask:0xf bank_mask:0xf bound_ctrl:1
	v_med3_f32 v20, v20, v21, v15
	s_nop 1
	v_mov_b32_dpp v21, v20 quad_perm:[1,0,3,2] row_mask:0xf bank_mask:0xf bound_ctrl:1
	v_med3_f32 v20, v20, v21, v14
	s_waitcnt lgkmcnt(0)
	v_mov_b32_dpp v21, v8 quad_perm:[1,0,3,2] row_mask:0xf bank_mask:0xf bound_ctrl:1
	v_med3_f32 v16, v8, v21, v16
	s_nop 1
	v_mov_b32_dpp v21, v16 quad_perm:[2,3,0,1] row_mask:0xf bank_mask:0xf bound_ctrl:1
	v_med3_f32 v16, v16, v21, v17
	s_nop 1
	;; [unrolled: 3-line block ×3, first 2 shown]
	v_mov_b32_dpp v17, v16 row_shl:4 row_mask:0xf bank_mask:0x5 bound_ctrl:1
	s_nop 1
	v_mov_b32_dpp v17, v16 row_shr:4 row_mask:0xf bank_mask:0xa bound_ctrl:1
	v_med3_f32 v16, v16, v17, v23
	s_nop 1
	v_mov_b32_dpp v17, v16 quad_perm:[2,3,0,1] row_mask:0xf bank_mask:0xf bound_ctrl:1
	v_med3_f32 v16, v16, v17, v24
	s_nop 1
	v_mov_b32_dpp v17, v16 quad_perm:[1,0,3,2] row_mask:0xf bank_mask:0xf bound_ctrl:1
	v_med3_f32 v16, v16, v17, v25
	s_nop 1
	v_mov_b32_dpp v17, v16 row_shl:8 row_mask:0xf bank_mask:0x3 bound_ctrl:1
	s_nop 1
	v_mov_b32_dpp v17, v16 row_shr:8 row_mask:0xf bank_mask:0xc bound_ctrl:1
	v_med3_f32 v16, v16, v17, v27
	s_nop 1
	v_mov_b32_dpp v17, v16 row_shl:4 row_mask:0xf bank_mask:0x5 bound_ctrl:1
	s_nop 1
	v_mov_b32_dpp v17, v16 row_shr:4 row_mask:0xf bank_mask:0xa bound_ctrl:1
	v_med3_f32 v16, v16, v17, v28
	s_nop 1
	v_mov_b32_dpp v17, v16 quad_perm:[2,3,0,1] row_mask:0xf bank_mask:0xf bound_ctrl:1
	v_med3_f32 v16, v16, v17, v15
	s_nop 1
	v_mov_b32_dpp v17, v16 quad_perm:[1,0,3,2] row_mask:0xf bank_mask:0xf bound_ctrl:1
	v_med3_f32 v16, v16, v17, v14
	v_bfi_b32 v17, 48, v3, v19
	v_or_b32_e32 v17, v6, v17
	v_lshlrev_b32_e32 v17, 2, v17
	ds_bpermute_b32 v18, v17, v20
	ds_bpermute_b32 v16, v17, v16
	v_xor_b32_e32 v3, v19, v3
	v_and_b32_e32 v3, 48, v3
	s_waitcnt lgkmcnt(0)
	v_cndmask_b32_e32 v16, v16, v18, vcc
	s_nop 1
	v_mov_b32_dpp v17, v16 row_shl:8 row_mask:0xf bank_mask:0x3 bound_ctrl:1
	v_cmp_eq_u32_e32 vcc, 0, v22
	s_nop 0
	v_mov_b32_dpp v17, v16 row_shr:8 row_mask:0xf bank_mask:0xc bound_ctrl:1
	v_med3_f32 v16, v16, v17, v27
	s_nop 1
	v_mov_b32_dpp v17, v16 row_shl:4 row_mask:0xf bank_mask:0x5 bound_ctrl:1
	s_nop 1
	v_mov_b32_dpp v17, v16 row_shr:4 row_mask:0xf bank_mask:0xa bound_ctrl:1
	v_med3_f32 v16, v16, v17, v28
	s_nop 1
	v_mov_b32_dpp v17, v16 quad_perm:[2,3,0,1] row_mask:0xf bank_mask:0xf bound_ctrl:1
	v_med3_f32 v16, v16, v17, v15
	s_nop 1
	v_mov_b32_dpp v17, v16 quad_perm:[1,0,3,2] row_mask:0xf bank_mask:0xf bound_ctrl:1
	v_med3_f32 v16, v16, v17, v14
	v_and_b32_e32 v17, 63, v0
	v_xor_b32_e32 v3, v3, v17
	v_or_b32_e32 v3, v6, v3
	v_lshlrev_b32_e32 v3, 2, v3
	ds_bpermute_b32 v6, v3, v16
	s_waitcnt lgkmcnt(0)
	s_nop 0
	v_mov_b32_dpp v16, v6 row_shl:8 row_mask:0xf bank_mask:0x3 bound_ctrl:1
	s_nop 1
	v_mov_b32_dpp v16, v6 row_shr:8 row_mask:0xf bank_mask:0xc bound_ctrl:1
	v_med3_f32 v6, v6, v16, v27
	s_nop 1
	v_mov_b32_dpp v16, v6 row_shl:4 row_mask:0xf bank_mask:0x5 bound_ctrl:1
	s_nop 1
	v_mov_b32_dpp v16, v6 row_shr:4 row_mask:0xf bank_mask:0xa bound_ctrl:1
	v_med3_f32 v6, v6, v16, v28
	s_nop 1
	v_mov_b32_dpp v16, v6 quad_perm:[2,3,0,1] row_mask:0xf bank_mask:0xf bound_ctrl:1
	v_med3_f32 v6, v6, v16, v15
	s_nop 1
	v_mov_b32_dpp v15, v6 quad_perm:[1,0,3,2] row_mask:0xf bank_mask:0xf bound_ctrl:1
	v_med3_f32 v6, v6, v15, v14
	ds_bpermute_b32 v3, v3, v6
	v_cndmask_b32_e32 v14, v2, v4, vcc
	v_cmp_eq_u32_e32 vcc, 0, v5
	v_cndmask_b32_e32 v2, v2, v4, vcc
	s_waitcnt lgkmcnt(0)
	v_mov_b32_dpp v6, v3 row_shl:8 row_mask:0xf bank_mask:0x3 bound_ctrl:1
	s_nop 1
	v_mov_b32_dpp v6, v3 row_shr:8 row_mask:0xf bank_mask:0xc bound_ctrl:1
	v_med3_f32 v3, v3, v6, v14
	s_nop 1
	v_mov_b32_dpp v6, v3 row_shl:4 row_mask:0xf bank_mask:0x5 bound_ctrl:1
	s_nop 1
	v_mov_b32_dpp v6, v3 row_shr:4 row_mask:0xf bank_mask:0xa bound_ctrl:1
	v_med3_f32 v2, v3, v6, v2
	s_nop 1
	v_mov_b32_dpp v3, v2 quad_perm:[2,3,0,1] row_mask:0xf bank_mask:0xf bound_ctrl:1
	v_med3_f32 v2, v2, v3, v9
	s_nop 1
	v_mov_b32_dpp v3, v2 quad_perm:[1,0,3,2] row_mask:0xf bank_mask:0xf bound_ctrl:1
	v_med3_f32 v2, v2, v3, v10
	ds_bpermute_b32 v2, v11, v2 offset:28
	v_lshlrev_b32_e32 v3, 2, v1
	v_and_b32_e32 v3, 0xc0, v3
	v_add_u32_e32 v4, -4, v3
	v_add_u32_e32 v9, 0xffffffbc, v3
	s_waitcnt lgkmcnt(0)
	v_cmp_gt_f32_e32 vcc, v13, v2
	v_cndmask_b32_e64 v5, 0, 1, vcc
	v_cmp_eq_f32_e64 s[8:9], v13, v2
	s_nop 0
	v_mov_b32_dpp v5, v5 row_shr:1 row_mask:0xf bank_mask:0xf bound_ctrl:1
	v_addc_co_u32_e64 v6, s[0:1], 0, v5, vcc
	s_nop 1
	v_mov_b32_dpp v6, v6 row_shr:2 row_mask:0xf bank_mask:0xf bound_ctrl:1
	v_addc_co_u32_e32 v5, vcc, v6, v5, vcc
	v_cmp_gt_f32_e32 vcc, v8, v2
	s_nop 0
	v_add_u32_dpp v5, v5, v5 row_shr:4 row_mask:0xf bank_mask:0xf bound_ctrl:1
	s_nop 1
	v_add_u32_dpp v5, v5, v5 row_shr:8 row_mask:0xf bank_mask:0xf bound_ctrl:1
	ds_bpermute_b32 v6, v4, v5
	s_waitcnt lgkmcnt(0)
	v_cndmask_b32_e64 v3, 0, v6, s[2:3]
	v_cndmask_b32_e64 v6, 0, 1, vcc
	v_add_u32_e32 v3, v3, v5
	ds_bpermute_b32 v5, v9, v3
	v_mov_b32_dpp v6, v6 row_shr:1 row_mask:0xf bank_mask:0xf bound_ctrl:1
	v_addc_co_u32_e64 v10, s[0:1], 0, v6, vcc
	s_nop 1
	v_mov_b32_dpp v10, v10 row_shr:2 row_mask:0xf bank_mask:0xf bound_ctrl:1
	v_addc_co_u32_e32 v6, vcc, v10, v6, vcc
	v_cmp_lt_u32_e32 vcc, 31, v1
	s_nop 0
	v_add_u32_dpp v6, v6, v6 row_shr:4 row_mask:0xf bank_mask:0xf bound_ctrl:1
	s_waitcnt lgkmcnt(0)
	v_cndmask_b32_e32 v1, 0, v5, vcc
	v_add_u32_e32 v14, v3, v1
	v_add_u32_dpp v6, v6, v6 row_shr:8 row_mask:0xf bank_mask:0xf bound_ctrl:1
	ds_bpermute_b32 v10, v4, v6
	s_waitcnt lgkmcnt(0)
	v_cndmask_b32_e64 v5, 0, v10, s[2:3]
	v_cndmask_b32_e64 v10, 0, 1, s[8:9]
	v_add_u32_e32 v5, v5, v6
	ds_bpermute_b32 v6, v9, v5
	v_mov_b32_dpp v10, v10 row_shr:1 row_mask:0xf bank_mask:0xf bound_ctrl:1
	v_addc_co_u32_e64 v11, s[0:1], 0, v10, s[8:9]
	s_waitcnt lgkmcnt(0)
	v_cndmask_b32_e32 v1, 0, v6, vcc
	v_mov_b32_dpp v11, v11 row_shr:2 row_mask:0xf bank_mask:0xf bound_ctrl:1
	v_addc_co_u32_e64 v10, s[0:1], v11, v10, s[8:9]
	v_readlane_b32 s0, v14, 63
	s_nop 0
	v_add_u32_dpp v10, v10, v10 row_shr:4 row_mask:0xf bank_mask:0xf bound_ctrl:1
	v_add3_u32 v1, v5, s0, v1
	v_cmp_eq_f32_e64 s[0:1], v8, v2
	v_add_u32_dpp v10, v10, v10 row_shr:8 row_mask:0xf bank_mask:0xf bound_ctrl:1
	ds_bpermute_b32 v11, v4, v10
	v_cndmask_b32_e64 v6, 0, 1, s[0:1]
	s_waitcnt lgkmcnt(0)
	v_cndmask_b32_e64 v3, 0, v11, s[2:3]
	v_mov_b32_dpp v6, v6 row_shr:1 row_mask:0xf bank_mask:0xf bound_ctrl:1
	v_add_u32_e32 v3, v3, v10
	v_addc_co_u32_e64 v10, s[10:11], 0, v6, s[0:1]
	ds_bpermute_b32 v5, v9, v3
	s_nop 0
	v_mov_b32_dpp v10, v10 row_shr:2 row_mask:0xf bank_mask:0xf bound_ctrl:1
	v_addc_co_u32_e64 v6, s[10:11], v10, v6, s[0:1]
	v_readlane_b32 s10, v1, 63
	s_nop 0
	v_add_u32_dpp v6, v6, v6 row_shr:4 row_mask:0xf bank_mask:0xf bound_ctrl:1
	s_waitcnt lgkmcnt(0)
	v_cndmask_b32_e32 v5, 0, v5, vcc
	v_add3_u32 v5, v3, s10, v5
	v_add_u32_dpp v6, v6, v6 row_shr:8 row_mask:0xf bank_mask:0xf bound_ctrl:1
	ds_bpermute_b32 v4, v4, v6
	v_readlane_b32 s10, v5, 63
	v_cndmask_b32_e64 v5, v14, v5, s[8:9]
	v_cmp_ge_i32_e64 s[8:9], s17, v5
	s_waitcnt lgkmcnt(0)
	v_cndmask_b32_e64 v3, 0, v4, s[2:3]
	v_add_u32_e32 v3, v3, v6
	ds_bpermute_b32 v4, v9, v3
	v_cmp_ge_f32_e64 s[2:3], v13, v2
	s_and_b64 s[8:9], s[2:3], s[8:9]
	s_and_saveexec_b64 s[2:3], s[8:9]
	s_cbranch_execz .LBB195_4
; %bb.3:
	v_lshl_add_u32 v5, v5, 2, -4
	v_add_u32_e32 v6, s16, v5
	v_add_u32_e32 v5, s13, v5
	ds_write_b32 v5, v12
	ds_write_b32 v6, v13
.LBB195_4:
	s_or_b64 exec, exec, s[2:3]
	s_waitcnt lgkmcnt(0)
	v_cndmask_b32_e32 v4, 0, v4, vcc
	v_add3_u32 v3, v3, s10, v4
	v_cndmask_b32_e64 v1, v1, v3, s[0:1]
	v_cmp_ge_f32_e32 vcc, v8, v2
	v_cmp_ge_i32_e64 s[0:1], s17, v1
	s_and_b64 s[2:3], vcc, s[0:1]
	s_and_saveexec_b64 s[0:1], s[2:3]
	s_cbranch_execz .LBB195_6
; %bb.5:
	v_lshl_add_u32 v1, v1, 2, -4
	v_add_u32_e32 v2, s16, v1
	v_add_u32_e32 v1, s13, v1
	ds_write_b32 v1, v7
	ds_write_b32 v2, v8
.LBB195_6:
	s_or_b64 exec, exec, s[0:1]
	v_cmp_gt_u32_e32 vcc, s17, v0
	s_waitcnt lgkmcnt(0)
	s_barrier
	s_and_saveexec_b64 s[0:1], vcc
	s_cbranch_execz .LBB195_8
; %bb.7:
	v_lshlrev_b32_e32 v4, 2, v0
	v_add_u32_e32 v0, s7, v4
	ds_read_b32 v0, v0 offset:64
	v_mov_b32_e32 v5, s15
	s_load_dwordx2 s[8:9], s[4:5], 0x20
	s_waitcnt lgkmcnt(0)
	v_ashrrev_i32_e32 v1, 31, v0
	v_lshlrev_b64 v[2:3], 1, v[0:1]
	v_add_co_u32_e32 v2, vcc, s14, v2
	v_addc_co_u32_e32 v3, vcc, v5, v3, vcc
	global_load_ushort v1, v[2:3], off
	v_add_u32_e32 v2, s12, v4
	ds_read_b32 v2, v2 offset:64
	s_load_dwordx4 s[0:3], s[4:5], 0x10
	s_load_dword s7, s[4:5], 0x38
	s_ashr_i32 s4, s6, 31
	s_mul_i32 s5, s6, s9
	s_mul_hi_u32 s9, s6, s8
	s_mul_i32 s10, s4, s8
	s_add_i32 s5, s9, s5
	s_mul_i32 s4, s6, s8
	s_add_i32 s5, s5, s10
	s_lshl_b64 s[4:5], s[4:5], 2
	s_waitcnt lgkmcnt(0)
	s_add_u32 s0, s0, s4
	s_addc_u32 s1, s1, s5
	s_add_u32 s2, s2, s4
	s_addc_u32 s3, s3, s5
	s_waitcnt vmcnt(0)
	v_lshrrev_b16_e32 v3, 8, v1
	v_and_b32_e32 v1, 0xff, v1
	v_lshlrev_b32_e32 v1, 16, v1
	v_lshl_or_b32 v1, v3, 24, v1
	v_sub_f32_e32 v1, v2, v1
	s_nop 1
	v_mov_b32_dpp v2, v1 quad_perm:[1,0,3,2] row_mask:0xf bank_mask:0xf
	v_add_f32_e32 v2, v1, v2
	v_mul_f32_e32 v1, s7, v1
	s_nop 0
	v_mov_b32_dpp v3, v2 quad_perm:[2,3,0,1] row_mask:0xf bank_mask:0xf
	v_add_f32_e32 v2, v2, v3
	s_nop 1
	v_mov_b32_dpp v3, v2 row_half_mirror row_mask:0xf bank_mask:0xf
	v_add_f32_e32 v2, v2, v3
	v_rcp_f32_e32 v2, v2
	v_mul_f32_e32 v1, v1, v2
	global_store_dword v4, v1, s[0:1]
	global_store_dword v4, v0, s[2:3]
.LBB195_8:
	s_endpgm
	.section	.rodata,"a",@progbits
	.p2align	6, 0x0
	.amdhsa_kernel _ZN5aiter28grouped_topk_opt_sort_kernelIN3c108BFloat16EDv1_fLi8ELb1ELb1ELb0EEEvPT_PKS4_PfPimiiiif
		.amdhsa_group_segment_fixed_size 0
		.amdhsa_private_segment_fixed_size 0
		.amdhsa_kernarg_size 60
		.amdhsa_user_sgpr_count 6
		.amdhsa_user_sgpr_private_segment_buffer 1
		.amdhsa_user_sgpr_dispatch_ptr 0
		.amdhsa_user_sgpr_queue_ptr 0
		.amdhsa_user_sgpr_kernarg_segment_ptr 1
		.amdhsa_user_sgpr_dispatch_id 0
		.amdhsa_user_sgpr_flat_scratch_init 0
		.amdhsa_user_sgpr_kernarg_preload_length 0
		.amdhsa_user_sgpr_kernarg_preload_offset 0
		.amdhsa_user_sgpr_private_segment_size 0
		.amdhsa_uses_dynamic_stack 0
		.amdhsa_system_sgpr_private_segment_wavefront_offset 0
		.amdhsa_system_sgpr_workgroup_id_x 1
		.amdhsa_system_sgpr_workgroup_id_y 0
		.amdhsa_system_sgpr_workgroup_id_z 0
		.amdhsa_system_sgpr_workgroup_info 0
		.amdhsa_system_vgpr_workitem_id 0
		.amdhsa_next_free_vgpr 29
		.amdhsa_next_free_sgpr 20
		.amdhsa_accum_offset 32
		.amdhsa_reserve_vcc 1
		.amdhsa_reserve_flat_scratch 0
		.amdhsa_float_round_mode_32 0
		.amdhsa_float_round_mode_16_64 0
		.amdhsa_float_denorm_mode_32 3
		.amdhsa_float_denorm_mode_16_64 3
		.amdhsa_dx10_clamp 1
		.amdhsa_ieee_mode 1
		.amdhsa_fp16_overflow 0
		.amdhsa_tg_split 0
		.amdhsa_exception_fp_ieee_invalid_op 0
		.amdhsa_exception_fp_denorm_src 0
		.amdhsa_exception_fp_ieee_div_zero 0
		.amdhsa_exception_fp_ieee_overflow 0
		.amdhsa_exception_fp_ieee_underflow 0
		.amdhsa_exception_fp_ieee_inexact 0
		.amdhsa_exception_int_div_zero 0
	.end_amdhsa_kernel
	.section	.text._ZN5aiter28grouped_topk_opt_sort_kernelIN3c108BFloat16EDv1_fLi8ELb1ELb1ELb0EEEvPT_PKS4_PfPimiiiif,"axG",@progbits,_ZN5aiter28grouped_topk_opt_sort_kernelIN3c108BFloat16EDv1_fLi8ELb1ELb1ELb0EEEvPT_PKS4_PfPimiiiif,comdat
.Lfunc_end195:
	.size	_ZN5aiter28grouped_topk_opt_sort_kernelIN3c108BFloat16EDv1_fLi8ELb1ELb1ELb0EEEvPT_PKS4_PfPimiiiif, .Lfunc_end195-_ZN5aiter28grouped_topk_opt_sort_kernelIN3c108BFloat16EDv1_fLi8ELb1ELb1ELb0EEEvPT_PKS4_PfPimiiiif
                                        ; -- End function
	.section	.AMDGPU.csdata,"",@progbits
; Kernel info:
; codeLenInByte = 2856
; NumSgprs: 24
; NumVgprs: 29
; NumAgprs: 0
; TotalNumVgprs: 29
; ScratchSize: 0
; MemoryBound: 0
; FloatMode: 240
; IeeeMode: 1
; LDSByteSize: 0 bytes/workgroup (compile time only)
; SGPRBlocks: 2
; VGPRBlocks: 3
; NumSGPRsForWavesPerEU: 24
; NumVGPRsForWavesPerEU: 29
; AccumOffset: 32
; Occupancy: 8
; WaveLimiterHint : 0
; COMPUTE_PGM_RSRC2:SCRATCH_EN: 0
; COMPUTE_PGM_RSRC2:USER_SGPR: 6
; COMPUTE_PGM_RSRC2:TRAP_HANDLER: 0
; COMPUTE_PGM_RSRC2:TGID_X_EN: 1
; COMPUTE_PGM_RSRC2:TGID_Y_EN: 0
; COMPUTE_PGM_RSRC2:TGID_Z_EN: 0
; COMPUTE_PGM_RSRC2:TIDIG_COMP_CNT: 0
; COMPUTE_PGM_RSRC3_GFX90A:ACCUM_OFFSET: 7
; COMPUTE_PGM_RSRC3_GFX90A:TG_SPLIT: 0
	.section	.text._ZN5aiter19grouped_topk_kernelIfDv1_fLi8ELb1ELb1ELb0EEEvPT_PKS2_PfPimiiiif,"axG",@progbits,_ZN5aiter19grouped_topk_kernelIfDv1_fLi8ELb1ELb1ELb0EEEvPT_PKS2_PfPimiiiif,comdat
	.protected	_ZN5aiter19grouped_topk_kernelIfDv1_fLi8ELb1ELb1ELb0EEEvPT_PKS2_PfPimiiiif ; -- Begin function _ZN5aiter19grouped_topk_kernelIfDv1_fLi8ELb1ELb1ELb0EEEvPT_PKS2_PfPimiiiif
	.globl	_ZN5aiter19grouped_topk_kernelIfDv1_fLi8ELb1ELb1ELb0EEEvPT_PKS2_PfPimiiiif
	.p2align	8
	.type	_ZN5aiter19grouped_topk_kernelIfDv1_fLi8ELb1ELb1ELb0EEEvPT_PKS2_PfPimiiiif,@function
_ZN5aiter19grouped_topk_kernelIfDv1_fLi8ELb1ELb1ELb0EEEvPT_PKS2_PfPimiiiif: ; @_ZN5aiter19grouped_topk_kernelIfDv1_fLi8ELb1ELb1ELb0EEEvPT_PKS2_PfPimiiiif
; %bb.0:
	s_load_dwordx4 s[12:15], s[4:5], 0x28
	s_load_dwordx4 s[16:19], s[4:5], 0x8
	s_load_dwordx2 s[10:11], s[4:5], 0x18
	v_lshl_add_u32 v1, v0, 2, 0
	s_waitcnt lgkmcnt(0)
	v_cmp_gt_i32_e64 s[0:1], s12, v0
	s_and_saveexec_b64 s[2:3], s[0:1]
	s_cbranch_execz .LBB196_3
; %bb.1:
	s_load_dwordx2 s[8:9], s[4:5], 0x0
	s_load_dword s15, s[4:5], 0x4c
	s_mul_i32 s20, s6, s12
	s_ashr_i32 s21, s20, 31
	s_lshl_b64 s[20:21], s[20:21], 2
	s_waitcnt lgkmcnt(0)
	s_add_u32 s7, s8, s20
	s_addc_u32 s21, s9, s21
	s_and_b32 s15, s15, 0xffff
	v_lshl_add_u32 v4, v0, 2, 0
	s_lshl_b32 s20, s15, 2
	s_mov_b64 s[8:9], 0
	v_mov_b32_e32 v5, s21
	v_mov_b32_e32 v6, s17
	s_mov_b32 s21, 0xbfb8aa3b
	s_mov_b32 s22, 0x42ce8ed0
	s_mov_b32 s23, 0xc2b17218
	v_mov_b32_e32 v7, 0x7f800000
	v_mov_b32_e32 v2, v0
.LBB196_2:                              ; =>This Inner Loop Header: Depth=1
	v_ashrrev_i32_e32 v3, 31, v2
	v_lshlrev_b64 v[8:9], 2, v[2:3]
	v_add_co_u32_e32 v10, vcc, s7, v8
	v_addc_co_u32_e32 v11, vcc, v5, v9, vcc
	global_load_dword v3, v[10:11], off
	v_add_co_u32_e32 v8, vcc, s16, v8
	v_addc_co_u32_e32 v9, vcc, v6, v9, vcc
	global_load_dword v8, v[8:9], off
	v_add_u32_e32 v2, s15, v2
	v_cmp_le_i32_e32 vcc, s12, v2
	s_or_b64 s[8:9], vcc, s[8:9]
	s_waitcnt vmcnt(1)
	v_mul_f32_e32 v9, 0xbfb8aa3b, v3
	v_fma_f32 v10, v3, s21, -v9
	v_rndne_f32_e32 v11, v9
	v_fmac_f32_e32 v10, 0xb2a5705f, v3
	v_sub_f32_e32 v9, v9, v11
	v_add_f32_e32 v9, v9, v10
	v_cvt_i32_f32_e32 v11, v11
	v_exp_f32_e32 v9, v9
	v_cmp_nlt_f32_e32 vcc, s22, v3
	v_ldexp_f32 v9, v9, v11
	v_cndmask_b32_e32 v9, 0, v9, vcc
	v_cmp_ngt_f32_e32 vcc, s23, v3
	v_cndmask_b32_e32 v3, v7, v9, vcc
	v_add_f32_e32 v3, 1.0, v3
	v_div_scale_f32 v9, s[24:25], v3, v3, 1.0
	v_rcp_f32_e32 v10, v9
	v_div_scale_f32 v11, vcc, 1.0, v3, 1.0
	v_fma_f32 v12, -v9, v10, 1.0
	v_fmac_f32_e32 v10, v12, v10
	v_mul_f32_e32 v12, v11, v10
	v_fma_f32 v13, -v9, v12, v11
	v_fmac_f32_e32 v12, v13, v10
	v_fma_f32 v9, -v9, v12, v11
	v_div_fmas_f32 v9, v9, v10, v12
	v_div_fixup_f32 v3, v9, v3, 1.0
	s_waitcnt vmcnt(0)
	v_add_f32_e32 v3, v8, v3
	ds_write_b32 v4, v3
	v_add_u32_e32 v4, s20, v4
	s_andn2_b64 exec, exec, s[8:9]
	s_cbranch_execnz .LBB196_2
.LBB196_3:
	s_or_b64 exec, exec, s[2:3]
	s_ashr_i32 s2, s12, 31
	s_lshr_b32 s2, s2, 29
	s_add_i32 s2, s12, s2
	s_ashr_i32 s15, s2, 3
	s_lshl_b32 s2, s12, 2
	s_add_i32 s7, s2, 0
	v_cmp_gt_u32_e32 vcc, 64, v0
	s_waitcnt lgkmcnt(0)
	s_barrier
	s_and_saveexec_b64 s[20:21], vcc
	s_cbranch_execz .LBB196_12
; %bb.4:
	s_load_dword s8, s[4:5], 0x4c
	v_lshrrev_b32_e32 v3, 3, v0
	v_and_b32_e32 v2, 7, v0
	v_mul_lo_u32 v4, s15, v3
	v_lshlrev_b32_e32 v4, 2, v4
	s_waitcnt lgkmcnt(0)
	s_bfe_u32 s28, s8, 0xd0003
	v_lshlrev_b32_e32 v5, 2, v2
	s_mul_i32 s8, s15, s28
	v_cmp_gt_i32_e32 vcc, s15, v2
	v_cmp_eq_u32_e64 s[2:3], 0, v2
	v_add3_u32 v4, v4, v5, 0
	s_lshl_b32 s29, s8, 2
	s_mov_b64 s[22:23], 0
	s_branch .LBB196_6
.LBB196_5:                              ;   in Loop: Header=BB196_6 Depth=1
	s_or_b64 exec, exec, s[24:25]
	v_add_u32_e32 v3, s28, v3
	v_cmp_lt_u32_e64 s[8:9], 7, v3
	s_or_b64 s[22:23], s[8:9], s[22:23]
	v_add_u32_e32 v4, s29, v4
	s_andn2_b64 exec, exec, s[22:23]
	s_cbranch_execz .LBB196_12
.LBB196_6:                              ; =>This Loop Header: Depth=1
                                        ;     Child Loop BB196_8 Depth 2
	v_mov_b32_e32 v5, 0xff800000
	v_mov_b32_e32 v6, 0xff800000
	s_and_saveexec_b64 s[24:25], vcc
	s_cbranch_execz .LBB196_10
; %bb.7:                                ;   in Loop: Header=BB196_6 Depth=1
	s_mov_b64 s[26:27], 0
	v_mov_b32_e32 v5, 0xff800000
	v_mov_b32_e32 v7, v4
	;; [unrolled: 1-line block ×4, first 2 shown]
.LBB196_8:                              ;   Parent Loop BB196_6 Depth=1
                                        ; =>  This Inner Loop Header: Depth=2
	ds_read_b32 v9, v7
	v_add_u32_e32 v8, 8, v8
	v_max_f32_e32 v6, v6, v6
	v_cmp_le_i32_e64 s[8:9], s15, v8
	v_max_f32_e32 v10, v5, v5
	s_waitcnt lgkmcnt(0)
	v_max_f32_e32 v11, v9, v9
	s_or_b64 s[26:27], s[8:9], s[26:27]
	v_max_f32_e32 v6, v11, v6
	v_cmp_gt_f32_e64 s[8:9], v9, v5
	v_add_u32_e32 v7, 32, v7
	v_cndmask_b32_e64 v6, v6, v5, s[8:9]
	v_max_f32_e32 v5, v11, v10
	s_andn2_b64 exec, exec, s[26:27]
	s_cbranch_execnz .LBB196_8
; %bb.9:                                ;   in Loop: Header=BB196_6 Depth=1
	s_or_b64 exec, exec, s[26:27]
.LBB196_10:                             ;   in Loop: Header=BB196_6 Depth=1
	s_or_b64 exec, exec, s[24:25]
	v_mov_b32_dpp v7, v5 quad_perm:[1,0,3,2] row_mask:0xf bank_mask:0xf bound_ctrl:1
	v_mov_b32_dpp v8, v6 quad_perm:[1,0,3,2] row_mask:0xf bank_mask:0xf bound_ctrl:1
	v_max_f32_e32 v9, v7, v7
	v_max_f32_e32 v6, v6, v6
	;; [unrolled: 1-line block ×3, first 2 shown]
	v_cmp_lt_f32_e64 s[8:9], v5, v7
	v_cndmask_b32_e64 v6, v6, v5, s[8:9]
	v_max_f32_e32 v5, v5, v5
	v_max_f32_e32 v5, v9, v5
	v_max_f32_e32 v6, v6, v6
	v_max_f32_e32 v7, v8, v8
	v_max_f32_e32 v6, v6, v7
	s_nop 0
	v_mov_b32_dpp v7, v5 quad_perm:[2,3,0,1] row_mask:0xf bank_mask:0xf bound_ctrl:1
	v_max_f32_e32 v9, v7, v7
	v_mov_b32_dpp v8, v6 quad_perm:[2,3,0,1] row_mask:0xf bank_mask:0xf bound_ctrl:1
	v_max_f32_e32 v6, v9, v6
	v_cmp_lt_f32_e64 s[8:9], v5, v7
	v_cndmask_b32_e64 v6, v6, v5, s[8:9]
	v_max_f32_e32 v7, v8, v8
	v_max_f32_e32 v5, v9, v5
	;; [unrolled: 1-line block ×3, first 2 shown]
	s_nop 0
	v_mov_b32_dpp v7, v5 row_half_mirror row_mask:0xf bank_mask:0xf bound_ctrl:1
	v_mov_b32_dpp v6, v8 row_half_mirror row_mask:0xf bank_mask:0xf bound_ctrl:1
	s_and_saveexec_b64 s[24:25], s[2:3]
	s_cbranch_execz .LBB196_5
; %bb.11:                               ;   in Loop: Header=BB196_6 Depth=1
	v_max_f32_e32 v8, v8, v8
	v_max_f32_e32 v10, v7, v7
	;; [unrolled: 1-line block ×3, first 2 shown]
	v_cmp_lt_f32_e64 s[8:9], v5, v7
	v_cndmask_b32_e64 v7, v8, v5, s[8:9]
	v_max_f32_e32 v7, v7, v7
	v_max_f32_e32 v6, v6, v6
	;; [unrolled: 1-line block ×5, first 2 shown]
	v_lshl_add_u32 v9, v3, 2, s7
	v_add_f32_e32 v5, v5, v6
	ds_write_b32 v9, v5
	s_branch .LBB196_5
.LBB196_12:
	s_or_b64 exec, exec, s[20:21]
	s_cmp_lt_i32 s14, 1
	s_waitcnt lgkmcnt(0)
	s_barrier
	s_cbranch_scc1 .LBB196_15
; %bb.13:
	v_mov_b32_e32 v2, s7
	s_mov_b32 s2, 0xff800000
	v_mov_b32_e32 v3, 0xff800000
.LBB196_14:                             ; =>This Inner Loop Header: Depth=1
	ds_read2_b32 v[4:5], v2 offset1:1
	ds_read2_b32 v[6:7], v2 offset0:2 offset1:3
	ds_read2_b32 v[8:9], v2 offset0:4 offset1:5
	;; [unrolled: 1-line block ×3, first 2 shown]
	s_waitcnt lgkmcnt(3)
	v_cmp_nlg_f32_e32 vcc, s2, v4
	v_cndmask_b32_e64 v12, 0, 1, vcc
	v_cmp_lg_f32_e32 vcc, s2, v4
	v_cndmask_b32_e32 v4, v3, v4, vcc
	v_readfirstlane_b32 s3, v12
	v_cmp_gt_f32_e32 vcc, v5, v4
	s_lshl_b32 s3, s3, 3
	v_cndmask_b32_e32 v4, v4, v5, vcc
	s_and_b64 s[8:9], vcc, exec
	s_waitcnt lgkmcnt(2)
	v_cmp_gt_f32_e32 vcc, v6, v4
	v_cndmask_b32_e32 v4, v4, v6, vcc
	s_cselect_b32 s3, 1, s3
	s_and_b64 s[8:9], vcc, exec
	v_cmp_gt_f32_e32 vcc, v7, v4
	v_cndmask_b32_e32 v4, v4, v7, vcc
	s_cselect_b32 s3, 2, s3
	s_and_b64 s[8:9], vcc, exec
	s_waitcnt lgkmcnt(1)
	v_cmp_gt_f32_e32 vcc, v8, v4
	v_cndmask_b32_e32 v4, v4, v8, vcc
	s_cselect_b32 s3, 3, s3
	s_and_b64 s[8:9], vcc, exec
	v_cmp_gt_f32_e32 vcc, v9, v4
	v_cndmask_b32_e32 v4, v4, v9, vcc
	s_cselect_b32 s3, 4, s3
	s_and_b64 s[8:9], vcc, exec
	s_waitcnt lgkmcnt(0)
	v_cmp_gt_f32_e32 vcc, v10, v4
	v_cndmask_b32_e32 v4, v4, v10, vcc
	s_cselect_b32 s3, 5, s3
	s_and_b64 s[8:9], vcc, exec
	v_cmp_ngt_f32_e32 vcc, v11, v4
	s_cselect_b32 s3, 6, s3
	s_and_b64 s[8:9], vcc, exec
	s_cselect_b32 s3, s3, 7
	s_lshl_b32 s3, s3, 2
	s_add_i32 s3, s7, s3
	s_add_i32 s14, s14, -1
	v_mov_b32_e32 v4, s3
	s_cmp_lg_u32 s14, 0
	ds_write_b32 v4, v3
	s_cbranch_scc1 .LBB196_14
.LBB196_15:
	s_and_saveexec_b64 s[2:3], s[0:1]
	s_cbranch_execz .LBB196_20
; %bb.16:
	s_abs_i32 s20, s15
	v_cvt_f32_u32_e32 v3, s20
	s_load_dword s14, s[4:5], 0x4c
	s_ashr_i32 s21, s15, 31
	s_sub_i32 s15, 0, s20
	v_rcp_iflag_f32_e32 v4, v3
	v_lshl_add_u32 v2, v0, 2, 0
	s_waitcnt lgkmcnt(0)
	s_and_b32 s23, s14, 0xffff
	s_mov_b64 s[8:9], 0
	v_mul_f32_e32 v4, 0x4f7ffffe, v4
	v_cvt_u32_f32_e32 v4, v4
	s_mov_b32 s22, 0xff800000
	v_mov_b32_e32 v3, 0xff800000
	s_lshl_b32 s24, s23, 2
	v_mul_lo_u32 v5, s15, v4
	v_mul_hi_u32 v5, v4, v5
	v_add_u32_e32 v4, v4, v5
	v_mov_b32_e32 v5, v0
	s_branch .LBB196_18
.LBB196_17:                             ;   in Loop: Header=BB196_18 Depth=1
	s_or_b64 exec, exec, s[14:15]
	v_add_u32_e32 v5, s23, v5
	v_cmp_le_i32_e32 vcc, s12, v5
	s_or_b64 s[8:9], vcc, s[8:9]
	v_add_u32_e32 v2, s24, v2
	s_andn2_b64 exec, exec, s[8:9]
	s_cbranch_execz .LBB196_20
.LBB196_18:                             ; =>This Inner Loop Header: Depth=1
	v_sub_u32_e32 v7, 0, v5
	v_max_i32_e32 v7, v5, v7
	v_mul_hi_u32 v8, v7, v4
	v_mul_lo_u32 v9, v8, s20
	v_sub_u32_e32 v7, v7, v9
	v_add_u32_e32 v9, 1, v8
	v_cmp_le_u32_e32 vcc, s20, v7
	v_cndmask_b32_e32 v8, v8, v9, vcc
	v_subrev_u32_e32 v9, s20, v7
	v_cndmask_b32_e32 v7, v7, v9, vcc
	v_ashrrev_i32_e32 v6, 31, v5
	v_add_u32_e32 v9, 1, v8
	v_cmp_le_u32_e32 vcc, s20, v7
	v_xor_b32_e32 v6, s21, v6
	v_cndmask_b32_e32 v7, v8, v9, vcc
	v_xor_b32_e32 v7, v7, v6
	v_sub_u32_e32 v6, v7, v6
	v_lshl_add_u32 v6, v6, 2, s7
	ds_read_b32 v6, v6
	s_waitcnt lgkmcnt(0)
	v_cmp_neq_f32_e32 vcc, s22, v6
	s_and_saveexec_b64 s[14:15], vcc
	s_cbranch_execz .LBB196_17
; %bb.19:                               ;   in Loop: Header=BB196_18 Depth=1
	ds_write_b32 v2, v3
	s_branch .LBB196_17
.LBB196_20:
	s_or_b64 exec, exec, s[2:3]
	s_cmp_lt_i32 s13, 1
	s_waitcnt lgkmcnt(0)
	s_barrier
	s_cbranch_scc1 .LBB196_27
; %bb.21:
	s_add_u32 s2, s4, 64
	s_addc_u32 s3, s5, 0
	s_mov_b32 s7, 0
	v_mov_b32_e32 v3, 0
	v_mov_b32_e32 v5, 0xff800000
                                        ; implicit-def: $vgpr4
                                        ; implicit-def: $vgpr2
	s_branch .LBB196_23
.LBB196_22:                             ;   in Loop: Header=BB196_23 Depth=1
	s_or_b64 exec, exec, s[8:9]
	v_mov_b32_dpp v9, v7 quad_perm:[1,0,3,2] row_mask:0xf bank_mask:0xf
	v_cmp_lt_f32_e32 vcc, v7, v9
	v_cndmask_b32_e32 v7, v7, v9, vcc
	v_mov_b32_dpp v8, v6 quad_perm:[1,0,3,2] row_mask:0xf bank_mask:0xf
	v_cndmask_b32_e32 v6, v6, v8, vcc
	v_mov_b32_dpp v9, v7 quad_perm:[2,3,0,1] row_mask:0xf bank_mask:0xf
	v_cmp_gt_f32_e32 vcc, v9, v7
	v_cndmask_b32_e32 v7, v7, v9, vcc
	v_mov_b32_dpp v8, v6 quad_perm:[2,3,0,1] row_mask:0xf bank_mask:0xf
	v_cndmask_b32_e32 v6, v6, v8, vcc
	v_mov_b32_dpp v9, v7 row_half_mirror row_mask:0xf bank_mask:0xf
	v_cmp_gt_f32_e32 vcc, v9, v7
	v_cndmask_b32_e32 v7, v7, v9, vcc
	v_mov_b32_dpp v8, v6 row_half_mirror row_mask:0xf bank_mask:0xf
	v_cndmask_b32_e32 v6, v6, v8, vcc
	v_mov_b32_dpp v9, v7 row_mirror row_mask:0xf bank_mask:0xf
	v_cmp_gt_f32_e32 vcc, v9, v7
	v_cndmask_b32_e32 v7, v7, v9, vcc
	v_mov_b32_dpp v8, v6 row_mirror row_mask:0xf bank_mask:0xf
	v_cndmask_b32_e32 v6, v6, v8, vcc
	v_mov_b32_dpp v9, v7 row_bcast:15 row_mask:0xf bank_mask:0xf
	v_cmp_gt_f32_e32 vcc, v9, v7
	v_mov_b32_dpp v8, v6 row_bcast:15 row_mask:0xf bank_mask:0xf
	v_cndmask_b32_e32 v7, v7, v9, vcc
	v_cndmask_b32_e32 v6, v6, v8, vcc
	s_nop 0
	v_mov_b32_dpp v9, v7 row_bcast:31 row_mask:0xf bank_mask:0xf
	v_mov_b32_dpp v8, v6 row_bcast:31 row_mask:0xf bank_mask:0xf
	v_cmp_gt_f32_e32 vcc, v9, v7
	v_cndmask_b32_e32 v6, v6, v8, vcc
	v_readlane_b32 s8, v6, 63
	s_ashr_i32 s9, s8, 31
	s_lshl_b64 s[14:15], s[8:9], 2
	s_add_u32 s14, s16, s14
	s_addc_u32 s15, s17, s15
	s_load_dword s9, s[14:15], 0x0
	v_cndmask_b32_e32 v6, v7, v9, vcc
	v_readlane_b32 s14, v6, 63
	v_cmp_eq_u32_e32 vcc, s7, v0
	s_add_i32 s7, s7, 1
	s_waitcnt lgkmcnt(0)
	v_mov_b32_e32 v6, s9
	s_lshl_b32 s9, s8, 2
	s_add_i32 s9, s9, 0
	v_mov_b32_e32 v7, s9
	v_sub_f32_e32 v6, s14, v6
	ds_write_b32 v7, v5
	v_mov_b32_e32 v7, s8
	v_cndmask_b32_e32 v2, v2, v7, vcc
	v_cndmask_b32_e32 v4, v4, v6, vcc
	s_cmp_eq_u32 s7, s13
	v_add_f32_e32 v3, v3, v6
	s_cbranch_scc1 .LBB196_28
.LBB196_23:                             ; =>This Loop Header: Depth=1
                                        ;     Child Loop BB196_25 Depth 2
	v_mov_b32_e32 v6, s7
	v_mov_b32_e32 v7, 0xff800000
	s_and_saveexec_b64 s[8:9], s[0:1]
	s_cbranch_execz .LBB196_22
; %bb.24:                               ;   in Loop: Header=BB196_23 Depth=1
	s_load_dword s20, s[2:3], 0xc
	s_mov_b64 s[14:15], 0
	v_mov_b32_e32 v6, s7
	v_mov_b32_e32 v7, 0xff800000
	;; [unrolled: 1-line block ×3, first 2 shown]
	s_waitcnt lgkmcnt(0)
	s_and_b32 s20, s20, 0xffff
	s_lshl_b32 s21, s20, 2
	v_mov_b32_e32 v9, v0
.LBB196_25:                             ;   Parent Loop BB196_23 Depth=1
                                        ; =>  This Inner Loop Header: Depth=2
	ds_read_b32 v10, v8
	v_add_u32_e32 v8, s21, v8
	s_waitcnt lgkmcnt(0)
	v_cmp_gt_f32_e32 vcc, v10, v7
	v_cndmask_b32_e32 v6, v6, v9, vcc
	v_add_u32_e32 v9, s20, v9
	v_cndmask_b32_e32 v7, v7, v10, vcc
	v_cmp_le_i32_e32 vcc, s12, v9
	s_or_b64 s[14:15], vcc, s[14:15]
	s_andn2_b64 exec, exec, s[14:15]
	s_cbranch_execnz .LBB196_25
; %bb.26:                               ;   in Loop: Header=BB196_23 Depth=1
	s_or_b64 exec, exec, s[14:15]
	s_branch .LBB196_22
.LBB196_27:
	v_mov_b32_e32 v3, 0
                                        ; implicit-def: $vgpr4
                                        ; implicit-def: $vgpr2
.LBB196_28:
	v_cmp_gt_i32_e32 vcc, s13, v0
	s_and_saveexec_b64 s[0:1], vcc
	s_cbranch_execz .LBB196_31
; %bb.29:
	s_load_dword s7, s[4:5], 0x38
	s_load_dwordx2 s[0:1], s[4:5], 0x20
	s_load_dword s8, s[4:5], 0x4c
	s_waitcnt lgkmcnt(0)
	v_div_scale_f32 v1, s[2:3], v3, v3, s7
	v_rcp_f32_e32 v5, v1
	v_div_scale_f32 v6, vcc, s7, v3, s7
	s_ashr_i32 s2, s6, 31
	v_fma_f32 v7, -v1, v5, 1.0
	v_fmac_f32_e32 v5, v7, v5
	v_mul_f32_e32 v7, v6, v5
	v_fma_f32 v8, -v1, v7, v6
	v_fmac_f32_e32 v7, v8, v5
	v_fma_f32 v1, -v1, v7, v6
	s_mul_i32 s1, s6, s1
	s_mul_hi_u32 s3, s6, s0
	v_div_fmas_f32 v1, v1, v5, v7
	s_add_i32 s1, s3, s1
	s_mul_i32 s2, s2, s0
	v_div_fixup_f32 v1, v1, v3, s7
	s_add_i32 s4, s1, s2
	v_mul_f32_e32 v1, v1, v4
	s_mul_i32 s2, s6, s0
	s_and_b32 s3, s8, 0xffff
	s_mov_b64 s[0:1], 0
	v_mov_b32_e32 v3, s4
	v_mov_b32_e32 v4, s19
	v_mov_b32_e32 v5, s11
.LBB196_30:                             ; =>This Inner Loop Header: Depth=1
	v_ashrrev_i32_e32 v7, 31, v0
	v_add_co_u32_e32 v6, vcc, s2, v0
	v_addc_co_u32_e32 v7, vcc, v3, v7, vcc
	v_add_u32_e32 v0, s3, v0
	v_cmp_le_i32_e32 vcc, s13, v0
	v_lshlrev_b64 v[6:7], 2, v[6:7]
	s_or_b64 s[0:1], vcc, s[0:1]
	v_add_co_u32_e32 v8, vcc, s18, v6
	v_addc_co_u32_e32 v9, vcc, v4, v7, vcc
	v_add_co_u32_e32 v6, vcc, s10, v6
	v_addc_co_u32_e32 v7, vcc, v5, v7, vcc
	global_store_dword v[8:9], v1, off
	global_store_dword v[6:7], v2, off
	s_andn2_b64 exec, exec, s[0:1]
	s_cbranch_execnz .LBB196_30
.LBB196_31:
	s_endpgm
	.section	.rodata,"a",@progbits
	.p2align	6, 0x0
	.amdhsa_kernel _ZN5aiter19grouped_topk_kernelIfDv1_fLi8ELb1ELb1ELb0EEEvPT_PKS2_PfPimiiiif
		.amdhsa_group_segment_fixed_size 0
		.amdhsa_private_segment_fixed_size 0
		.amdhsa_kernarg_size 320
		.amdhsa_user_sgpr_count 6
		.amdhsa_user_sgpr_private_segment_buffer 1
		.amdhsa_user_sgpr_dispatch_ptr 0
		.amdhsa_user_sgpr_queue_ptr 0
		.amdhsa_user_sgpr_kernarg_segment_ptr 1
		.amdhsa_user_sgpr_dispatch_id 0
		.amdhsa_user_sgpr_flat_scratch_init 0
		.amdhsa_user_sgpr_kernarg_preload_length 0
		.amdhsa_user_sgpr_kernarg_preload_offset 0
		.amdhsa_user_sgpr_private_segment_size 0
		.amdhsa_uses_dynamic_stack 0
		.amdhsa_system_sgpr_private_segment_wavefront_offset 0
		.amdhsa_system_sgpr_workgroup_id_x 1
		.amdhsa_system_sgpr_workgroup_id_y 0
		.amdhsa_system_sgpr_workgroup_id_z 0
		.amdhsa_system_sgpr_workgroup_info 0
		.amdhsa_system_vgpr_workitem_id 0
		.amdhsa_next_free_vgpr 14
		.amdhsa_next_free_sgpr 30
		.amdhsa_accum_offset 16
		.amdhsa_reserve_vcc 1
		.amdhsa_reserve_flat_scratch 0
		.amdhsa_float_round_mode_32 0
		.amdhsa_float_round_mode_16_64 0
		.amdhsa_float_denorm_mode_32 3
		.amdhsa_float_denorm_mode_16_64 3
		.amdhsa_dx10_clamp 1
		.amdhsa_ieee_mode 1
		.amdhsa_fp16_overflow 0
		.amdhsa_tg_split 0
		.amdhsa_exception_fp_ieee_invalid_op 0
		.amdhsa_exception_fp_denorm_src 0
		.amdhsa_exception_fp_ieee_div_zero 0
		.amdhsa_exception_fp_ieee_overflow 0
		.amdhsa_exception_fp_ieee_underflow 0
		.amdhsa_exception_fp_ieee_inexact 0
		.amdhsa_exception_int_div_zero 0
	.end_amdhsa_kernel
	.section	.text._ZN5aiter19grouped_topk_kernelIfDv1_fLi8ELb1ELb1ELb0EEEvPT_PKS2_PfPimiiiif,"axG",@progbits,_ZN5aiter19grouped_topk_kernelIfDv1_fLi8ELb1ELb1ELb0EEEvPT_PKS2_PfPimiiiif,comdat
.Lfunc_end196:
	.size	_ZN5aiter19grouped_topk_kernelIfDv1_fLi8ELb1ELb1ELb0EEEvPT_PKS2_PfPimiiiif, .Lfunc_end196-_ZN5aiter19grouped_topk_kernelIfDv1_fLi8ELb1ELb1ELb0EEEvPT_PKS2_PfPimiiiif
                                        ; -- End function
	.section	.AMDGPU.csdata,"",@progbits
; Kernel info:
; codeLenInByte = 2132
; NumSgprs: 34
; NumVgprs: 14
; NumAgprs: 0
; TotalNumVgprs: 14
; ScratchSize: 0
; MemoryBound: 0
; FloatMode: 240
; IeeeMode: 1
; LDSByteSize: 0 bytes/workgroup (compile time only)
; SGPRBlocks: 4
; VGPRBlocks: 1
; NumSGPRsForWavesPerEU: 34
; NumVGPRsForWavesPerEU: 14
; AccumOffset: 16
; Occupancy: 8
; WaveLimiterHint : 0
; COMPUTE_PGM_RSRC2:SCRATCH_EN: 0
; COMPUTE_PGM_RSRC2:USER_SGPR: 6
; COMPUTE_PGM_RSRC2:TRAP_HANDLER: 0
; COMPUTE_PGM_RSRC2:TGID_X_EN: 1
; COMPUTE_PGM_RSRC2:TGID_Y_EN: 0
; COMPUTE_PGM_RSRC2:TGID_Z_EN: 0
; COMPUTE_PGM_RSRC2:TIDIG_COMP_CNT: 0
; COMPUTE_PGM_RSRC3_GFX90A:ACCUM_OFFSET: 3
; COMPUTE_PGM_RSRC3_GFX90A:TG_SPLIT: 0
	.section	.text._ZN5aiter19grouped_topk_kernelIN3c104HalfEDv1_fLi8ELb1ELb1ELb0EEEvPT_PKS4_PfPimiiiif,"axG",@progbits,_ZN5aiter19grouped_topk_kernelIN3c104HalfEDv1_fLi8ELb1ELb1ELb0EEEvPT_PKS4_PfPimiiiif,comdat
	.protected	_ZN5aiter19grouped_topk_kernelIN3c104HalfEDv1_fLi8ELb1ELb1ELb0EEEvPT_PKS4_PfPimiiiif ; -- Begin function _ZN5aiter19grouped_topk_kernelIN3c104HalfEDv1_fLi8ELb1ELb1ELb0EEEvPT_PKS4_PfPimiiiif
	.globl	_ZN5aiter19grouped_topk_kernelIN3c104HalfEDv1_fLi8ELb1ELb1ELb0EEEvPT_PKS4_PfPimiiiif
	.p2align	8
	.type	_ZN5aiter19grouped_topk_kernelIN3c104HalfEDv1_fLi8ELb1ELb1ELb0EEEvPT_PKS4_PfPimiiiif,@function
_ZN5aiter19grouped_topk_kernelIN3c104HalfEDv1_fLi8ELb1ELb1ELb0EEEvPT_PKS4_PfPimiiiif: ; @_ZN5aiter19grouped_topk_kernelIN3c104HalfEDv1_fLi8ELb1ELb1ELb0EEEvPT_PKS4_PfPimiiiif
; %bb.0:
	s_load_dwordx4 s[12:15], s[4:5], 0x28
	s_load_dwordx4 s[16:19], s[4:5], 0x8
	s_load_dwordx2 s[10:11], s[4:5], 0x18
	v_lshl_add_u32 v1, v0, 2, 0
	s_waitcnt lgkmcnt(0)
	v_cmp_gt_i32_e64 s[0:1], s12, v0
	s_and_saveexec_b64 s[2:3], s[0:1]
	s_cbranch_execz .LBB197_3
; %bb.1:
	s_load_dwordx2 s[8:9], s[4:5], 0x0
	s_load_dword s15, s[4:5], 0x4c
	s_mul_i32 s20, s6, s12
	s_ashr_i32 s21, s20, 31
	s_lshl_b64 s[20:21], s[20:21], 1
	s_waitcnt lgkmcnt(0)
	s_add_u32 s7, s8, s20
	s_addc_u32 s21, s9, s21
	s_and_b32 s15, s15, 0xffff
	v_lshl_add_u32 v4, v0, 2, 0
	s_lshl_b32 s20, s15, 2
	s_mov_b64 s[8:9], 0
	v_mov_b32_e32 v5, s21
	v_mov_b32_e32 v6, s17
	s_mov_b32 s21, 0x3fb8aa3b
	s_mov_b32 s22, 0x32a5705f
	;; [unrolled: 1-line block ×4, first 2 shown]
	v_mov_b32_e32 v7, 0x7f800000
	v_mov_b32_e32 v2, v0
.LBB197_2:                              ; =>This Inner Loop Header: Depth=1
	v_ashrrev_i32_e32 v3, 31, v2
	v_lshlrev_b64 v[8:9], 1, v[2:3]
	v_add_co_u32_e32 v10, vcc, s7, v8
	v_addc_co_u32_e32 v11, vcc, v5, v9, vcc
	v_add_co_u32_e32 v8, vcc, s16, v8
	v_addc_co_u32_e32 v9, vcc, v6, v9, vcc
	global_load_ushort v3, v[10:11], off
	global_load_ushort v12, v[8:9], off
	v_add_u32_e32 v2, s15, v2
	v_cmp_le_i32_e32 vcc, s12, v2
	s_or_b64 s[8:9], vcc, s[8:9]
	s_waitcnt vmcnt(1)
	v_cvt_f32_f16_e64 v8, -v3
	s_waitcnt vmcnt(0)
	v_cvt_f32_f16_e32 v9, v12
	v_mul_f32_e32 v10, 0x3fb8aa3b, v8
	v_fma_mix_f32 v11, -v3, s21, -v10 op_sel_hi:[1,0,0]
	v_rndne_f32_e32 v12, v10
	v_fma_mix_f32 v3, -v3, s22, v11 op_sel_hi:[1,0,0]
	v_sub_f32_e32 v10, v10, v12
	v_add_f32_e32 v3, v10, v3
	v_cvt_i32_f32_e32 v11, v12
	v_exp_f32_e32 v3, v3
	v_cmp_ngt_f32_e32 vcc, s23, v8
	v_ldexp_f32 v3, v3, v11
	v_cndmask_b32_e32 v3, 0, v3, vcc
	v_cmp_nlt_f32_e32 vcc, s24, v8
	v_cndmask_b32_e32 v3, v7, v3, vcc
	v_add_f32_e32 v3, 1.0, v3
	v_div_scale_f32 v8, s[26:27], v3, v3, 1.0
	v_rcp_f32_e32 v10, v8
	v_div_scale_f32 v11, vcc, 1.0, v3, 1.0
	v_fma_f32 v12, -v8, v10, 1.0
	v_fmac_f32_e32 v10, v12, v10
	v_mul_f32_e32 v12, v11, v10
	v_fma_f32 v13, -v8, v12, v11
	v_fmac_f32_e32 v12, v13, v10
	v_fma_f32 v8, -v8, v12, v11
	v_div_fmas_f32 v8, v8, v10, v12
	v_div_fixup_f32 v3, v8, v3, 1.0
	v_add_f32_e32 v3, v3, v9
	ds_write_b32 v4, v3
	v_add_u32_e32 v4, s20, v4
	s_andn2_b64 exec, exec, s[8:9]
	s_cbranch_execnz .LBB197_2
.LBB197_3:
	s_or_b64 exec, exec, s[2:3]
	s_ashr_i32 s2, s12, 31
	s_lshr_b32 s2, s2, 29
	s_add_i32 s2, s12, s2
	s_ashr_i32 s15, s2, 3
	s_lshl_b32 s2, s12, 2
	s_add_i32 s7, s2, 0
	v_cmp_gt_u32_e32 vcc, 64, v0
	s_waitcnt lgkmcnt(0)
	s_barrier
	s_and_saveexec_b64 s[20:21], vcc
	s_cbranch_execz .LBB197_12
; %bb.4:
	s_load_dword s8, s[4:5], 0x4c
	v_lshrrev_b32_e32 v3, 3, v0
	v_and_b32_e32 v2, 7, v0
	v_mul_lo_u32 v4, s15, v3
	v_lshlrev_b32_e32 v4, 2, v4
	s_waitcnt lgkmcnt(0)
	s_bfe_u32 s28, s8, 0xd0003
	v_lshlrev_b32_e32 v5, 2, v2
	s_mul_i32 s8, s15, s28
	v_cmp_gt_i32_e32 vcc, s15, v2
	v_cmp_eq_u32_e64 s[2:3], 0, v2
	v_add3_u32 v4, v4, v5, 0
	s_lshl_b32 s29, s8, 2
	s_mov_b64 s[22:23], 0
	s_branch .LBB197_6
.LBB197_5:                              ;   in Loop: Header=BB197_6 Depth=1
	s_or_b64 exec, exec, s[24:25]
	v_add_u32_e32 v3, s28, v3
	v_cmp_lt_u32_e64 s[8:9], 7, v3
	s_or_b64 s[22:23], s[8:9], s[22:23]
	v_add_u32_e32 v4, s29, v4
	s_andn2_b64 exec, exec, s[22:23]
	s_cbranch_execz .LBB197_12
.LBB197_6:                              ; =>This Loop Header: Depth=1
                                        ;     Child Loop BB197_8 Depth 2
	v_mov_b32_e32 v5, 0xff800000
	v_mov_b32_e32 v6, 0xff800000
	s_and_saveexec_b64 s[24:25], vcc
	s_cbranch_execz .LBB197_10
; %bb.7:                                ;   in Loop: Header=BB197_6 Depth=1
	s_mov_b64 s[26:27], 0
	v_mov_b32_e32 v5, 0xff800000
	v_mov_b32_e32 v7, v4
	;; [unrolled: 1-line block ×4, first 2 shown]
.LBB197_8:                              ;   Parent Loop BB197_6 Depth=1
                                        ; =>  This Inner Loop Header: Depth=2
	ds_read_b32 v9, v7
	v_add_u32_e32 v8, 8, v8
	v_max_f32_e32 v6, v6, v6
	v_cmp_le_i32_e64 s[8:9], s15, v8
	v_max_f32_e32 v10, v5, v5
	s_waitcnt lgkmcnt(0)
	v_max_f32_e32 v11, v9, v9
	s_or_b64 s[26:27], s[8:9], s[26:27]
	v_max_f32_e32 v6, v11, v6
	v_cmp_gt_f32_e64 s[8:9], v9, v5
	v_add_u32_e32 v7, 32, v7
	v_cndmask_b32_e64 v6, v6, v5, s[8:9]
	v_max_f32_e32 v5, v11, v10
	s_andn2_b64 exec, exec, s[26:27]
	s_cbranch_execnz .LBB197_8
; %bb.9:                                ;   in Loop: Header=BB197_6 Depth=1
	s_or_b64 exec, exec, s[26:27]
.LBB197_10:                             ;   in Loop: Header=BB197_6 Depth=1
	s_or_b64 exec, exec, s[24:25]
	v_mov_b32_dpp v7, v5 quad_perm:[1,0,3,2] row_mask:0xf bank_mask:0xf bound_ctrl:1
	v_mov_b32_dpp v8, v6 quad_perm:[1,0,3,2] row_mask:0xf bank_mask:0xf bound_ctrl:1
	v_max_f32_e32 v9, v7, v7
	v_max_f32_e32 v6, v6, v6
	;; [unrolled: 1-line block ×3, first 2 shown]
	v_cmp_lt_f32_e64 s[8:9], v5, v7
	v_cndmask_b32_e64 v6, v6, v5, s[8:9]
	v_max_f32_e32 v5, v5, v5
	v_max_f32_e32 v5, v9, v5
	;; [unrolled: 1-line block ×5, first 2 shown]
	s_nop 0
	v_mov_b32_dpp v7, v5 quad_perm:[2,3,0,1] row_mask:0xf bank_mask:0xf bound_ctrl:1
	v_max_f32_e32 v9, v7, v7
	v_mov_b32_dpp v8, v6 quad_perm:[2,3,0,1] row_mask:0xf bank_mask:0xf bound_ctrl:1
	v_max_f32_e32 v6, v9, v6
	v_cmp_lt_f32_e64 s[8:9], v5, v7
	v_cndmask_b32_e64 v6, v6, v5, s[8:9]
	v_max_f32_e32 v7, v8, v8
	v_max_f32_e32 v5, v9, v5
	;; [unrolled: 1-line block ×3, first 2 shown]
	s_nop 0
	v_mov_b32_dpp v7, v5 row_half_mirror row_mask:0xf bank_mask:0xf bound_ctrl:1
	v_mov_b32_dpp v6, v8 row_half_mirror row_mask:0xf bank_mask:0xf bound_ctrl:1
	s_and_saveexec_b64 s[24:25], s[2:3]
	s_cbranch_execz .LBB197_5
; %bb.11:                               ;   in Loop: Header=BB197_6 Depth=1
	v_max_f32_e32 v8, v8, v8
	v_max_f32_e32 v10, v7, v7
	;; [unrolled: 1-line block ×3, first 2 shown]
	v_cmp_lt_f32_e64 s[8:9], v5, v7
	v_cndmask_b32_e64 v7, v8, v5, s[8:9]
	v_max_f32_e32 v7, v7, v7
	v_max_f32_e32 v6, v6, v6
	;; [unrolled: 1-line block ×5, first 2 shown]
	v_lshl_add_u32 v9, v3, 2, s7
	v_add_f32_e32 v5, v5, v6
	ds_write_b32 v9, v5
	s_branch .LBB197_5
.LBB197_12:
	s_or_b64 exec, exec, s[20:21]
	s_cmp_lt_i32 s14, 1
	s_waitcnt lgkmcnt(0)
	s_barrier
	s_cbranch_scc1 .LBB197_15
; %bb.13:
	v_mov_b32_e32 v2, s7
	s_mov_b32 s2, 0xff800000
	v_mov_b32_e32 v3, 0xff800000
.LBB197_14:                             ; =>This Inner Loop Header: Depth=1
	ds_read2_b32 v[4:5], v2 offset1:1
	ds_read2_b32 v[6:7], v2 offset0:2 offset1:3
	ds_read2_b32 v[8:9], v2 offset0:4 offset1:5
	;; [unrolled: 1-line block ×3, first 2 shown]
	s_waitcnt lgkmcnt(3)
	v_cmp_nlg_f32_e32 vcc, s2, v4
	v_cndmask_b32_e64 v12, 0, 1, vcc
	v_cmp_lg_f32_e32 vcc, s2, v4
	v_cndmask_b32_e32 v4, v3, v4, vcc
	v_readfirstlane_b32 s3, v12
	v_cmp_gt_f32_e32 vcc, v5, v4
	s_lshl_b32 s3, s3, 3
	v_cndmask_b32_e32 v4, v4, v5, vcc
	s_and_b64 s[8:9], vcc, exec
	s_waitcnt lgkmcnt(2)
	v_cmp_gt_f32_e32 vcc, v6, v4
	v_cndmask_b32_e32 v4, v4, v6, vcc
	s_cselect_b32 s3, 1, s3
	s_and_b64 s[8:9], vcc, exec
	v_cmp_gt_f32_e32 vcc, v7, v4
	v_cndmask_b32_e32 v4, v4, v7, vcc
	s_cselect_b32 s3, 2, s3
	s_and_b64 s[8:9], vcc, exec
	s_waitcnt lgkmcnt(1)
	v_cmp_gt_f32_e32 vcc, v8, v4
	v_cndmask_b32_e32 v4, v4, v8, vcc
	s_cselect_b32 s3, 3, s3
	s_and_b64 s[8:9], vcc, exec
	v_cmp_gt_f32_e32 vcc, v9, v4
	v_cndmask_b32_e32 v4, v4, v9, vcc
	s_cselect_b32 s3, 4, s3
	s_and_b64 s[8:9], vcc, exec
	s_waitcnt lgkmcnt(0)
	v_cmp_gt_f32_e32 vcc, v10, v4
	v_cndmask_b32_e32 v4, v4, v10, vcc
	s_cselect_b32 s3, 5, s3
	s_and_b64 s[8:9], vcc, exec
	v_cmp_ngt_f32_e32 vcc, v11, v4
	s_cselect_b32 s3, 6, s3
	s_and_b64 s[8:9], vcc, exec
	s_cselect_b32 s3, s3, 7
	s_lshl_b32 s3, s3, 2
	s_add_i32 s3, s7, s3
	s_add_i32 s14, s14, -1
	v_mov_b32_e32 v4, s3
	s_cmp_lg_u32 s14, 0
	ds_write_b32 v4, v3
	s_cbranch_scc1 .LBB197_14
.LBB197_15:
	s_and_saveexec_b64 s[2:3], s[0:1]
	s_cbranch_execz .LBB197_20
; %bb.16:
	s_abs_i32 s20, s15
	v_cvt_f32_u32_e32 v3, s20
	s_load_dword s14, s[4:5], 0x4c
	s_ashr_i32 s21, s15, 31
	s_sub_i32 s15, 0, s20
	v_rcp_iflag_f32_e32 v4, v3
	v_lshl_add_u32 v2, v0, 2, 0
	s_waitcnt lgkmcnt(0)
	s_and_b32 s23, s14, 0xffff
	s_mov_b64 s[8:9], 0
	v_mul_f32_e32 v4, 0x4f7ffffe, v4
	v_cvt_u32_f32_e32 v4, v4
	s_mov_b32 s22, 0xff800000
	v_mov_b32_e32 v3, 0xff800000
	s_lshl_b32 s24, s23, 2
	v_mul_lo_u32 v5, s15, v4
	v_mul_hi_u32 v5, v4, v5
	v_add_u32_e32 v4, v4, v5
	v_mov_b32_e32 v5, v0
	s_branch .LBB197_18
.LBB197_17:                             ;   in Loop: Header=BB197_18 Depth=1
	s_or_b64 exec, exec, s[14:15]
	v_add_u32_e32 v5, s23, v5
	v_cmp_le_i32_e32 vcc, s12, v5
	s_or_b64 s[8:9], vcc, s[8:9]
	v_add_u32_e32 v2, s24, v2
	s_andn2_b64 exec, exec, s[8:9]
	s_cbranch_execz .LBB197_20
.LBB197_18:                             ; =>This Inner Loop Header: Depth=1
	v_sub_u32_e32 v7, 0, v5
	v_max_i32_e32 v7, v5, v7
	v_mul_hi_u32 v8, v7, v4
	v_mul_lo_u32 v9, v8, s20
	v_sub_u32_e32 v7, v7, v9
	v_add_u32_e32 v9, 1, v8
	v_cmp_le_u32_e32 vcc, s20, v7
	v_cndmask_b32_e32 v8, v8, v9, vcc
	v_subrev_u32_e32 v9, s20, v7
	v_cndmask_b32_e32 v7, v7, v9, vcc
	v_ashrrev_i32_e32 v6, 31, v5
	v_add_u32_e32 v9, 1, v8
	v_cmp_le_u32_e32 vcc, s20, v7
	v_xor_b32_e32 v6, s21, v6
	v_cndmask_b32_e32 v7, v8, v9, vcc
	v_xor_b32_e32 v7, v7, v6
	v_sub_u32_e32 v6, v7, v6
	v_lshl_add_u32 v6, v6, 2, s7
	ds_read_b32 v6, v6
	s_waitcnt lgkmcnt(0)
	v_cmp_neq_f32_e32 vcc, s22, v6
	s_and_saveexec_b64 s[14:15], vcc
	s_cbranch_execz .LBB197_17
; %bb.19:                               ;   in Loop: Header=BB197_18 Depth=1
	ds_write_b32 v2, v3
	s_branch .LBB197_17
.LBB197_20:
	s_or_b64 exec, exec, s[2:3]
	s_cmp_lt_i32 s13, 1
	s_waitcnt lgkmcnt(0)
	s_barrier
	s_cbranch_scc1 .LBB197_27
; %bb.21:
	s_add_u32 s2, s4, 64
	s_addc_u32 s3, s5, 0
	s_mov_b32 s7, 0
	v_mov_b32_e32 v5, 0
	v_mov_b32_e32 v6, 0xff800000
	;; [unrolled: 1-line block ×3, first 2 shown]
                                        ; implicit-def: $vgpr3
                                        ; implicit-def: $vgpr2
	s_branch .LBB197_23
.LBB197_22:                             ;   in Loop: Header=BB197_23 Depth=1
	s_or_b64 exec, exec, s[8:9]
	v_mov_b32_dpp v10, v8 quad_perm:[1,0,3,2] row_mask:0xf bank_mask:0xf
	v_cmp_lt_f32_e32 vcc, v8, v10
	v_cndmask_b32_e32 v8, v8, v10, vcc
	v_mov_b32_dpp v9, v7 quad_perm:[1,0,3,2] row_mask:0xf bank_mask:0xf
	v_cndmask_b32_e32 v7, v7, v9, vcc
	v_mov_b32_dpp v10, v8 quad_perm:[2,3,0,1] row_mask:0xf bank_mask:0xf
	v_cmp_gt_f32_e32 vcc, v10, v8
	v_cndmask_b32_e32 v8, v8, v10, vcc
	v_mov_b32_dpp v9, v7 quad_perm:[2,3,0,1] row_mask:0xf bank_mask:0xf
	v_cndmask_b32_e32 v7, v7, v9, vcc
	v_mov_b32_dpp v10, v8 row_half_mirror row_mask:0xf bank_mask:0xf
	v_cmp_gt_f32_e32 vcc, v10, v8
	v_cndmask_b32_e32 v8, v8, v10, vcc
	v_mov_b32_dpp v9, v7 row_half_mirror row_mask:0xf bank_mask:0xf
	v_cndmask_b32_e32 v7, v7, v9, vcc
	v_mov_b32_dpp v10, v8 row_mirror row_mask:0xf bank_mask:0xf
	v_cmp_gt_f32_e32 vcc, v10, v8
	v_cndmask_b32_e32 v8, v8, v10, vcc
	v_mov_b32_dpp v9, v7 row_mirror row_mask:0xf bank_mask:0xf
	v_cndmask_b32_e32 v7, v7, v9, vcc
	v_mov_b32_dpp v10, v8 row_bcast:15 row_mask:0xf bank_mask:0xf
	v_cmp_gt_f32_e32 vcc, v10, v8
	v_mov_b32_dpp v9, v7 row_bcast:15 row_mask:0xf bank_mask:0xf
	v_cndmask_b32_e32 v8, v8, v10, vcc
	v_cndmask_b32_e32 v7, v7, v9, vcc
	s_nop 0
	v_mov_b32_dpp v10, v8 row_bcast:31 row_mask:0xf bank_mask:0xf
	v_mov_b32_dpp v9, v7 row_bcast:31 row_mask:0xf bank_mask:0xf
	v_cmp_gt_f32_e32 vcc, v10, v8
	v_cndmask_b32_e32 v7, v7, v9, vcc
	v_readlane_b32 s8, v7, 63
	s_ashr_i32 s9, s8, 31
	s_lshl_b64 s[14:15], s[8:9], 1
	s_add_u32 s14, s16, s14
	s_addc_u32 s15, s17, s15
	global_load_ushort v7, v5, s[14:15]
	v_cndmask_b32_e32 v8, v8, v10, vcc
	v_readlane_b32 s9, v8, 63
	v_mov_b32_e32 v8, s8
	s_lshl_b32 s8, s8, 2
	v_cmp_eq_u32_e32 vcc, s7, v0
	s_add_i32 s7, s7, 1
	s_add_i32 s8, s8, 0
	v_cndmask_b32_e32 v2, v2, v8, vcc
	v_mov_b32_e32 v8, s8
	s_cmp_eq_u32 s7, s13
	ds_write_b32 v8, v6
	s_waitcnt vmcnt(0)
	v_cvt_f32_f16_e32 v7, v7
	v_sub_f32_e32 v7, s9, v7
	v_cndmask_b32_e32 v3, v3, v7, vcc
	v_add_f32_e32 v4, v4, v7
	s_cbranch_scc1 .LBB197_28
.LBB197_23:                             ; =>This Loop Header: Depth=1
                                        ;     Child Loop BB197_25 Depth 2
	v_mov_b32_e32 v7, s7
	v_mov_b32_e32 v8, 0xff800000
	s_and_saveexec_b64 s[8:9], s[0:1]
	s_cbranch_execz .LBB197_22
; %bb.24:                               ;   in Loop: Header=BB197_23 Depth=1
	s_load_dword s20, s[2:3], 0xc
	s_mov_b64 s[14:15], 0
	v_mov_b32_e32 v7, s7
	v_mov_b32_e32 v8, 0xff800000
	;; [unrolled: 1-line block ×3, first 2 shown]
	s_waitcnt lgkmcnt(0)
	s_and_b32 s20, s20, 0xffff
	s_lshl_b32 s21, s20, 2
	v_mov_b32_e32 v10, v0
.LBB197_25:                             ;   Parent Loop BB197_23 Depth=1
                                        ; =>  This Inner Loop Header: Depth=2
	ds_read_b32 v11, v9
	v_add_u32_e32 v9, s21, v9
	s_waitcnt lgkmcnt(0)
	v_cmp_gt_f32_e32 vcc, v11, v8
	v_cndmask_b32_e32 v7, v7, v10, vcc
	v_add_u32_e32 v10, s20, v10
	v_cndmask_b32_e32 v8, v8, v11, vcc
	v_cmp_le_i32_e32 vcc, s12, v10
	s_or_b64 s[14:15], vcc, s[14:15]
	s_andn2_b64 exec, exec, s[14:15]
	s_cbranch_execnz .LBB197_25
; %bb.26:                               ;   in Loop: Header=BB197_23 Depth=1
	s_or_b64 exec, exec, s[14:15]
	s_branch .LBB197_22
.LBB197_27:
	v_mov_b32_e32 v4, 0
                                        ; implicit-def: $vgpr3
                                        ; implicit-def: $vgpr2
.LBB197_28:
	v_cmp_gt_i32_e32 vcc, s13, v0
	s_and_saveexec_b64 s[0:1], vcc
	s_cbranch_execz .LBB197_31
; %bb.29:
	s_load_dword s7, s[4:5], 0x38
	s_load_dwordx2 s[0:1], s[4:5], 0x20
	s_load_dword s8, s[4:5], 0x4c
	s_waitcnt lgkmcnt(0)
	v_div_scale_f32 v1, s[2:3], v4, v4, s7
	v_rcp_f32_e32 v5, v1
	v_div_scale_f32 v6, vcc, s7, v4, s7
	s_ashr_i32 s2, s6, 31
	v_fma_f32 v7, -v1, v5, 1.0
	v_fmac_f32_e32 v5, v7, v5
	v_mul_f32_e32 v7, v6, v5
	v_fma_f32 v8, -v1, v7, v6
	v_fmac_f32_e32 v7, v8, v5
	v_fma_f32 v1, -v1, v7, v6
	s_mul_i32 s1, s6, s1
	s_mul_hi_u32 s3, s6, s0
	v_div_fmas_f32 v1, v1, v5, v7
	s_add_i32 s1, s3, s1
	s_mul_i32 s2, s2, s0
	v_div_fixup_f32 v1, v1, v4, s7
	s_add_i32 s4, s1, s2
	v_mul_f32_e32 v1, v1, v3
	s_mul_i32 s2, s6, s0
	s_and_b32 s3, s8, 0xffff
	s_mov_b64 s[0:1], 0
	v_mov_b32_e32 v3, s4
	v_mov_b32_e32 v4, s19
	;; [unrolled: 1-line block ×3, first 2 shown]
.LBB197_30:                             ; =>This Inner Loop Header: Depth=1
	v_ashrrev_i32_e32 v7, 31, v0
	v_add_co_u32_e32 v6, vcc, s2, v0
	v_addc_co_u32_e32 v7, vcc, v3, v7, vcc
	v_add_u32_e32 v0, s3, v0
	v_cmp_le_i32_e32 vcc, s13, v0
	v_lshlrev_b64 v[6:7], 2, v[6:7]
	s_or_b64 s[0:1], vcc, s[0:1]
	v_add_co_u32_e32 v8, vcc, s18, v6
	v_addc_co_u32_e32 v9, vcc, v4, v7, vcc
	v_add_co_u32_e32 v6, vcc, s10, v6
	v_addc_co_u32_e32 v7, vcc, v5, v7, vcc
	global_store_dword v[8:9], v1, off
	global_store_dword v[6:7], v2, off
	s_andn2_b64 exec, exec, s[0:1]
	s_cbranch_execnz .LBB197_30
.LBB197_31:
	s_endpgm
	.section	.rodata,"a",@progbits
	.p2align	6, 0x0
	.amdhsa_kernel _ZN5aiter19grouped_topk_kernelIN3c104HalfEDv1_fLi8ELb1ELb1ELb0EEEvPT_PKS4_PfPimiiiif
		.amdhsa_group_segment_fixed_size 0
		.amdhsa_private_segment_fixed_size 0
		.amdhsa_kernarg_size 320
		.amdhsa_user_sgpr_count 6
		.amdhsa_user_sgpr_private_segment_buffer 1
		.amdhsa_user_sgpr_dispatch_ptr 0
		.amdhsa_user_sgpr_queue_ptr 0
		.amdhsa_user_sgpr_kernarg_segment_ptr 1
		.amdhsa_user_sgpr_dispatch_id 0
		.amdhsa_user_sgpr_flat_scratch_init 0
		.amdhsa_user_sgpr_kernarg_preload_length 0
		.amdhsa_user_sgpr_kernarg_preload_offset 0
		.amdhsa_user_sgpr_private_segment_size 0
		.amdhsa_uses_dynamic_stack 0
		.amdhsa_system_sgpr_private_segment_wavefront_offset 0
		.amdhsa_system_sgpr_workgroup_id_x 1
		.amdhsa_system_sgpr_workgroup_id_y 0
		.amdhsa_system_sgpr_workgroup_id_z 0
		.amdhsa_system_sgpr_workgroup_info 0
		.amdhsa_system_vgpr_workitem_id 0
		.amdhsa_next_free_vgpr 14
		.amdhsa_next_free_sgpr 30
		.amdhsa_accum_offset 16
		.amdhsa_reserve_vcc 1
		.amdhsa_reserve_flat_scratch 0
		.amdhsa_float_round_mode_32 0
		.amdhsa_float_round_mode_16_64 0
		.amdhsa_float_denorm_mode_32 3
		.amdhsa_float_denorm_mode_16_64 3
		.amdhsa_dx10_clamp 1
		.amdhsa_ieee_mode 1
		.amdhsa_fp16_overflow 0
		.amdhsa_tg_split 0
		.amdhsa_exception_fp_ieee_invalid_op 0
		.amdhsa_exception_fp_denorm_src 0
		.amdhsa_exception_fp_ieee_div_zero 0
		.amdhsa_exception_fp_ieee_overflow 0
		.amdhsa_exception_fp_ieee_underflow 0
		.amdhsa_exception_fp_ieee_inexact 0
		.amdhsa_exception_int_div_zero 0
	.end_amdhsa_kernel
	.section	.text._ZN5aiter19grouped_topk_kernelIN3c104HalfEDv1_fLi8ELb1ELb1ELb0EEEvPT_PKS4_PfPimiiiif,"axG",@progbits,_ZN5aiter19grouped_topk_kernelIN3c104HalfEDv1_fLi8ELb1ELb1ELb0EEEvPT_PKS4_PfPimiiiif,comdat
.Lfunc_end197:
	.size	_ZN5aiter19grouped_topk_kernelIN3c104HalfEDv1_fLi8ELb1ELb1ELb0EEEvPT_PKS4_PfPimiiiif, .Lfunc_end197-_ZN5aiter19grouped_topk_kernelIN3c104HalfEDv1_fLi8ELb1ELb1ELb0EEEvPT_PKS4_PfPimiiiif
                                        ; -- End function
	.section	.AMDGPU.csdata,"",@progbits
; Kernel info:
; codeLenInByte = 2156
; NumSgprs: 34
; NumVgprs: 14
; NumAgprs: 0
; TotalNumVgprs: 14
; ScratchSize: 0
; MemoryBound: 0
; FloatMode: 240
; IeeeMode: 1
; LDSByteSize: 0 bytes/workgroup (compile time only)
; SGPRBlocks: 4
; VGPRBlocks: 1
; NumSGPRsForWavesPerEU: 34
; NumVGPRsForWavesPerEU: 14
; AccumOffset: 16
; Occupancy: 8
; WaveLimiterHint : 0
; COMPUTE_PGM_RSRC2:SCRATCH_EN: 0
; COMPUTE_PGM_RSRC2:USER_SGPR: 6
; COMPUTE_PGM_RSRC2:TRAP_HANDLER: 0
; COMPUTE_PGM_RSRC2:TGID_X_EN: 1
; COMPUTE_PGM_RSRC2:TGID_Y_EN: 0
; COMPUTE_PGM_RSRC2:TGID_Z_EN: 0
; COMPUTE_PGM_RSRC2:TIDIG_COMP_CNT: 0
; COMPUTE_PGM_RSRC3_GFX90A:ACCUM_OFFSET: 3
; COMPUTE_PGM_RSRC3_GFX90A:TG_SPLIT: 0
	.section	.text._ZN5aiter19grouped_topk_kernelIN3c108BFloat16EDv1_fLi8ELb1ELb1ELb0EEEvPT_PKS4_PfPimiiiif,"axG",@progbits,_ZN5aiter19grouped_topk_kernelIN3c108BFloat16EDv1_fLi8ELb1ELb1ELb0EEEvPT_PKS4_PfPimiiiif,comdat
	.protected	_ZN5aiter19grouped_topk_kernelIN3c108BFloat16EDv1_fLi8ELb1ELb1ELb0EEEvPT_PKS4_PfPimiiiif ; -- Begin function _ZN5aiter19grouped_topk_kernelIN3c108BFloat16EDv1_fLi8ELb1ELb1ELb0EEEvPT_PKS4_PfPimiiiif
	.globl	_ZN5aiter19grouped_topk_kernelIN3c108BFloat16EDv1_fLi8ELb1ELb1ELb0EEEvPT_PKS4_PfPimiiiif
	.p2align	8
	.type	_ZN5aiter19grouped_topk_kernelIN3c108BFloat16EDv1_fLi8ELb1ELb1ELb0EEEvPT_PKS4_PfPimiiiif,@function
_ZN5aiter19grouped_topk_kernelIN3c108BFloat16EDv1_fLi8ELb1ELb1ELb0EEEvPT_PKS4_PfPimiiiif: ; @_ZN5aiter19grouped_topk_kernelIN3c108BFloat16EDv1_fLi8ELb1ELb1ELb0EEEvPT_PKS4_PfPimiiiif
; %bb.0:
	s_load_dwordx4 s[12:15], s[4:5], 0x28
	s_load_dwordx4 s[16:19], s[4:5], 0x8
	s_load_dwordx2 s[10:11], s[4:5], 0x18
	v_lshl_add_u32 v1, v0, 2, 0
	s_waitcnt lgkmcnt(0)
	v_cmp_gt_i32_e64 s[0:1], s12, v0
	s_and_saveexec_b64 s[2:3], s[0:1]
	s_cbranch_execz .LBB198_3
; %bb.1:
	s_load_dwordx2 s[8:9], s[4:5], 0x0
	s_load_dword s15, s[4:5], 0x4c
	s_mul_i32 s20, s6, s12
	s_ashr_i32 s21, s20, 31
	s_lshl_b64 s[20:21], s[20:21], 1
	s_waitcnt lgkmcnt(0)
	s_add_u32 s7, s8, s20
	s_addc_u32 s21, s9, s21
	s_and_b32 s15, s15, 0xffff
	v_lshl_add_u32 v4, v0, 2, 0
	s_lshl_b32 s20, s15, 2
	s_mov_b64 s[8:9], 0
	v_mov_b32_e32 v5, s21
	v_mov_b32_e32 v6, s17
	s_mov_b32 s21, 0xbfb8aa3b
	s_mov_b32 s22, 0x42ce8ed0
	;; [unrolled: 1-line block ×3, first 2 shown]
	v_mov_b32_e32 v7, 0x7f800000
	v_mov_b32_e32 v2, v0
.LBB198_2:                              ; =>This Inner Loop Header: Depth=1
	v_ashrrev_i32_e32 v3, 31, v2
	v_lshlrev_b64 v[8:9], 1, v[2:3]
	v_add_co_u32_e32 v10, vcc, s7, v8
	v_addc_co_u32_e32 v11, vcc, v5, v9, vcc
	v_add_co_u32_e32 v8, vcc, s16, v8
	v_addc_co_u32_e32 v9, vcc, v6, v9, vcc
	global_load_ushort v3, v[10:11], off
	global_load_ushort v12, v[8:9], off
	v_add_u32_e32 v2, s15, v2
	v_cmp_le_i32_e32 vcc, s12, v2
	s_or_b64 s[8:9], vcc, s[8:9]
	s_waitcnt vmcnt(1)
	v_cvt_f32_u32_e32 v3, v3
	s_waitcnt vmcnt(0)
	v_cvt_f32_u32_e32 v8, v12
	v_mul_f32_e32 v9, 0xbfb8aa3b, v3
	v_fma_f32 v10, v3, s21, -v9
	v_rndne_f32_e32 v11, v9
	v_fmac_f32_e32 v10, 0xb2a5705f, v3
	v_sub_f32_e32 v9, v9, v11
	v_add_f32_e32 v9, v9, v10
	v_cvt_i32_f32_e32 v11, v11
	v_exp_f32_e32 v9, v9
	v_cmp_nlt_f32_e32 vcc, s22, v3
	v_ldexp_f32 v9, v9, v11
	v_cndmask_b32_e32 v9, 0, v9, vcc
	v_cmp_ngt_f32_e32 vcc, s23, v3
	v_cndmask_b32_e32 v3, v7, v9, vcc
	v_add_f32_e32 v3, 1.0, v3
	v_div_scale_f32 v9, s[24:25], v3, v3, 1.0
	v_rcp_f32_e32 v10, v9
	v_div_scale_f32 v11, vcc, 1.0, v3, 1.0
	v_fma_f32 v12, -v9, v10, 1.0
	v_fmac_f32_e32 v10, v12, v10
	v_mul_f32_e32 v12, v11, v10
	v_fma_f32 v13, -v9, v12, v11
	v_fmac_f32_e32 v12, v13, v10
	v_fma_f32 v9, -v9, v12, v11
	v_div_fmas_f32 v9, v9, v10, v12
	v_div_fixup_f32 v3, v9, v3, 1.0
	v_add_f32_e32 v3, v3, v8
	ds_write_b32 v4, v3
	v_add_u32_e32 v4, s20, v4
	s_andn2_b64 exec, exec, s[8:9]
	s_cbranch_execnz .LBB198_2
.LBB198_3:
	s_or_b64 exec, exec, s[2:3]
	s_ashr_i32 s2, s12, 31
	s_lshr_b32 s2, s2, 29
	s_add_i32 s2, s12, s2
	s_ashr_i32 s15, s2, 3
	s_lshl_b32 s2, s12, 2
	s_add_i32 s7, s2, 0
	v_cmp_gt_u32_e32 vcc, 64, v0
	s_waitcnt lgkmcnt(0)
	s_barrier
	s_and_saveexec_b64 s[20:21], vcc
	s_cbranch_execz .LBB198_12
; %bb.4:
	s_load_dword s8, s[4:5], 0x4c
	v_lshrrev_b32_e32 v3, 3, v0
	v_and_b32_e32 v2, 7, v0
	v_mul_lo_u32 v4, s15, v3
	v_lshlrev_b32_e32 v4, 2, v4
	s_waitcnt lgkmcnt(0)
	s_bfe_u32 s28, s8, 0xd0003
	v_lshlrev_b32_e32 v5, 2, v2
	s_mul_i32 s8, s15, s28
	v_cmp_gt_i32_e32 vcc, s15, v2
	v_cmp_eq_u32_e64 s[2:3], 0, v2
	v_add3_u32 v4, v4, v5, 0
	s_lshl_b32 s29, s8, 2
	s_mov_b64 s[22:23], 0
	s_branch .LBB198_6
.LBB198_5:                              ;   in Loop: Header=BB198_6 Depth=1
	s_or_b64 exec, exec, s[24:25]
	v_add_u32_e32 v3, s28, v3
	v_cmp_lt_u32_e64 s[8:9], 7, v3
	s_or_b64 s[22:23], s[8:9], s[22:23]
	v_add_u32_e32 v4, s29, v4
	s_andn2_b64 exec, exec, s[22:23]
	s_cbranch_execz .LBB198_12
.LBB198_6:                              ; =>This Loop Header: Depth=1
                                        ;     Child Loop BB198_8 Depth 2
	v_mov_b32_e32 v5, 0xff800000
	v_mov_b32_e32 v6, 0xff800000
	s_and_saveexec_b64 s[24:25], vcc
	s_cbranch_execz .LBB198_10
; %bb.7:                                ;   in Loop: Header=BB198_6 Depth=1
	s_mov_b64 s[26:27], 0
	v_mov_b32_e32 v5, 0xff800000
	v_mov_b32_e32 v7, v4
	;; [unrolled: 1-line block ×4, first 2 shown]
.LBB198_8:                              ;   Parent Loop BB198_6 Depth=1
                                        ; =>  This Inner Loop Header: Depth=2
	ds_read_b32 v9, v7
	v_add_u32_e32 v8, 8, v8
	v_max_f32_e32 v6, v6, v6
	v_cmp_le_i32_e64 s[8:9], s15, v8
	v_max_f32_e32 v10, v5, v5
	s_waitcnt lgkmcnt(0)
	v_max_f32_e32 v11, v9, v9
	s_or_b64 s[26:27], s[8:9], s[26:27]
	v_max_f32_e32 v6, v11, v6
	v_cmp_gt_f32_e64 s[8:9], v9, v5
	v_add_u32_e32 v7, 32, v7
	v_cndmask_b32_e64 v6, v6, v5, s[8:9]
	v_max_f32_e32 v5, v11, v10
	s_andn2_b64 exec, exec, s[26:27]
	s_cbranch_execnz .LBB198_8
; %bb.9:                                ;   in Loop: Header=BB198_6 Depth=1
	s_or_b64 exec, exec, s[26:27]
.LBB198_10:                             ;   in Loop: Header=BB198_6 Depth=1
	s_or_b64 exec, exec, s[24:25]
	v_mov_b32_dpp v7, v5 quad_perm:[1,0,3,2] row_mask:0xf bank_mask:0xf bound_ctrl:1
	v_mov_b32_dpp v8, v6 quad_perm:[1,0,3,2] row_mask:0xf bank_mask:0xf bound_ctrl:1
	v_max_f32_e32 v9, v7, v7
	v_max_f32_e32 v6, v6, v6
	;; [unrolled: 1-line block ×3, first 2 shown]
	v_cmp_lt_f32_e64 s[8:9], v5, v7
	v_cndmask_b32_e64 v6, v6, v5, s[8:9]
	v_max_f32_e32 v5, v5, v5
	v_max_f32_e32 v5, v9, v5
	;; [unrolled: 1-line block ×5, first 2 shown]
	s_nop 0
	v_mov_b32_dpp v7, v5 quad_perm:[2,3,0,1] row_mask:0xf bank_mask:0xf bound_ctrl:1
	v_max_f32_e32 v9, v7, v7
	v_mov_b32_dpp v8, v6 quad_perm:[2,3,0,1] row_mask:0xf bank_mask:0xf bound_ctrl:1
	v_max_f32_e32 v6, v9, v6
	v_cmp_lt_f32_e64 s[8:9], v5, v7
	v_cndmask_b32_e64 v6, v6, v5, s[8:9]
	v_max_f32_e32 v7, v8, v8
	v_max_f32_e32 v5, v9, v5
	v_max_f32_e32 v8, v6, v7
	s_nop 0
	v_mov_b32_dpp v7, v5 row_half_mirror row_mask:0xf bank_mask:0xf bound_ctrl:1
	v_mov_b32_dpp v6, v8 row_half_mirror row_mask:0xf bank_mask:0xf bound_ctrl:1
	s_and_saveexec_b64 s[24:25], s[2:3]
	s_cbranch_execz .LBB198_5
; %bb.11:                               ;   in Loop: Header=BB198_6 Depth=1
	v_max_f32_e32 v8, v8, v8
	v_max_f32_e32 v10, v7, v7
	;; [unrolled: 1-line block ×3, first 2 shown]
	v_cmp_lt_f32_e64 s[8:9], v5, v7
	v_cndmask_b32_e64 v7, v8, v5, s[8:9]
	v_max_f32_e32 v7, v7, v7
	v_max_f32_e32 v6, v6, v6
	;; [unrolled: 1-line block ×5, first 2 shown]
	v_lshl_add_u32 v9, v3, 2, s7
	v_add_f32_e32 v5, v5, v6
	ds_write_b32 v9, v5
	s_branch .LBB198_5
.LBB198_12:
	s_or_b64 exec, exec, s[20:21]
	s_cmp_lt_i32 s14, 1
	s_waitcnt lgkmcnt(0)
	s_barrier
	s_cbranch_scc1 .LBB198_15
; %bb.13:
	v_mov_b32_e32 v2, s7
	s_mov_b32 s2, 0xff800000
	v_mov_b32_e32 v3, 0xff800000
.LBB198_14:                             ; =>This Inner Loop Header: Depth=1
	ds_read2_b32 v[4:5], v2 offset1:1
	ds_read2_b32 v[6:7], v2 offset0:2 offset1:3
	ds_read2_b32 v[8:9], v2 offset0:4 offset1:5
	;; [unrolled: 1-line block ×3, first 2 shown]
	s_waitcnt lgkmcnt(3)
	v_cmp_nlg_f32_e32 vcc, s2, v4
	v_cndmask_b32_e64 v12, 0, 1, vcc
	v_cmp_lg_f32_e32 vcc, s2, v4
	v_cndmask_b32_e32 v4, v3, v4, vcc
	v_readfirstlane_b32 s3, v12
	v_cmp_gt_f32_e32 vcc, v5, v4
	s_lshl_b32 s3, s3, 3
	v_cndmask_b32_e32 v4, v4, v5, vcc
	s_and_b64 s[8:9], vcc, exec
	s_waitcnt lgkmcnt(2)
	v_cmp_gt_f32_e32 vcc, v6, v4
	v_cndmask_b32_e32 v4, v4, v6, vcc
	s_cselect_b32 s3, 1, s3
	s_and_b64 s[8:9], vcc, exec
	v_cmp_gt_f32_e32 vcc, v7, v4
	v_cndmask_b32_e32 v4, v4, v7, vcc
	s_cselect_b32 s3, 2, s3
	s_and_b64 s[8:9], vcc, exec
	s_waitcnt lgkmcnt(1)
	v_cmp_gt_f32_e32 vcc, v8, v4
	v_cndmask_b32_e32 v4, v4, v8, vcc
	s_cselect_b32 s3, 3, s3
	s_and_b64 s[8:9], vcc, exec
	v_cmp_gt_f32_e32 vcc, v9, v4
	v_cndmask_b32_e32 v4, v4, v9, vcc
	s_cselect_b32 s3, 4, s3
	s_and_b64 s[8:9], vcc, exec
	s_waitcnt lgkmcnt(0)
	v_cmp_gt_f32_e32 vcc, v10, v4
	v_cndmask_b32_e32 v4, v4, v10, vcc
	s_cselect_b32 s3, 5, s3
	s_and_b64 s[8:9], vcc, exec
	v_cmp_ngt_f32_e32 vcc, v11, v4
	s_cselect_b32 s3, 6, s3
	s_and_b64 s[8:9], vcc, exec
	s_cselect_b32 s3, s3, 7
	s_lshl_b32 s3, s3, 2
	s_add_i32 s3, s7, s3
	s_add_i32 s14, s14, -1
	v_mov_b32_e32 v4, s3
	s_cmp_lg_u32 s14, 0
	ds_write_b32 v4, v3
	s_cbranch_scc1 .LBB198_14
.LBB198_15:
	s_and_saveexec_b64 s[2:3], s[0:1]
	s_cbranch_execz .LBB198_20
; %bb.16:
	s_abs_i32 s20, s15
	v_cvt_f32_u32_e32 v3, s20
	s_load_dword s14, s[4:5], 0x4c
	s_ashr_i32 s21, s15, 31
	s_sub_i32 s15, 0, s20
	v_rcp_iflag_f32_e32 v4, v3
	v_lshl_add_u32 v2, v0, 2, 0
	s_waitcnt lgkmcnt(0)
	s_and_b32 s23, s14, 0xffff
	s_mov_b64 s[8:9], 0
	v_mul_f32_e32 v4, 0x4f7ffffe, v4
	v_cvt_u32_f32_e32 v4, v4
	s_mov_b32 s22, 0xff800000
	v_mov_b32_e32 v3, 0xff800000
	s_lshl_b32 s24, s23, 2
	v_mul_lo_u32 v5, s15, v4
	v_mul_hi_u32 v5, v4, v5
	v_add_u32_e32 v4, v4, v5
	v_mov_b32_e32 v5, v0
	s_branch .LBB198_18
.LBB198_17:                             ;   in Loop: Header=BB198_18 Depth=1
	s_or_b64 exec, exec, s[14:15]
	v_add_u32_e32 v5, s23, v5
	v_cmp_le_i32_e32 vcc, s12, v5
	s_or_b64 s[8:9], vcc, s[8:9]
	v_add_u32_e32 v2, s24, v2
	s_andn2_b64 exec, exec, s[8:9]
	s_cbranch_execz .LBB198_20
.LBB198_18:                             ; =>This Inner Loop Header: Depth=1
	v_sub_u32_e32 v7, 0, v5
	v_max_i32_e32 v7, v5, v7
	v_mul_hi_u32 v8, v7, v4
	v_mul_lo_u32 v9, v8, s20
	v_sub_u32_e32 v7, v7, v9
	v_add_u32_e32 v9, 1, v8
	v_cmp_le_u32_e32 vcc, s20, v7
	v_cndmask_b32_e32 v8, v8, v9, vcc
	v_subrev_u32_e32 v9, s20, v7
	v_cndmask_b32_e32 v7, v7, v9, vcc
	v_ashrrev_i32_e32 v6, 31, v5
	v_add_u32_e32 v9, 1, v8
	v_cmp_le_u32_e32 vcc, s20, v7
	v_xor_b32_e32 v6, s21, v6
	v_cndmask_b32_e32 v7, v8, v9, vcc
	v_xor_b32_e32 v7, v7, v6
	v_sub_u32_e32 v6, v7, v6
	v_lshl_add_u32 v6, v6, 2, s7
	ds_read_b32 v6, v6
	s_waitcnt lgkmcnt(0)
	v_cmp_neq_f32_e32 vcc, s22, v6
	s_and_saveexec_b64 s[14:15], vcc
	s_cbranch_execz .LBB198_17
; %bb.19:                               ;   in Loop: Header=BB198_18 Depth=1
	ds_write_b32 v2, v3
	s_branch .LBB198_17
.LBB198_20:
	s_or_b64 exec, exec, s[2:3]
	s_cmp_lt_i32 s13, 1
	s_waitcnt lgkmcnt(0)
	s_barrier
	s_cbranch_scc1 .LBB198_27
; %bb.21:
	s_add_u32 s2, s4, 64
	s_addc_u32 s3, s5, 0
	s_mov_b32 s7, 0
	v_mov_b32_e32 v5, 0
	v_mov_b32_e32 v6, 0xff800000
	;; [unrolled: 1-line block ×3, first 2 shown]
                                        ; implicit-def: $vgpr3
                                        ; implicit-def: $vgpr2
	s_branch .LBB198_23
.LBB198_22:                             ;   in Loop: Header=BB198_23 Depth=1
	s_or_b64 exec, exec, s[8:9]
	v_mov_b32_dpp v10, v8 quad_perm:[1,0,3,2] row_mask:0xf bank_mask:0xf
	v_cmp_lt_f32_e32 vcc, v8, v10
	v_cndmask_b32_e32 v8, v8, v10, vcc
	v_mov_b32_dpp v9, v7 quad_perm:[1,0,3,2] row_mask:0xf bank_mask:0xf
	v_cndmask_b32_e32 v7, v7, v9, vcc
	v_mov_b32_dpp v10, v8 quad_perm:[2,3,0,1] row_mask:0xf bank_mask:0xf
	v_cmp_gt_f32_e32 vcc, v10, v8
	v_cndmask_b32_e32 v8, v8, v10, vcc
	v_mov_b32_dpp v9, v7 quad_perm:[2,3,0,1] row_mask:0xf bank_mask:0xf
	v_cndmask_b32_e32 v7, v7, v9, vcc
	v_mov_b32_dpp v10, v8 row_half_mirror row_mask:0xf bank_mask:0xf
	v_cmp_gt_f32_e32 vcc, v10, v8
	v_cndmask_b32_e32 v8, v8, v10, vcc
	v_mov_b32_dpp v9, v7 row_half_mirror row_mask:0xf bank_mask:0xf
	v_cndmask_b32_e32 v7, v7, v9, vcc
	v_mov_b32_dpp v10, v8 row_mirror row_mask:0xf bank_mask:0xf
	v_cmp_gt_f32_e32 vcc, v10, v8
	v_cndmask_b32_e32 v8, v8, v10, vcc
	v_mov_b32_dpp v9, v7 row_mirror row_mask:0xf bank_mask:0xf
	v_cndmask_b32_e32 v7, v7, v9, vcc
	v_mov_b32_dpp v10, v8 row_bcast:15 row_mask:0xf bank_mask:0xf
	v_cmp_gt_f32_e32 vcc, v10, v8
	v_mov_b32_dpp v9, v7 row_bcast:15 row_mask:0xf bank_mask:0xf
	v_cndmask_b32_e32 v8, v8, v10, vcc
	v_cndmask_b32_e32 v7, v7, v9, vcc
	s_nop 0
	v_mov_b32_dpp v10, v8 row_bcast:31 row_mask:0xf bank_mask:0xf
	v_mov_b32_dpp v9, v7 row_bcast:31 row_mask:0xf bank_mask:0xf
	v_cmp_gt_f32_e32 vcc, v10, v8
	v_cndmask_b32_e32 v7, v7, v9, vcc
	v_readlane_b32 s8, v7, 63
	s_ashr_i32 s9, s8, 31
	s_lshl_b64 s[14:15], s[8:9], 1
	s_add_u32 s14, s16, s14
	s_addc_u32 s15, s17, s15
	global_load_ushort v7, v5, s[14:15]
	v_cndmask_b32_e32 v8, v8, v10, vcc
	v_readlane_b32 s9, v8, 63
	v_mov_b32_e32 v8, s8
	s_lshl_b32 s8, s8, 2
	v_cmp_eq_u32_e32 vcc, s7, v0
	s_add_i32 s8, s8, 0
	v_cndmask_b32_e32 v2, v2, v8, vcc
	v_mov_b32_e32 v8, s8
	ds_write_b32 v8, v6
	s_add_i32 s7, s7, 1
	s_cmp_eq_u32 s7, s13
	s_waitcnt vmcnt(0)
	v_and_b32_e32 v8, 0xff, v7
	v_lshlrev_b32_e32 v7, 16, v7
	v_lshlrev_b32_e32 v8, 16, v8
	v_and_b32_e32 v7, 0xff000000, v7
	v_or_b32_e32 v7, v8, v7
	v_sub_f32_e32 v7, s9, v7
	v_cndmask_b32_e32 v3, v3, v7, vcc
	v_add_f32_e32 v4, v4, v7
	s_cbranch_scc1 .LBB198_28
.LBB198_23:                             ; =>This Loop Header: Depth=1
                                        ;     Child Loop BB198_25 Depth 2
	v_mov_b32_e32 v7, s7
	v_mov_b32_e32 v8, 0xff800000
	s_and_saveexec_b64 s[8:9], s[0:1]
	s_cbranch_execz .LBB198_22
; %bb.24:                               ;   in Loop: Header=BB198_23 Depth=1
	s_load_dword s20, s[2:3], 0xc
	s_mov_b64 s[14:15], 0
	v_mov_b32_e32 v7, s7
	v_mov_b32_e32 v8, 0xff800000
	v_mov_b32_e32 v9, v1
	s_waitcnt lgkmcnt(0)
	s_and_b32 s20, s20, 0xffff
	s_lshl_b32 s21, s20, 2
	v_mov_b32_e32 v10, v0
.LBB198_25:                             ;   Parent Loop BB198_23 Depth=1
                                        ; =>  This Inner Loop Header: Depth=2
	ds_read_b32 v11, v9
	v_add_u32_e32 v9, s21, v9
	s_waitcnt lgkmcnt(0)
	v_cmp_gt_f32_e32 vcc, v11, v8
	v_cndmask_b32_e32 v7, v7, v10, vcc
	v_add_u32_e32 v10, s20, v10
	v_cndmask_b32_e32 v8, v8, v11, vcc
	v_cmp_le_i32_e32 vcc, s12, v10
	s_or_b64 s[14:15], vcc, s[14:15]
	s_andn2_b64 exec, exec, s[14:15]
	s_cbranch_execnz .LBB198_25
; %bb.26:                               ;   in Loop: Header=BB198_23 Depth=1
	s_or_b64 exec, exec, s[14:15]
	s_branch .LBB198_22
.LBB198_27:
	v_mov_b32_e32 v4, 0
                                        ; implicit-def: $vgpr3
                                        ; implicit-def: $vgpr2
.LBB198_28:
	v_cmp_gt_i32_e32 vcc, s13, v0
	s_and_saveexec_b64 s[0:1], vcc
	s_cbranch_execz .LBB198_31
; %bb.29:
	s_load_dword s7, s[4:5], 0x38
	s_load_dwordx2 s[0:1], s[4:5], 0x20
	s_load_dword s8, s[4:5], 0x4c
	s_waitcnt lgkmcnt(0)
	v_div_scale_f32 v1, s[2:3], v4, v4, s7
	v_rcp_f32_e32 v5, v1
	v_div_scale_f32 v6, vcc, s7, v4, s7
	s_ashr_i32 s2, s6, 31
	v_fma_f32 v7, -v1, v5, 1.0
	v_fmac_f32_e32 v5, v7, v5
	v_mul_f32_e32 v7, v6, v5
	v_fma_f32 v8, -v1, v7, v6
	v_fmac_f32_e32 v7, v8, v5
	v_fma_f32 v1, -v1, v7, v6
	s_mul_i32 s1, s6, s1
	s_mul_hi_u32 s3, s6, s0
	v_div_fmas_f32 v1, v1, v5, v7
	s_add_i32 s1, s3, s1
	s_mul_i32 s2, s2, s0
	v_div_fixup_f32 v1, v1, v4, s7
	s_add_i32 s4, s1, s2
	v_mul_f32_e32 v1, v1, v3
	s_mul_i32 s2, s6, s0
	s_and_b32 s3, s8, 0xffff
	s_mov_b64 s[0:1], 0
	v_mov_b32_e32 v3, s4
	v_mov_b32_e32 v4, s19
	;; [unrolled: 1-line block ×3, first 2 shown]
.LBB198_30:                             ; =>This Inner Loop Header: Depth=1
	v_ashrrev_i32_e32 v7, 31, v0
	v_add_co_u32_e32 v6, vcc, s2, v0
	v_addc_co_u32_e32 v7, vcc, v3, v7, vcc
	v_add_u32_e32 v0, s3, v0
	v_cmp_le_i32_e32 vcc, s13, v0
	v_lshlrev_b64 v[6:7], 2, v[6:7]
	s_or_b64 s[0:1], vcc, s[0:1]
	v_add_co_u32_e32 v8, vcc, s18, v6
	v_addc_co_u32_e32 v9, vcc, v4, v7, vcc
	v_add_co_u32_e32 v6, vcc, s10, v6
	v_addc_co_u32_e32 v7, vcc, v5, v7, vcc
	global_store_dword v[8:9], v1, off
	global_store_dword v[6:7], v2, off
	s_andn2_b64 exec, exec, s[0:1]
	s_cbranch_execnz .LBB198_30
.LBB198_31:
	s_endpgm
	.section	.rodata,"a",@progbits
	.p2align	6, 0x0
	.amdhsa_kernel _ZN5aiter19grouped_topk_kernelIN3c108BFloat16EDv1_fLi8ELb1ELb1ELb0EEEvPT_PKS4_PfPimiiiif
		.amdhsa_group_segment_fixed_size 0
		.amdhsa_private_segment_fixed_size 0
		.amdhsa_kernarg_size 320
		.amdhsa_user_sgpr_count 6
		.amdhsa_user_sgpr_private_segment_buffer 1
		.amdhsa_user_sgpr_dispatch_ptr 0
		.amdhsa_user_sgpr_queue_ptr 0
		.amdhsa_user_sgpr_kernarg_segment_ptr 1
		.amdhsa_user_sgpr_dispatch_id 0
		.amdhsa_user_sgpr_flat_scratch_init 0
		.amdhsa_user_sgpr_kernarg_preload_length 0
		.amdhsa_user_sgpr_kernarg_preload_offset 0
		.amdhsa_user_sgpr_private_segment_size 0
		.amdhsa_uses_dynamic_stack 0
		.amdhsa_system_sgpr_private_segment_wavefront_offset 0
		.amdhsa_system_sgpr_workgroup_id_x 1
		.amdhsa_system_sgpr_workgroup_id_y 0
		.amdhsa_system_sgpr_workgroup_id_z 0
		.amdhsa_system_sgpr_workgroup_info 0
		.amdhsa_system_vgpr_workitem_id 0
		.amdhsa_next_free_vgpr 14
		.amdhsa_next_free_sgpr 30
		.amdhsa_accum_offset 16
		.amdhsa_reserve_vcc 1
		.amdhsa_reserve_flat_scratch 0
		.amdhsa_float_round_mode_32 0
		.amdhsa_float_round_mode_16_64 0
		.amdhsa_float_denorm_mode_32 3
		.amdhsa_float_denorm_mode_16_64 3
		.amdhsa_dx10_clamp 1
		.amdhsa_ieee_mode 1
		.amdhsa_fp16_overflow 0
		.amdhsa_tg_split 0
		.amdhsa_exception_fp_ieee_invalid_op 0
		.amdhsa_exception_fp_denorm_src 0
		.amdhsa_exception_fp_ieee_div_zero 0
		.amdhsa_exception_fp_ieee_overflow 0
		.amdhsa_exception_fp_ieee_underflow 0
		.amdhsa_exception_fp_ieee_inexact 0
		.amdhsa_exception_int_div_zero 0
	.end_amdhsa_kernel
	.section	.text._ZN5aiter19grouped_topk_kernelIN3c108BFloat16EDv1_fLi8ELb1ELb1ELb0EEEvPT_PKS4_PfPimiiiif,"axG",@progbits,_ZN5aiter19grouped_topk_kernelIN3c108BFloat16EDv1_fLi8ELb1ELb1ELb0EEEvPT_PKS4_PfPimiiiif,comdat
.Lfunc_end198:
	.size	_ZN5aiter19grouped_topk_kernelIN3c108BFloat16EDv1_fLi8ELb1ELb1ELb0EEEvPT_PKS4_PfPimiiiif, .Lfunc_end198-_ZN5aiter19grouped_topk_kernelIN3c108BFloat16EDv1_fLi8ELb1ELb1ELb0EEEvPT_PKS4_PfPimiiiif
                                        ; -- End function
	.section	.AMDGPU.csdata,"",@progbits
; Kernel info:
; codeLenInByte = 2168
; NumSgprs: 34
; NumVgprs: 14
; NumAgprs: 0
; TotalNumVgprs: 14
; ScratchSize: 0
; MemoryBound: 0
; FloatMode: 240
; IeeeMode: 1
; LDSByteSize: 0 bytes/workgroup (compile time only)
; SGPRBlocks: 4
; VGPRBlocks: 1
; NumSGPRsForWavesPerEU: 34
; NumVGPRsForWavesPerEU: 14
; AccumOffset: 16
; Occupancy: 8
; WaveLimiterHint : 0
; COMPUTE_PGM_RSRC2:SCRATCH_EN: 0
; COMPUTE_PGM_RSRC2:USER_SGPR: 6
; COMPUTE_PGM_RSRC2:TRAP_HANDLER: 0
; COMPUTE_PGM_RSRC2:TGID_X_EN: 1
; COMPUTE_PGM_RSRC2:TGID_Y_EN: 0
; COMPUTE_PGM_RSRC2:TGID_Z_EN: 0
; COMPUTE_PGM_RSRC2:TIDIG_COMP_CNT: 0
; COMPUTE_PGM_RSRC3_GFX90A:ACCUM_OFFSET: 3
; COMPUTE_PGM_RSRC3_GFX90A:TG_SPLIT: 0
	.section	.text._ZN5aiter19grouped_topk_kernelIfDv1_fLi8ELb1ELb0ELb1EEEvPT_PKS2_PfPimiiiif,"axG",@progbits,_ZN5aiter19grouped_topk_kernelIfDv1_fLi8ELb1ELb0ELb1EEEvPT_PKS2_PfPimiiiif,comdat
	.protected	_ZN5aiter19grouped_topk_kernelIfDv1_fLi8ELb1ELb0ELb1EEEvPT_PKS2_PfPimiiiif ; -- Begin function _ZN5aiter19grouped_topk_kernelIfDv1_fLi8ELb1ELb0ELb1EEEvPT_PKS2_PfPimiiiif
	.globl	_ZN5aiter19grouped_topk_kernelIfDv1_fLi8ELb1ELb0ELb1EEEvPT_PKS2_PfPimiiiif
	.p2align	8
	.type	_ZN5aiter19grouped_topk_kernelIfDv1_fLi8ELb1ELb0ELb1EEEvPT_PKS2_PfPimiiiif,@function
_ZN5aiter19grouped_topk_kernelIfDv1_fLi8ELb1ELb0ELb1EEEvPT_PKS2_PfPimiiiif: ; @_ZN5aiter19grouped_topk_kernelIfDv1_fLi8ELb1ELb0ELb1EEEvPT_PKS2_PfPimiiiif
; %bb.0:
	s_load_dwordx4 s[8:11], s[4:5], 0x28
	s_load_dwordx4 s[12:15], s[4:5], 0x10
	v_mov_b32_e32 v2, 0xff800000
	v_lshl_add_u32 v1, v0, 2, 0
	s_waitcnt lgkmcnt(0)
	v_cmp_gt_i32_e64 s[0:1], s8, v0
	s_and_saveexec_b64 s[2:3], s[0:1]
	s_cbranch_execz .LBB199_4
; %bb.1:
	s_load_dword s11, s[4:5], 0x4c
	s_load_dwordx2 s[16:17], s[4:5], 0x0
	s_mul_i32 s7, s6, s8
	v_lshl_add_u32 v3, v0, 2, 0
	s_mov_b64 s[18:19], 0
	s_waitcnt lgkmcnt(0)
	s_and_b32 s11, s11, 0xffff
	s_lshl_b32 s20, s11, 2
	v_mov_b32_e32 v2, 0xff800000
	v_mov_b32_e32 v4, s17
	;; [unrolled: 1-line block ×3, first 2 shown]
.LBB199_2:                              ; =>This Inner Loop Header: Depth=1
	v_add_u32_e32 v6, s7, v5
	v_ashrrev_i32_e32 v7, 31, v6
	v_lshlrev_b64 v[6:7], 2, v[6:7]
	v_add_co_u32_e32 v6, vcc, s16, v6
	v_addc_co_u32_e32 v7, vcc, v4, v7, vcc
	global_load_dword v6, v[6:7], off
	v_add_u32_e32 v5, s11, v5
	v_cmp_le_i32_e32 vcc, s8, v5
	s_or_b64 s[18:19], vcc, s[18:19]
	s_waitcnt vmcnt(0)
	v_cmp_gt_f32_e32 vcc, v6, v2
	ds_write_b32 v3, v6
	v_cndmask_b32_e32 v2, v2, v6, vcc
	v_add_u32_e32 v3, s20, v3
	s_andn2_b64 exec, exec, s[18:19]
	s_cbranch_execnz .LBB199_2
; %bb.3:
	s_or_b64 exec, exec, s[18:19]
.LBB199_4:
	s_or_b64 exec, exec, s[2:3]
	v_mov_b32_dpp v3, v2 quad_perm:[1,0,3,2] row_mask:0xf bank_mask:0xf
	v_cmp_lt_f32_e32 vcc, v2, v3
	v_cndmask_b32_e32 v2, v2, v3, vcc
	v_bfrev_b32_e32 v4, 0.5
	s_waitcnt lgkmcnt(0)
	v_mov_b32_dpp v3, v2 quad_perm:[2,3,0,1] row_mask:0xf bank_mask:0xf
	v_cmp_lt_f32_e32 vcc, v2, v3
	v_cndmask_b32_e32 v2, v2, v3, vcc
	s_barrier
	s_nop 0
	v_mov_b32_dpp v3, v2 row_half_mirror row_mask:0xf bank_mask:0xf
	v_cmp_lt_f32_e32 vcc, v2, v3
	v_cndmask_b32_e32 v2, v2, v3, vcc
	s_nop 1
	v_mov_b32_dpp v3, v2 row_mirror row_mask:0xf bank_mask:0xf
	v_cmp_lt_f32_e32 vcc, v2, v3
	v_cndmask_b32_e32 v2, v2, v3, vcc
	s_nop 1
	v_mov_b32_dpp v3, v2 row_bcast:15 row_mask:0xf bank_mask:0xf
	v_cmp_lt_f32_e32 vcc, v2, v3
	v_cndmask_b32_e32 v2, v2, v3, vcc
	s_nop 1
	v_mov_b32_dpp v3, v2 row_bcast:31 row_mask:0xf bank_mask:0xf
	v_cmp_lt_f32_e32 vcc, v2, v3
	v_cndmask_b32_e32 v3, v2, v3, vcc
	v_mbcnt_lo_u32_b32 v2, -1, 0
	v_mbcnt_hi_u32_b32 v2, -1, v2
	v_lshl_or_b32 v2, v2, 2, v4
	ds_bpermute_b32 v4, v2, v3
	v_mov_b32_e32 v3, 0
	s_and_saveexec_b64 s[2:3], s[0:1]
	s_cbranch_execz .LBB199_8
; %bb.5:
	s_load_dword s11, s[4:5], 0x4c
	v_lshl_add_u32 v5, v0, 2, 0
	s_mov_b64 s[16:17], 0
	v_mov_b32_e32 v3, 0
	s_mov_b32 s7, 0x3fb8aa3b
	s_waitcnt lgkmcnt(0)
	s_and_b32 s11, s11, 0xffff
	s_lshl_b32 s18, s11, 2
	s_mov_b32 s19, 0xc2ce8ed0
	s_mov_b32 s20, 0x42b17218
	v_mov_b32_e32 v6, 0x7f800000
	v_mov_b32_e32 v7, v0
.LBB199_6:                              ; =>This Inner Loop Header: Depth=1
	ds_read_b32 v8, v5
	v_add_u32_e32 v7, s11, v7
	s_waitcnt lgkmcnt(0)
	v_sub_f32_e32 v8, v8, v4
	v_mul_f32_e32 v9, 0x3fb8aa3b, v8
	v_fma_f32 v10, v8, s7, -v9
	v_rndne_f32_e32 v11, v9
	v_fmac_f32_e32 v10, 0x32a5705f, v8
	v_sub_f32_e32 v9, v9, v11
	v_add_f32_e32 v9, v9, v10
	v_cvt_i32_f32_e32 v11, v11
	v_exp_f32_e32 v9, v9
	v_cmp_ngt_f32_e32 vcc, s19, v8
	v_ldexp_f32 v9, v9, v11
	v_cndmask_b32_e32 v9, 0, v9, vcc
	v_cmp_nlt_f32_e32 vcc, s20, v8
	v_cndmask_b32_e32 v8, v6, v9, vcc
	v_cmp_le_i32_e32 vcc, s8, v7
	ds_write_b32 v5, v8
	v_add_f32_e32 v3, v3, v8
	s_or_b64 s[16:17], vcc, s[16:17]
	v_add_u32_e32 v5, s18, v5
	s_andn2_b64 exec, exec, s[16:17]
	s_cbranch_execnz .LBB199_6
; %bb.7:
	s_or_b64 exec, exec, s[16:17]
.LBB199_8:
	s_or_b64 exec, exec, s[2:3]
	s_waitcnt lgkmcnt(0)
	v_mov_b32_dpp v4, v3 quad_perm:[1,0,3,2] row_mask:0xf bank_mask:0xf
	v_add_f32_e32 v3, v3, v4
	s_barrier
	s_nop 0
	v_mov_b32_dpp v4, v3 quad_perm:[2,3,0,1] row_mask:0xf bank_mask:0xf
	v_add_f32_e32 v3, v3, v4
	s_nop 1
	v_mov_b32_dpp v4, v3 row_half_mirror row_mask:0xf bank_mask:0xf
	v_add_f32_e32 v3, v3, v4
	s_nop 1
	v_mov_b32_dpp v4, v3 row_mirror row_mask:0xf bank_mask:0xf
	v_add_f32_e32 v3, v3, v4
	s_nop 1
	v_mov_b32_dpp v4, v3 row_bcast:15 row_mask:0xf bank_mask:0xf
	v_add_f32_e32 v3, v3, v4
	s_nop 1
	v_mov_b32_dpp v4, v3 row_bcast:31 row_mask:0xf bank_mask:0xf
	v_add_f32_e32 v3, v3, v4
	ds_bpermute_b32 v2, v2, v3
	s_and_saveexec_b64 s[2:3], s[0:1]
	s_cbranch_execz .LBB199_11
; %bb.9:
	s_load_dword s7, s[4:5], 0x4c
	v_lshl_add_u32 v3, v0, 2, 0
	s_mov_b64 s[16:17], 0
	v_mov_b32_e32 v4, v0
	s_waitcnt lgkmcnt(0)
	s_and_b32 s7, s7, 0xffff
	s_lshl_b32 s11, s7, 2
.LBB199_10:                             ; =>This Inner Loop Header: Depth=1
	ds_read_b32 v5, v3
	v_add_u32_e32 v4, s7, v4
	v_cmp_le_i32_e32 vcc, s8, v4
	s_or_b64 s[16:17], vcc, s[16:17]
	s_waitcnt lgkmcnt(0)
	v_div_scale_f32 v6, s[18:19], v2, v2, v5
	v_rcp_f32_e32 v7, v6
	v_div_scale_f32 v8, vcc, v5, v2, v5
	v_fma_f32 v9, -v6, v7, 1.0
	v_fmac_f32_e32 v7, v9, v7
	v_mul_f32_e32 v9, v8, v7
	v_fma_f32 v10, -v6, v9, v8
	v_fmac_f32_e32 v9, v10, v7
	v_fma_f32 v6, -v6, v9, v8
	v_div_fmas_f32 v6, v6, v7, v9
	v_div_fixup_f32 v5, v6, v2, v5
	ds_write_b32 v3, v5
	v_add_u32_e32 v3, s11, v3
	s_andn2_b64 exec, exec, s[16:17]
	s_cbranch_execnz .LBB199_10
.LBB199_11:
	s_or_b64 exec, exec, s[2:3]
	s_ashr_i32 s2, s8, 31
	s_lshr_b32 s2, s2, 29
	s_add_i32 s2, s8, s2
	s_ashr_i32 s11, s2, 3
	s_lshl_b32 s2, s8, 2
	s_add_i32 s7, s2, 0
	v_cmp_gt_u32_e32 vcc, 8, v0
	s_waitcnt lgkmcnt(0)
	s_barrier
	s_and_saveexec_b64 s[16:17], vcc
	s_cbranch_execz .LBB199_18
; %bb.12:
	s_load_dword s2, s[4:5], 0x4c
	v_mul_lo_u32 v2, v0, s11
	v_lshl_add_u32 v2, v2, 2, 0
	s_waitcnt lgkmcnt(0)
	s_and_b32 s22, s2, 0xffff
	s_cmp_gt_i32 s8, 7
	s_cselect_b64 s[2:3], -1, 0
	s_mul_i32 s18, s11, s22
	v_cndmask_b32_e64 v3, 0, 1, s[2:3]
	s_lshl_b32 s23, s18, 2
	s_mov_b64 s[18:19], 0
	v_cmp_ne_u32_e64 s[2:3], 1, v3
	v_mov_b32_e32 v3, v0
	s_branch .LBB199_14
.LBB199_13:                             ;   in Loop: Header=BB199_14 Depth=1
	v_lshl_add_u32 v5, v3, 2, s7
	v_add_u32_e32 v3, s22, v3
	v_cmp_lt_u32_e32 vcc, 7, v3
	s_or_b64 s[18:19], vcc, s[18:19]
	v_add_u32_e32 v2, s23, v2
	ds_write_b32 v5, v4
	s_andn2_b64 exec, exec, s[18:19]
	s_cbranch_execz .LBB199_18
.LBB199_14:                             ; =>This Loop Header: Depth=1
                                        ;     Child Loop BB199_16 Depth 2
	s_and_b64 vcc, exec, s[2:3]
	v_mov_b32_e32 v4, 0xff800000
	s_cbranch_vccnz .LBB199_13
; %bb.15:                               ;   in Loop: Header=BB199_14 Depth=1
	v_mul_lo_u32 v5, v3, s11
	v_add_u32_e32 v6, s11, v5
	s_mov_b64 s[20:21], 0
	v_mov_b32_e32 v4, 0xff800000
	v_mov_b32_e32 v7, v2
.LBB199_16:                             ;   Parent Loop BB199_14 Depth=1
                                        ; =>  This Inner Loop Header: Depth=2
	ds_read_b32 v8, v7
	v_add_u32_e32 v5, 1, v5
	v_cmp_ge_i32_e32 vcc, v5, v6
	s_or_b64 s[20:21], vcc, s[20:21]
	v_add_u32_e32 v7, 4, v7
	s_waitcnt lgkmcnt(0)
	v_cmp_gt_f32_e32 vcc, v8, v4
	v_cndmask_b32_e32 v4, v4, v8, vcc
	s_andn2_b64 exec, exec, s[20:21]
	s_cbranch_execnz .LBB199_16
; %bb.17:                               ;   in Loop: Header=BB199_14 Depth=1
	s_or_b64 exec, exec, s[20:21]
	s_branch .LBB199_13
.LBB199_18:
	s_or_b64 exec, exec, s[16:17]
	s_cmp_lt_i32 s10, 1
	s_waitcnt lgkmcnt(0)
	s_barrier
	s_cbranch_scc1 .LBB199_21
; %bb.19:
	v_mov_b32_e32 v2, s7
	s_mov_b32 s2, 0xff800000
	v_mov_b32_e32 v3, 0xff800000
.LBB199_20:                             ; =>This Inner Loop Header: Depth=1
	ds_read2_b32 v[4:5], v2 offset1:1
	ds_read2_b32 v[6:7], v2 offset0:2 offset1:3
	ds_read2_b32 v[8:9], v2 offset0:4 offset1:5
	;; [unrolled: 1-line block ×3, first 2 shown]
	s_waitcnt lgkmcnt(3)
	v_cmp_nlg_f32_e32 vcc, s2, v4
	v_cndmask_b32_e64 v12, 0, 1, vcc
	v_cmp_lg_f32_e32 vcc, s2, v4
	v_cndmask_b32_e32 v4, v3, v4, vcc
	v_readfirstlane_b32 s3, v12
	v_cmp_gt_f32_e32 vcc, v5, v4
	s_lshl_b32 s3, s3, 3
	v_cndmask_b32_e32 v4, v4, v5, vcc
	s_and_b64 s[16:17], vcc, exec
	s_waitcnt lgkmcnt(2)
	v_cmp_gt_f32_e32 vcc, v6, v4
	v_cndmask_b32_e32 v4, v4, v6, vcc
	s_cselect_b32 s3, 1, s3
	s_and_b64 s[16:17], vcc, exec
	v_cmp_gt_f32_e32 vcc, v7, v4
	v_cndmask_b32_e32 v4, v4, v7, vcc
	s_cselect_b32 s3, 2, s3
	s_and_b64 s[16:17], vcc, exec
	s_waitcnt lgkmcnt(1)
	v_cmp_gt_f32_e32 vcc, v8, v4
	v_cndmask_b32_e32 v4, v4, v8, vcc
	s_cselect_b32 s3, 3, s3
	s_and_b64 s[16:17], vcc, exec
	v_cmp_gt_f32_e32 vcc, v9, v4
	v_cndmask_b32_e32 v4, v4, v9, vcc
	s_cselect_b32 s3, 4, s3
	s_and_b64 s[16:17], vcc, exec
	s_waitcnt lgkmcnt(0)
	v_cmp_gt_f32_e32 vcc, v10, v4
	v_cndmask_b32_e32 v4, v4, v10, vcc
	s_cselect_b32 s3, 5, s3
	s_and_b64 s[16:17], vcc, exec
	v_cmp_ngt_f32_e32 vcc, v11, v4
	s_cselect_b32 s3, 6, s3
	s_and_b64 s[16:17], vcc, exec
	s_cselect_b32 s3, s3, 7
	s_lshl_b32 s3, s3, 2
	s_add_i32 s3, s7, s3
	s_add_i32 s10, s10, -1
	v_mov_b32_e32 v4, s3
	s_cmp_lg_u32 s10, 0
	ds_write_b32 v4, v3
	s_cbranch_scc1 .LBB199_20
.LBB199_21:
	s_and_saveexec_b64 s[2:3], s[0:1]
	s_cbranch_execz .LBB199_26
; %bb.22:
	s_abs_i32 s18, s11
	v_cvt_f32_u32_e32 v3, s18
	s_load_dword s16, s[4:5], 0x4c
	s_sub_i32 s17, 0, s18
	s_ashr_i32 s19, s11, 31
	v_rcp_iflag_f32_e32 v4, v3
	v_lshl_add_u32 v2, v0, 2, 0
	s_waitcnt lgkmcnt(0)
	s_and_b32 s21, s16, 0xffff
	s_mov_b64 s[10:11], 0
	v_mul_f32_e32 v4, 0x4f7ffffe, v4
	v_cvt_u32_f32_e32 v4, v4
	s_mov_b32 s20, 0xff800000
	v_mov_b32_e32 v3, 0xff800000
	s_lshl_b32 s22, s21, 2
	v_mul_lo_u32 v5, s17, v4
	v_mul_hi_u32 v5, v4, v5
	v_add_u32_e32 v4, v4, v5
	v_mov_b32_e32 v5, v0
	s_branch .LBB199_24
.LBB199_23:                             ;   in Loop: Header=BB199_24 Depth=1
	s_or_b64 exec, exec, s[16:17]
	v_add_u32_e32 v5, s21, v5
	v_cmp_le_i32_e32 vcc, s8, v5
	s_or_b64 s[10:11], vcc, s[10:11]
	v_add_u32_e32 v2, s22, v2
	s_andn2_b64 exec, exec, s[10:11]
	s_cbranch_execz .LBB199_26
.LBB199_24:                             ; =>This Inner Loop Header: Depth=1
	v_sub_u32_e32 v7, 0, v5
	v_max_i32_e32 v7, v5, v7
	v_mul_hi_u32 v8, v7, v4
	v_mul_lo_u32 v9, v8, s18
	v_sub_u32_e32 v7, v7, v9
	v_add_u32_e32 v9, 1, v8
	v_cmp_le_u32_e32 vcc, s18, v7
	v_cndmask_b32_e32 v8, v8, v9, vcc
	v_subrev_u32_e32 v9, s18, v7
	v_cndmask_b32_e32 v7, v7, v9, vcc
	v_ashrrev_i32_e32 v6, 31, v5
	v_add_u32_e32 v9, 1, v8
	v_cmp_le_u32_e32 vcc, s18, v7
	v_xor_b32_e32 v6, s19, v6
	v_cndmask_b32_e32 v7, v8, v9, vcc
	v_xor_b32_e32 v7, v7, v6
	v_sub_u32_e32 v6, v7, v6
	v_lshl_add_u32 v6, v6, 2, s7
	ds_read_b32 v6, v6
	s_waitcnt lgkmcnt(0)
	v_cmp_neq_f32_e32 vcc, s20, v6
	s_and_saveexec_b64 s[16:17], vcc
	s_cbranch_execz .LBB199_23
; %bb.25:                               ;   in Loop: Header=BB199_24 Depth=1
	ds_write_b32 v2, v3
	s_branch .LBB199_23
.LBB199_26:
	s_or_b64 exec, exec, s[2:3]
	s_cmp_lt_i32 s9, 1
	s_waitcnt lgkmcnt(0)
	s_barrier
	s_cbranch_scc1 .LBB199_33
; %bb.27:
	s_add_u32 s2, s4, 64
	s_addc_u32 s3, s5, 0
	s_mov_b32 s7, 0
	v_mov_b32_e32 v3, 0
	v_mov_b32_e32 v5, 0xff800000
                                        ; implicit-def: $vgpr4
                                        ; implicit-def: $vgpr2
	s_branch .LBB199_29
.LBB199_28:                             ;   in Loop: Header=BB199_29 Depth=1
	s_or_b64 exec, exec, s[10:11]
	v_mov_b32_dpp v9, v7 quad_perm:[1,0,3,2] row_mask:0xf bank_mask:0xf
	v_cmp_lt_f32_e32 vcc, v7, v9
	v_cndmask_b32_e32 v7, v7, v9, vcc
	v_mov_b32_dpp v8, v6 quad_perm:[1,0,3,2] row_mask:0xf bank_mask:0xf
	v_cndmask_b32_e32 v6, v6, v8, vcc
	v_mov_b32_dpp v9, v7 quad_perm:[2,3,0,1] row_mask:0xf bank_mask:0xf
	v_cmp_gt_f32_e32 vcc, v9, v7
	v_cndmask_b32_e32 v7, v7, v9, vcc
	v_mov_b32_dpp v8, v6 quad_perm:[2,3,0,1] row_mask:0xf bank_mask:0xf
	v_cndmask_b32_e32 v6, v6, v8, vcc
	v_mov_b32_dpp v9, v7 row_half_mirror row_mask:0xf bank_mask:0xf
	v_cmp_gt_f32_e32 vcc, v9, v7
	v_cndmask_b32_e32 v7, v7, v9, vcc
	v_mov_b32_dpp v8, v6 row_half_mirror row_mask:0xf bank_mask:0xf
	v_cndmask_b32_e32 v6, v6, v8, vcc
	v_mov_b32_dpp v9, v7 row_mirror row_mask:0xf bank_mask:0xf
	v_cmp_gt_f32_e32 vcc, v9, v7
	v_cndmask_b32_e32 v7, v7, v9, vcc
	v_mov_b32_dpp v8, v6 row_mirror row_mask:0xf bank_mask:0xf
	v_cndmask_b32_e32 v6, v6, v8, vcc
	v_mov_b32_dpp v9, v7 row_bcast:15 row_mask:0xf bank_mask:0xf
	v_cmp_gt_f32_e32 vcc, v9, v7
	v_mov_b32_dpp v8, v6 row_bcast:15 row_mask:0xf bank_mask:0xf
	v_cndmask_b32_e32 v7, v7, v9, vcc
	v_cndmask_b32_e32 v6, v6, v8, vcc
	s_nop 0
	v_mov_b32_dpp v9, v7 row_bcast:31 row_mask:0xf bank_mask:0xf
	v_mov_b32_dpp v8, v6 row_bcast:31 row_mask:0xf bank_mask:0xf
	v_cmp_gt_f32_e32 vcc, v9, v7
	v_cndmask_b32_e32 v6, v6, v8, vcc
	v_readlane_b32 s11, v6, 63
	s_lshl_b32 s16, s11, 2
	s_add_i32 s16, s16, 0
	v_cndmask_b32_e32 v7, v7, v9, vcc
	v_mov_b32_e32 v6, s16
	v_readlane_b32 s10, v7, 63
	ds_write_b32 v6, v5
	v_mov_b32_e32 v6, s11
	v_cmp_eq_u32_e32 vcc, s7, v0
	v_cndmask_b32_e32 v2, v2, v6, vcc
	v_mov_b32_e32 v6, s10
	s_add_i32 s7, s7, 1
	v_cndmask_b32_e32 v4, v4, v6, vcc
	s_cmp_eq_u32 s7, s9
	v_add_f32_e32 v3, s10, v3
	s_cbranch_scc1 .LBB199_34
.LBB199_29:                             ; =>This Loop Header: Depth=1
                                        ;     Child Loop BB199_31 Depth 2
	v_mov_b32_e32 v6, s7
	v_mov_b32_e32 v7, 0xff800000
	s_and_saveexec_b64 s[10:11], s[0:1]
	s_cbranch_execz .LBB199_28
; %bb.30:                               ;   in Loop: Header=BB199_29 Depth=1
	s_load_dword s18, s[2:3], 0xc
	s_mov_b64 s[16:17], 0
	v_mov_b32_e32 v6, s7
	v_mov_b32_e32 v7, 0xff800000
	;; [unrolled: 1-line block ×3, first 2 shown]
	s_waitcnt lgkmcnt(0)
	s_and_b32 s18, s18, 0xffff
	s_lshl_b32 s19, s18, 2
	v_mov_b32_e32 v9, v0
.LBB199_31:                             ;   Parent Loop BB199_29 Depth=1
                                        ; =>  This Inner Loop Header: Depth=2
	ds_read_b32 v10, v8
	v_add_u32_e32 v8, s19, v8
	s_waitcnt lgkmcnt(0)
	v_cmp_gt_f32_e32 vcc, v10, v7
	v_cndmask_b32_e32 v6, v6, v9, vcc
	v_add_u32_e32 v9, s18, v9
	v_cndmask_b32_e32 v7, v7, v10, vcc
	v_cmp_le_i32_e32 vcc, s8, v9
	s_or_b64 s[16:17], vcc, s[16:17]
	s_andn2_b64 exec, exec, s[16:17]
	s_cbranch_execnz .LBB199_31
; %bb.32:                               ;   in Loop: Header=BB199_29 Depth=1
	s_or_b64 exec, exec, s[16:17]
	s_branch .LBB199_28
.LBB199_33:
	v_mov_b32_e32 v3, 0
                                        ; implicit-def: $vgpr4
                                        ; implicit-def: $vgpr2
.LBB199_34:
	v_cmp_gt_i32_e32 vcc, s9, v0
	s_and_saveexec_b64 s[0:1], vcc
	s_cbranch_execz .LBB199_37
; %bb.35:
	s_load_dword s7, s[4:5], 0x38
	s_load_dwordx2 s[0:1], s[4:5], 0x20
	s_load_dword s8, s[4:5], 0x4c
	s_waitcnt lgkmcnt(0)
	v_div_scale_f32 v1, s[2:3], v3, v3, s7
	v_rcp_f32_e32 v5, v1
	v_div_scale_f32 v6, vcc, s7, v3, s7
	s_ashr_i32 s2, s6, 31
	v_fma_f32 v7, -v1, v5, 1.0
	v_fmac_f32_e32 v5, v7, v5
	v_mul_f32_e32 v7, v6, v5
	v_fma_f32 v8, -v1, v7, v6
	v_fmac_f32_e32 v7, v8, v5
	v_fma_f32 v1, -v1, v7, v6
	s_mul_i32 s1, s6, s1
	s_mul_hi_u32 s3, s6, s0
	v_div_fmas_f32 v1, v1, v5, v7
	s_add_i32 s1, s3, s1
	s_mul_i32 s2, s2, s0
	v_div_fixup_f32 v1, v1, v3, s7
	s_add_i32 s4, s1, s2
	v_mul_f32_e32 v1, v1, v4
	s_mul_i32 s2, s6, s0
	s_and_b32 s3, s8, 0xffff
	s_mov_b64 s[0:1], 0
	v_mov_b32_e32 v3, s4
	v_mov_b32_e32 v4, s13
	;; [unrolled: 1-line block ×3, first 2 shown]
.LBB199_36:                             ; =>This Inner Loop Header: Depth=1
	v_ashrrev_i32_e32 v7, 31, v0
	v_add_co_u32_e32 v6, vcc, s2, v0
	v_addc_co_u32_e32 v7, vcc, v3, v7, vcc
	v_add_u32_e32 v0, s3, v0
	v_cmp_le_i32_e32 vcc, s9, v0
	v_lshlrev_b64 v[6:7], 2, v[6:7]
	s_or_b64 s[0:1], vcc, s[0:1]
	v_add_co_u32_e32 v8, vcc, s12, v6
	v_addc_co_u32_e32 v9, vcc, v4, v7, vcc
	v_add_co_u32_e32 v6, vcc, s14, v6
	v_addc_co_u32_e32 v7, vcc, v5, v7, vcc
	global_store_dword v[8:9], v1, off
	global_store_dword v[6:7], v2, off
	s_andn2_b64 exec, exec, s[0:1]
	s_cbranch_execnz .LBB199_36
.LBB199_37:
	s_endpgm
	.section	.rodata,"a",@progbits
	.p2align	6, 0x0
	.amdhsa_kernel _ZN5aiter19grouped_topk_kernelIfDv1_fLi8ELb1ELb0ELb1EEEvPT_PKS2_PfPimiiiif
		.amdhsa_group_segment_fixed_size 0
		.amdhsa_private_segment_fixed_size 0
		.amdhsa_kernarg_size 320
		.amdhsa_user_sgpr_count 6
		.amdhsa_user_sgpr_private_segment_buffer 1
		.amdhsa_user_sgpr_dispatch_ptr 0
		.amdhsa_user_sgpr_queue_ptr 0
		.amdhsa_user_sgpr_kernarg_segment_ptr 1
		.amdhsa_user_sgpr_dispatch_id 0
		.amdhsa_user_sgpr_flat_scratch_init 0
		.amdhsa_user_sgpr_kernarg_preload_length 0
		.amdhsa_user_sgpr_kernarg_preload_offset 0
		.amdhsa_user_sgpr_private_segment_size 0
		.amdhsa_uses_dynamic_stack 0
		.amdhsa_system_sgpr_private_segment_wavefront_offset 0
		.amdhsa_system_sgpr_workgroup_id_x 1
		.amdhsa_system_sgpr_workgroup_id_y 0
		.amdhsa_system_sgpr_workgroup_id_z 0
		.amdhsa_system_sgpr_workgroup_info 0
		.amdhsa_system_vgpr_workitem_id 0
		.amdhsa_next_free_vgpr 13
		.amdhsa_next_free_sgpr 24
		.amdhsa_accum_offset 16
		.amdhsa_reserve_vcc 1
		.amdhsa_reserve_flat_scratch 0
		.amdhsa_float_round_mode_32 0
		.amdhsa_float_round_mode_16_64 0
		.amdhsa_float_denorm_mode_32 3
		.amdhsa_float_denorm_mode_16_64 3
		.amdhsa_dx10_clamp 1
		.amdhsa_ieee_mode 1
		.amdhsa_fp16_overflow 0
		.amdhsa_tg_split 0
		.amdhsa_exception_fp_ieee_invalid_op 0
		.amdhsa_exception_fp_denorm_src 0
		.amdhsa_exception_fp_ieee_div_zero 0
		.amdhsa_exception_fp_ieee_overflow 0
		.amdhsa_exception_fp_ieee_underflow 0
		.amdhsa_exception_fp_ieee_inexact 0
		.amdhsa_exception_int_div_zero 0
	.end_amdhsa_kernel
	.section	.text._ZN5aiter19grouped_topk_kernelIfDv1_fLi8ELb1ELb0ELb1EEEvPT_PKS2_PfPimiiiif,"axG",@progbits,_ZN5aiter19grouped_topk_kernelIfDv1_fLi8ELb1ELb0ELb1EEEvPT_PKS2_PfPimiiiif,comdat
.Lfunc_end199:
	.size	_ZN5aiter19grouped_topk_kernelIfDv1_fLi8ELb1ELb0ELb1EEEvPT_PKS2_PfPimiiiif, .Lfunc_end199-_ZN5aiter19grouped_topk_kernelIfDv1_fLi8ELb1ELb0ELb1EEEvPT_PKS2_PfPimiiiif
                                        ; -- End function
	.section	.AMDGPU.csdata,"",@progbits
; Kernel info:
; codeLenInByte = 2300
; NumSgprs: 28
; NumVgprs: 13
; NumAgprs: 0
; TotalNumVgprs: 13
; ScratchSize: 0
; MemoryBound: 0
; FloatMode: 240
; IeeeMode: 1
; LDSByteSize: 0 bytes/workgroup (compile time only)
; SGPRBlocks: 3
; VGPRBlocks: 1
; NumSGPRsForWavesPerEU: 28
; NumVGPRsForWavesPerEU: 13
; AccumOffset: 16
; Occupancy: 8
; WaveLimiterHint : 0
; COMPUTE_PGM_RSRC2:SCRATCH_EN: 0
; COMPUTE_PGM_RSRC2:USER_SGPR: 6
; COMPUTE_PGM_RSRC2:TRAP_HANDLER: 0
; COMPUTE_PGM_RSRC2:TGID_X_EN: 1
; COMPUTE_PGM_RSRC2:TGID_Y_EN: 0
; COMPUTE_PGM_RSRC2:TGID_Z_EN: 0
; COMPUTE_PGM_RSRC2:TIDIG_COMP_CNT: 0
; COMPUTE_PGM_RSRC3_GFX90A:ACCUM_OFFSET: 3
; COMPUTE_PGM_RSRC3_GFX90A:TG_SPLIT: 0
	.section	.text._ZN5aiter19grouped_topk_kernelIN3c104HalfEDv1_fLi8ELb1ELb0ELb1EEEvPT_PKS4_PfPimiiiif,"axG",@progbits,_ZN5aiter19grouped_topk_kernelIN3c104HalfEDv1_fLi8ELb1ELb0ELb1EEEvPT_PKS4_PfPimiiiif,comdat
	.protected	_ZN5aiter19grouped_topk_kernelIN3c104HalfEDv1_fLi8ELb1ELb0ELb1EEEvPT_PKS4_PfPimiiiif ; -- Begin function _ZN5aiter19grouped_topk_kernelIN3c104HalfEDv1_fLi8ELb1ELb0ELb1EEEvPT_PKS4_PfPimiiiif
	.globl	_ZN5aiter19grouped_topk_kernelIN3c104HalfEDv1_fLi8ELb1ELb0ELb1EEEvPT_PKS4_PfPimiiiif
	.p2align	8
	.type	_ZN5aiter19grouped_topk_kernelIN3c104HalfEDv1_fLi8ELb1ELb0ELb1EEEvPT_PKS4_PfPimiiiif,@function
_ZN5aiter19grouped_topk_kernelIN3c104HalfEDv1_fLi8ELb1ELb0ELb1EEEvPT_PKS4_PfPimiiiif: ; @_ZN5aiter19grouped_topk_kernelIN3c104HalfEDv1_fLi8ELb1ELb0ELb1EEEvPT_PKS4_PfPimiiiif
; %bb.0:
	s_load_dwordx4 s[8:11], s[4:5], 0x28
	s_load_dwordx4 s[12:15], s[4:5], 0x10
	v_mov_b32_e32 v2, 0xff800000
	v_lshl_add_u32 v1, v0, 2, 0
	s_waitcnt lgkmcnt(0)
	v_cmp_gt_i32_e64 s[0:1], s8, v0
	s_and_saveexec_b64 s[2:3], s[0:1]
	s_cbranch_execz .LBB200_4
; %bb.1:
	s_load_dword s11, s[4:5], 0x4c
	s_load_dwordx2 s[16:17], s[4:5], 0x0
	s_mul_i32 s7, s6, s8
	v_lshl_add_u32 v3, v0, 2, 0
	s_mov_b64 s[18:19], 0
	s_waitcnt lgkmcnt(0)
	s_and_b32 s11, s11, 0xffff
	s_lshl_b32 s20, s11, 2
	v_mov_b32_e32 v2, 0xff800000
	v_mov_b32_e32 v4, s17
	;; [unrolled: 1-line block ×3, first 2 shown]
.LBB200_2:                              ; =>This Inner Loop Header: Depth=1
	v_add_u32_e32 v6, s7, v5
	v_ashrrev_i32_e32 v7, 31, v6
	v_lshlrev_b64 v[6:7], 1, v[6:7]
	v_add_co_u32_e32 v6, vcc, s16, v6
	v_addc_co_u32_e32 v7, vcc, v4, v7, vcc
	global_load_ushort v6, v[6:7], off
	v_add_u32_e32 v5, s11, v5
	v_cmp_le_i32_e32 vcc, s8, v5
	s_or_b64 s[18:19], vcc, s[18:19]
	s_waitcnt vmcnt(0)
	v_cvt_f32_f16_e32 v6, v6
	v_cmp_lt_f32_e32 vcc, v2, v6
	ds_write_b32 v3, v6
	v_cndmask_b32_e32 v2, v2, v6, vcc
	v_add_u32_e32 v3, s20, v3
	s_andn2_b64 exec, exec, s[18:19]
	s_cbranch_execnz .LBB200_2
; %bb.3:
	s_or_b64 exec, exec, s[18:19]
.LBB200_4:
	s_or_b64 exec, exec, s[2:3]
	v_mov_b32_dpp v3, v2 quad_perm:[1,0,3,2] row_mask:0xf bank_mask:0xf
	v_cmp_lt_f32_e32 vcc, v2, v3
	v_cndmask_b32_e32 v2, v2, v3, vcc
	v_bfrev_b32_e32 v4, 0.5
	s_waitcnt lgkmcnt(0)
	v_mov_b32_dpp v3, v2 quad_perm:[2,3,0,1] row_mask:0xf bank_mask:0xf
	v_cmp_lt_f32_e32 vcc, v2, v3
	v_cndmask_b32_e32 v2, v2, v3, vcc
	s_barrier
	s_nop 0
	v_mov_b32_dpp v3, v2 row_half_mirror row_mask:0xf bank_mask:0xf
	v_cmp_lt_f32_e32 vcc, v2, v3
	v_cndmask_b32_e32 v2, v2, v3, vcc
	s_nop 1
	v_mov_b32_dpp v3, v2 row_mirror row_mask:0xf bank_mask:0xf
	v_cmp_lt_f32_e32 vcc, v2, v3
	v_cndmask_b32_e32 v2, v2, v3, vcc
	s_nop 1
	v_mov_b32_dpp v3, v2 row_bcast:15 row_mask:0xf bank_mask:0xf
	v_cmp_lt_f32_e32 vcc, v2, v3
	v_cndmask_b32_e32 v2, v2, v3, vcc
	s_nop 1
	v_mov_b32_dpp v3, v2 row_bcast:31 row_mask:0xf bank_mask:0xf
	v_cmp_lt_f32_e32 vcc, v2, v3
	v_cndmask_b32_e32 v3, v2, v3, vcc
	v_mbcnt_lo_u32_b32 v2, -1, 0
	v_mbcnt_hi_u32_b32 v2, -1, v2
	v_lshl_or_b32 v2, v2, 2, v4
	ds_bpermute_b32 v4, v2, v3
	v_mov_b32_e32 v3, 0
	s_and_saveexec_b64 s[2:3], s[0:1]
	s_cbranch_execz .LBB200_8
; %bb.5:
	s_load_dword s11, s[4:5], 0x4c
	v_lshl_add_u32 v5, v0, 2, 0
	s_mov_b64 s[16:17], 0
	v_mov_b32_e32 v3, 0
	s_mov_b32 s7, 0x3fb8aa3b
	s_waitcnt lgkmcnt(0)
	s_and_b32 s11, s11, 0xffff
	s_lshl_b32 s18, s11, 2
	s_mov_b32 s19, 0xc2ce8ed0
	s_mov_b32 s20, 0x42b17218
	v_mov_b32_e32 v6, 0x7f800000
	v_mov_b32_e32 v7, v0
.LBB200_6:                              ; =>This Inner Loop Header: Depth=1
	ds_read_b32 v8, v5
	v_add_u32_e32 v7, s11, v7
	s_waitcnt lgkmcnt(0)
	v_sub_f32_e32 v8, v8, v4
	v_mul_f32_e32 v9, 0x3fb8aa3b, v8
	v_fma_f32 v10, v8, s7, -v9
	v_rndne_f32_e32 v11, v9
	v_fmac_f32_e32 v10, 0x32a5705f, v8
	v_sub_f32_e32 v9, v9, v11
	v_add_f32_e32 v9, v9, v10
	v_cvt_i32_f32_e32 v11, v11
	v_exp_f32_e32 v9, v9
	v_cmp_ngt_f32_e32 vcc, s19, v8
	v_ldexp_f32 v9, v9, v11
	v_cndmask_b32_e32 v9, 0, v9, vcc
	v_cmp_nlt_f32_e32 vcc, s20, v8
	v_cndmask_b32_e32 v8, v6, v9, vcc
	v_cmp_le_i32_e32 vcc, s8, v7
	ds_write_b32 v5, v8
	v_add_f32_e32 v3, v3, v8
	s_or_b64 s[16:17], vcc, s[16:17]
	v_add_u32_e32 v5, s18, v5
	s_andn2_b64 exec, exec, s[16:17]
	s_cbranch_execnz .LBB200_6
; %bb.7:
	s_or_b64 exec, exec, s[16:17]
.LBB200_8:
	s_or_b64 exec, exec, s[2:3]
	s_waitcnt lgkmcnt(0)
	v_mov_b32_dpp v4, v3 quad_perm:[1,0,3,2] row_mask:0xf bank_mask:0xf
	v_add_f32_e32 v3, v3, v4
	s_barrier
	s_nop 0
	v_mov_b32_dpp v4, v3 quad_perm:[2,3,0,1] row_mask:0xf bank_mask:0xf
	v_add_f32_e32 v3, v3, v4
	s_nop 1
	v_mov_b32_dpp v4, v3 row_half_mirror row_mask:0xf bank_mask:0xf
	v_add_f32_e32 v3, v3, v4
	s_nop 1
	v_mov_b32_dpp v4, v3 row_mirror row_mask:0xf bank_mask:0xf
	v_add_f32_e32 v3, v3, v4
	s_nop 1
	v_mov_b32_dpp v4, v3 row_bcast:15 row_mask:0xf bank_mask:0xf
	v_add_f32_e32 v3, v3, v4
	s_nop 1
	v_mov_b32_dpp v4, v3 row_bcast:31 row_mask:0xf bank_mask:0xf
	v_add_f32_e32 v3, v3, v4
	ds_bpermute_b32 v2, v2, v3
	s_and_saveexec_b64 s[2:3], s[0:1]
	s_cbranch_execz .LBB200_11
; %bb.9:
	s_load_dword s7, s[4:5], 0x4c
	v_lshl_add_u32 v3, v0, 2, 0
	s_mov_b64 s[16:17], 0
	v_mov_b32_e32 v4, v0
	s_waitcnt lgkmcnt(0)
	s_and_b32 s7, s7, 0xffff
	s_lshl_b32 s11, s7, 2
.LBB200_10:                             ; =>This Inner Loop Header: Depth=1
	ds_read_b32 v5, v3
	v_add_u32_e32 v4, s7, v4
	v_cmp_le_i32_e32 vcc, s8, v4
	s_or_b64 s[16:17], vcc, s[16:17]
	s_waitcnt lgkmcnt(0)
	v_div_scale_f32 v6, s[18:19], v2, v2, v5
	v_rcp_f32_e32 v7, v6
	v_div_scale_f32 v8, vcc, v5, v2, v5
	v_fma_f32 v9, -v6, v7, 1.0
	v_fmac_f32_e32 v7, v9, v7
	v_mul_f32_e32 v9, v8, v7
	v_fma_f32 v10, -v6, v9, v8
	v_fmac_f32_e32 v9, v10, v7
	v_fma_f32 v6, -v6, v9, v8
	v_div_fmas_f32 v6, v6, v7, v9
	v_div_fixup_f32 v5, v6, v2, v5
	ds_write_b32 v3, v5
	v_add_u32_e32 v3, s11, v3
	s_andn2_b64 exec, exec, s[16:17]
	s_cbranch_execnz .LBB200_10
.LBB200_11:
	s_or_b64 exec, exec, s[2:3]
	s_ashr_i32 s2, s8, 31
	s_lshr_b32 s2, s2, 29
	s_add_i32 s2, s8, s2
	s_ashr_i32 s11, s2, 3
	s_lshl_b32 s2, s8, 2
	s_add_i32 s7, s2, 0
	v_cmp_gt_u32_e32 vcc, 8, v0
	s_waitcnt lgkmcnt(0)
	s_barrier
	s_and_saveexec_b64 s[16:17], vcc
	s_cbranch_execz .LBB200_18
; %bb.12:
	s_load_dword s2, s[4:5], 0x4c
	v_mul_lo_u32 v2, v0, s11
	v_lshl_add_u32 v2, v2, 2, 0
	s_waitcnt lgkmcnt(0)
	s_and_b32 s22, s2, 0xffff
	s_cmp_gt_i32 s8, 7
	s_cselect_b64 s[2:3], -1, 0
	s_mul_i32 s18, s11, s22
	v_cndmask_b32_e64 v3, 0, 1, s[2:3]
	s_lshl_b32 s23, s18, 2
	s_mov_b64 s[18:19], 0
	v_cmp_ne_u32_e64 s[2:3], 1, v3
	v_mov_b32_e32 v3, v0
	s_branch .LBB200_14
.LBB200_13:                             ;   in Loop: Header=BB200_14 Depth=1
	v_lshl_add_u32 v5, v3, 2, s7
	v_add_u32_e32 v3, s22, v3
	v_cmp_lt_u32_e32 vcc, 7, v3
	s_or_b64 s[18:19], vcc, s[18:19]
	v_add_u32_e32 v2, s23, v2
	ds_write_b32 v5, v4
	s_andn2_b64 exec, exec, s[18:19]
	s_cbranch_execz .LBB200_18
.LBB200_14:                             ; =>This Loop Header: Depth=1
                                        ;     Child Loop BB200_16 Depth 2
	s_and_b64 vcc, exec, s[2:3]
	v_mov_b32_e32 v4, 0xff800000
	s_cbranch_vccnz .LBB200_13
; %bb.15:                               ;   in Loop: Header=BB200_14 Depth=1
	v_mul_lo_u32 v5, v3, s11
	v_add_u32_e32 v6, s11, v5
	s_mov_b64 s[20:21], 0
	v_mov_b32_e32 v4, 0xff800000
	v_mov_b32_e32 v7, v2
.LBB200_16:                             ;   Parent Loop BB200_14 Depth=1
                                        ; =>  This Inner Loop Header: Depth=2
	ds_read_b32 v8, v7
	v_add_u32_e32 v5, 1, v5
	v_cmp_ge_i32_e32 vcc, v5, v6
	s_or_b64 s[20:21], vcc, s[20:21]
	v_add_u32_e32 v7, 4, v7
	s_waitcnt lgkmcnt(0)
	v_cmp_gt_f32_e32 vcc, v8, v4
	v_cndmask_b32_e32 v4, v4, v8, vcc
	s_andn2_b64 exec, exec, s[20:21]
	s_cbranch_execnz .LBB200_16
; %bb.17:                               ;   in Loop: Header=BB200_14 Depth=1
	s_or_b64 exec, exec, s[20:21]
	s_branch .LBB200_13
.LBB200_18:
	s_or_b64 exec, exec, s[16:17]
	s_cmp_lt_i32 s10, 1
	s_waitcnt lgkmcnt(0)
	s_barrier
	s_cbranch_scc1 .LBB200_21
; %bb.19:
	v_mov_b32_e32 v2, s7
	s_mov_b32 s2, 0xff800000
	v_mov_b32_e32 v3, 0xff800000
.LBB200_20:                             ; =>This Inner Loop Header: Depth=1
	ds_read2_b32 v[4:5], v2 offset1:1
	ds_read2_b32 v[6:7], v2 offset0:2 offset1:3
	ds_read2_b32 v[8:9], v2 offset0:4 offset1:5
	;; [unrolled: 1-line block ×3, first 2 shown]
	s_waitcnt lgkmcnt(3)
	v_cmp_nlg_f32_e32 vcc, s2, v4
	v_cndmask_b32_e64 v12, 0, 1, vcc
	v_cmp_lg_f32_e32 vcc, s2, v4
	v_cndmask_b32_e32 v4, v3, v4, vcc
	v_readfirstlane_b32 s3, v12
	v_cmp_gt_f32_e32 vcc, v5, v4
	s_lshl_b32 s3, s3, 3
	v_cndmask_b32_e32 v4, v4, v5, vcc
	s_and_b64 s[16:17], vcc, exec
	s_waitcnt lgkmcnt(2)
	v_cmp_gt_f32_e32 vcc, v6, v4
	v_cndmask_b32_e32 v4, v4, v6, vcc
	s_cselect_b32 s3, 1, s3
	s_and_b64 s[16:17], vcc, exec
	v_cmp_gt_f32_e32 vcc, v7, v4
	v_cndmask_b32_e32 v4, v4, v7, vcc
	s_cselect_b32 s3, 2, s3
	s_and_b64 s[16:17], vcc, exec
	s_waitcnt lgkmcnt(1)
	v_cmp_gt_f32_e32 vcc, v8, v4
	v_cndmask_b32_e32 v4, v4, v8, vcc
	s_cselect_b32 s3, 3, s3
	s_and_b64 s[16:17], vcc, exec
	v_cmp_gt_f32_e32 vcc, v9, v4
	v_cndmask_b32_e32 v4, v4, v9, vcc
	s_cselect_b32 s3, 4, s3
	s_and_b64 s[16:17], vcc, exec
	s_waitcnt lgkmcnt(0)
	v_cmp_gt_f32_e32 vcc, v10, v4
	v_cndmask_b32_e32 v4, v4, v10, vcc
	s_cselect_b32 s3, 5, s3
	s_and_b64 s[16:17], vcc, exec
	v_cmp_ngt_f32_e32 vcc, v11, v4
	s_cselect_b32 s3, 6, s3
	s_and_b64 s[16:17], vcc, exec
	s_cselect_b32 s3, s3, 7
	s_lshl_b32 s3, s3, 2
	s_add_i32 s3, s7, s3
	s_add_i32 s10, s10, -1
	v_mov_b32_e32 v4, s3
	s_cmp_lg_u32 s10, 0
	ds_write_b32 v4, v3
	s_cbranch_scc1 .LBB200_20
.LBB200_21:
	s_and_saveexec_b64 s[2:3], s[0:1]
	s_cbranch_execz .LBB200_26
; %bb.22:
	s_abs_i32 s18, s11
	v_cvt_f32_u32_e32 v3, s18
	s_load_dword s16, s[4:5], 0x4c
	s_sub_i32 s17, 0, s18
	s_ashr_i32 s19, s11, 31
	v_rcp_iflag_f32_e32 v4, v3
	v_lshl_add_u32 v2, v0, 2, 0
	s_waitcnt lgkmcnt(0)
	s_and_b32 s21, s16, 0xffff
	s_mov_b64 s[10:11], 0
	v_mul_f32_e32 v4, 0x4f7ffffe, v4
	v_cvt_u32_f32_e32 v4, v4
	s_mov_b32 s20, 0xff800000
	v_mov_b32_e32 v3, 0xff800000
	s_lshl_b32 s22, s21, 2
	v_mul_lo_u32 v5, s17, v4
	v_mul_hi_u32 v5, v4, v5
	v_add_u32_e32 v4, v4, v5
	v_mov_b32_e32 v5, v0
	s_branch .LBB200_24
.LBB200_23:                             ;   in Loop: Header=BB200_24 Depth=1
	s_or_b64 exec, exec, s[16:17]
	v_add_u32_e32 v5, s21, v5
	v_cmp_le_i32_e32 vcc, s8, v5
	s_or_b64 s[10:11], vcc, s[10:11]
	v_add_u32_e32 v2, s22, v2
	s_andn2_b64 exec, exec, s[10:11]
	s_cbranch_execz .LBB200_26
.LBB200_24:                             ; =>This Inner Loop Header: Depth=1
	v_sub_u32_e32 v7, 0, v5
	v_max_i32_e32 v7, v5, v7
	v_mul_hi_u32 v8, v7, v4
	v_mul_lo_u32 v9, v8, s18
	v_sub_u32_e32 v7, v7, v9
	v_add_u32_e32 v9, 1, v8
	v_cmp_le_u32_e32 vcc, s18, v7
	v_cndmask_b32_e32 v8, v8, v9, vcc
	v_subrev_u32_e32 v9, s18, v7
	v_cndmask_b32_e32 v7, v7, v9, vcc
	v_ashrrev_i32_e32 v6, 31, v5
	v_add_u32_e32 v9, 1, v8
	v_cmp_le_u32_e32 vcc, s18, v7
	v_xor_b32_e32 v6, s19, v6
	v_cndmask_b32_e32 v7, v8, v9, vcc
	v_xor_b32_e32 v7, v7, v6
	v_sub_u32_e32 v6, v7, v6
	v_lshl_add_u32 v6, v6, 2, s7
	ds_read_b32 v6, v6
	s_waitcnt lgkmcnt(0)
	v_cmp_neq_f32_e32 vcc, s20, v6
	s_and_saveexec_b64 s[16:17], vcc
	s_cbranch_execz .LBB200_23
; %bb.25:                               ;   in Loop: Header=BB200_24 Depth=1
	ds_write_b32 v2, v3
	s_branch .LBB200_23
.LBB200_26:
	s_or_b64 exec, exec, s[2:3]
	s_cmp_lt_i32 s9, 1
	s_waitcnt lgkmcnt(0)
	s_barrier
	s_cbranch_scc1 .LBB200_33
; %bb.27:
	s_add_u32 s2, s4, 64
	s_addc_u32 s3, s5, 0
	s_mov_b32 s7, 0
	v_mov_b32_e32 v3, 0
	v_mov_b32_e32 v5, 0xff800000
                                        ; implicit-def: $vgpr4
                                        ; implicit-def: $vgpr2
	s_branch .LBB200_29
.LBB200_28:                             ;   in Loop: Header=BB200_29 Depth=1
	s_or_b64 exec, exec, s[10:11]
	v_mov_b32_dpp v9, v7 quad_perm:[1,0,3,2] row_mask:0xf bank_mask:0xf
	v_cmp_lt_f32_e32 vcc, v7, v9
	v_cndmask_b32_e32 v7, v7, v9, vcc
	v_mov_b32_dpp v8, v6 quad_perm:[1,0,3,2] row_mask:0xf bank_mask:0xf
	v_cndmask_b32_e32 v6, v6, v8, vcc
	v_mov_b32_dpp v9, v7 quad_perm:[2,3,0,1] row_mask:0xf bank_mask:0xf
	v_cmp_gt_f32_e32 vcc, v9, v7
	v_cndmask_b32_e32 v7, v7, v9, vcc
	v_mov_b32_dpp v8, v6 quad_perm:[2,3,0,1] row_mask:0xf bank_mask:0xf
	v_cndmask_b32_e32 v6, v6, v8, vcc
	v_mov_b32_dpp v9, v7 row_half_mirror row_mask:0xf bank_mask:0xf
	v_cmp_gt_f32_e32 vcc, v9, v7
	v_cndmask_b32_e32 v7, v7, v9, vcc
	v_mov_b32_dpp v8, v6 row_half_mirror row_mask:0xf bank_mask:0xf
	v_cndmask_b32_e32 v6, v6, v8, vcc
	v_mov_b32_dpp v9, v7 row_mirror row_mask:0xf bank_mask:0xf
	v_cmp_gt_f32_e32 vcc, v9, v7
	v_cndmask_b32_e32 v7, v7, v9, vcc
	v_mov_b32_dpp v8, v6 row_mirror row_mask:0xf bank_mask:0xf
	v_cndmask_b32_e32 v6, v6, v8, vcc
	v_mov_b32_dpp v9, v7 row_bcast:15 row_mask:0xf bank_mask:0xf
	v_cmp_gt_f32_e32 vcc, v9, v7
	v_mov_b32_dpp v8, v6 row_bcast:15 row_mask:0xf bank_mask:0xf
	v_cndmask_b32_e32 v7, v7, v9, vcc
	v_cndmask_b32_e32 v6, v6, v8, vcc
	s_nop 0
	v_mov_b32_dpp v9, v7 row_bcast:31 row_mask:0xf bank_mask:0xf
	v_mov_b32_dpp v8, v6 row_bcast:31 row_mask:0xf bank_mask:0xf
	v_cmp_gt_f32_e32 vcc, v9, v7
	v_cndmask_b32_e32 v6, v6, v8, vcc
	v_readlane_b32 s11, v6, 63
	s_lshl_b32 s16, s11, 2
	s_add_i32 s16, s16, 0
	v_cndmask_b32_e32 v7, v7, v9, vcc
	v_mov_b32_e32 v6, s16
	v_readlane_b32 s10, v7, 63
	ds_write_b32 v6, v5
	v_mov_b32_e32 v6, s11
	v_cmp_eq_u32_e32 vcc, s7, v0
	v_cndmask_b32_e32 v2, v2, v6, vcc
	v_mov_b32_e32 v6, s10
	s_add_i32 s7, s7, 1
	v_cndmask_b32_e32 v4, v4, v6, vcc
	s_cmp_eq_u32 s7, s9
	v_add_f32_e32 v3, s10, v3
	s_cbranch_scc1 .LBB200_34
.LBB200_29:                             ; =>This Loop Header: Depth=1
                                        ;     Child Loop BB200_31 Depth 2
	v_mov_b32_e32 v6, s7
	v_mov_b32_e32 v7, 0xff800000
	s_and_saveexec_b64 s[10:11], s[0:1]
	s_cbranch_execz .LBB200_28
; %bb.30:                               ;   in Loop: Header=BB200_29 Depth=1
	s_load_dword s18, s[2:3], 0xc
	s_mov_b64 s[16:17], 0
	v_mov_b32_e32 v6, s7
	v_mov_b32_e32 v7, 0xff800000
	;; [unrolled: 1-line block ×3, first 2 shown]
	s_waitcnt lgkmcnt(0)
	s_and_b32 s18, s18, 0xffff
	s_lshl_b32 s19, s18, 2
	v_mov_b32_e32 v9, v0
.LBB200_31:                             ;   Parent Loop BB200_29 Depth=1
                                        ; =>  This Inner Loop Header: Depth=2
	ds_read_b32 v10, v8
	v_add_u32_e32 v8, s19, v8
	s_waitcnt lgkmcnt(0)
	v_cmp_gt_f32_e32 vcc, v10, v7
	v_cndmask_b32_e32 v6, v6, v9, vcc
	v_add_u32_e32 v9, s18, v9
	v_cndmask_b32_e32 v7, v7, v10, vcc
	v_cmp_le_i32_e32 vcc, s8, v9
	s_or_b64 s[16:17], vcc, s[16:17]
	s_andn2_b64 exec, exec, s[16:17]
	s_cbranch_execnz .LBB200_31
; %bb.32:                               ;   in Loop: Header=BB200_29 Depth=1
	s_or_b64 exec, exec, s[16:17]
	s_branch .LBB200_28
.LBB200_33:
	v_mov_b32_e32 v3, 0
                                        ; implicit-def: $vgpr4
                                        ; implicit-def: $vgpr2
.LBB200_34:
	v_cmp_gt_i32_e32 vcc, s9, v0
	s_and_saveexec_b64 s[0:1], vcc
	s_cbranch_execz .LBB200_37
; %bb.35:
	s_load_dword s7, s[4:5], 0x38
	s_load_dwordx2 s[0:1], s[4:5], 0x20
	s_load_dword s8, s[4:5], 0x4c
	s_waitcnt lgkmcnt(0)
	v_div_scale_f32 v1, s[2:3], v3, v3, s7
	v_rcp_f32_e32 v5, v1
	v_div_scale_f32 v6, vcc, s7, v3, s7
	s_ashr_i32 s2, s6, 31
	v_fma_f32 v7, -v1, v5, 1.0
	v_fmac_f32_e32 v5, v7, v5
	v_mul_f32_e32 v7, v6, v5
	v_fma_f32 v8, -v1, v7, v6
	v_fmac_f32_e32 v7, v8, v5
	v_fma_f32 v1, -v1, v7, v6
	s_mul_i32 s1, s6, s1
	s_mul_hi_u32 s3, s6, s0
	v_div_fmas_f32 v1, v1, v5, v7
	s_add_i32 s1, s3, s1
	s_mul_i32 s2, s2, s0
	v_div_fixup_f32 v1, v1, v3, s7
	s_add_i32 s4, s1, s2
	v_mul_f32_e32 v1, v1, v4
	s_mul_i32 s2, s6, s0
	s_and_b32 s3, s8, 0xffff
	s_mov_b64 s[0:1], 0
	v_mov_b32_e32 v3, s4
	v_mov_b32_e32 v4, s13
	;; [unrolled: 1-line block ×3, first 2 shown]
.LBB200_36:                             ; =>This Inner Loop Header: Depth=1
	v_ashrrev_i32_e32 v7, 31, v0
	v_add_co_u32_e32 v6, vcc, s2, v0
	v_addc_co_u32_e32 v7, vcc, v3, v7, vcc
	v_add_u32_e32 v0, s3, v0
	v_cmp_le_i32_e32 vcc, s9, v0
	v_lshlrev_b64 v[6:7], 2, v[6:7]
	s_or_b64 s[0:1], vcc, s[0:1]
	v_add_co_u32_e32 v8, vcc, s12, v6
	v_addc_co_u32_e32 v9, vcc, v4, v7, vcc
	v_add_co_u32_e32 v6, vcc, s14, v6
	v_addc_co_u32_e32 v7, vcc, v5, v7, vcc
	global_store_dword v[8:9], v1, off
	global_store_dword v[6:7], v2, off
	s_andn2_b64 exec, exec, s[0:1]
	s_cbranch_execnz .LBB200_36
.LBB200_37:
	s_endpgm
	.section	.rodata,"a",@progbits
	.p2align	6, 0x0
	.amdhsa_kernel _ZN5aiter19grouped_topk_kernelIN3c104HalfEDv1_fLi8ELb1ELb0ELb1EEEvPT_PKS4_PfPimiiiif
		.amdhsa_group_segment_fixed_size 0
		.amdhsa_private_segment_fixed_size 0
		.amdhsa_kernarg_size 320
		.amdhsa_user_sgpr_count 6
		.amdhsa_user_sgpr_private_segment_buffer 1
		.amdhsa_user_sgpr_dispatch_ptr 0
		.amdhsa_user_sgpr_queue_ptr 0
		.amdhsa_user_sgpr_kernarg_segment_ptr 1
		.amdhsa_user_sgpr_dispatch_id 0
		.amdhsa_user_sgpr_flat_scratch_init 0
		.amdhsa_user_sgpr_kernarg_preload_length 0
		.amdhsa_user_sgpr_kernarg_preload_offset 0
		.amdhsa_user_sgpr_private_segment_size 0
		.amdhsa_uses_dynamic_stack 0
		.amdhsa_system_sgpr_private_segment_wavefront_offset 0
		.amdhsa_system_sgpr_workgroup_id_x 1
		.amdhsa_system_sgpr_workgroup_id_y 0
		.amdhsa_system_sgpr_workgroup_id_z 0
		.amdhsa_system_sgpr_workgroup_info 0
		.amdhsa_system_vgpr_workitem_id 0
		.amdhsa_next_free_vgpr 13
		.amdhsa_next_free_sgpr 24
		.amdhsa_accum_offset 16
		.amdhsa_reserve_vcc 1
		.amdhsa_reserve_flat_scratch 0
		.amdhsa_float_round_mode_32 0
		.amdhsa_float_round_mode_16_64 0
		.amdhsa_float_denorm_mode_32 3
		.amdhsa_float_denorm_mode_16_64 3
		.amdhsa_dx10_clamp 1
		.amdhsa_ieee_mode 1
		.amdhsa_fp16_overflow 0
		.amdhsa_tg_split 0
		.amdhsa_exception_fp_ieee_invalid_op 0
		.amdhsa_exception_fp_denorm_src 0
		.amdhsa_exception_fp_ieee_div_zero 0
		.amdhsa_exception_fp_ieee_overflow 0
		.amdhsa_exception_fp_ieee_underflow 0
		.amdhsa_exception_fp_ieee_inexact 0
		.amdhsa_exception_int_div_zero 0
	.end_amdhsa_kernel
	.section	.text._ZN5aiter19grouped_topk_kernelIN3c104HalfEDv1_fLi8ELb1ELb0ELb1EEEvPT_PKS4_PfPimiiiif,"axG",@progbits,_ZN5aiter19grouped_topk_kernelIN3c104HalfEDv1_fLi8ELb1ELb0ELb1EEEvPT_PKS4_PfPimiiiif,comdat
.Lfunc_end200:
	.size	_ZN5aiter19grouped_topk_kernelIN3c104HalfEDv1_fLi8ELb1ELb0ELb1EEEvPT_PKS4_PfPimiiiif, .Lfunc_end200-_ZN5aiter19grouped_topk_kernelIN3c104HalfEDv1_fLi8ELb1ELb0ELb1EEEvPT_PKS4_PfPimiiiif
                                        ; -- End function
	.section	.AMDGPU.csdata,"",@progbits
; Kernel info:
; codeLenInByte = 2304
; NumSgprs: 28
; NumVgprs: 13
; NumAgprs: 0
; TotalNumVgprs: 13
; ScratchSize: 0
; MemoryBound: 0
; FloatMode: 240
; IeeeMode: 1
; LDSByteSize: 0 bytes/workgroup (compile time only)
; SGPRBlocks: 3
; VGPRBlocks: 1
; NumSGPRsForWavesPerEU: 28
; NumVGPRsForWavesPerEU: 13
; AccumOffset: 16
; Occupancy: 8
; WaveLimiterHint : 0
; COMPUTE_PGM_RSRC2:SCRATCH_EN: 0
; COMPUTE_PGM_RSRC2:USER_SGPR: 6
; COMPUTE_PGM_RSRC2:TRAP_HANDLER: 0
; COMPUTE_PGM_RSRC2:TGID_X_EN: 1
; COMPUTE_PGM_RSRC2:TGID_Y_EN: 0
; COMPUTE_PGM_RSRC2:TGID_Z_EN: 0
; COMPUTE_PGM_RSRC2:TIDIG_COMP_CNT: 0
; COMPUTE_PGM_RSRC3_GFX90A:ACCUM_OFFSET: 3
; COMPUTE_PGM_RSRC3_GFX90A:TG_SPLIT: 0
	.section	.text._ZN5aiter19grouped_topk_kernelIN3c108BFloat16EDv1_fLi8ELb1ELb0ELb1EEEvPT_PKS4_PfPimiiiif,"axG",@progbits,_ZN5aiter19grouped_topk_kernelIN3c108BFloat16EDv1_fLi8ELb1ELb0ELb1EEEvPT_PKS4_PfPimiiiif,comdat
	.protected	_ZN5aiter19grouped_topk_kernelIN3c108BFloat16EDv1_fLi8ELb1ELb0ELb1EEEvPT_PKS4_PfPimiiiif ; -- Begin function _ZN5aiter19grouped_topk_kernelIN3c108BFloat16EDv1_fLi8ELb1ELb0ELb1EEEvPT_PKS4_PfPimiiiif
	.globl	_ZN5aiter19grouped_topk_kernelIN3c108BFloat16EDv1_fLi8ELb1ELb0ELb1EEEvPT_PKS4_PfPimiiiif
	.p2align	8
	.type	_ZN5aiter19grouped_topk_kernelIN3c108BFloat16EDv1_fLi8ELb1ELb0ELb1EEEvPT_PKS4_PfPimiiiif,@function
_ZN5aiter19grouped_topk_kernelIN3c108BFloat16EDv1_fLi8ELb1ELb0ELb1EEEvPT_PKS4_PfPimiiiif: ; @_ZN5aiter19grouped_topk_kernelIN3c108BFloat16EDv1_fLi8ELb1ELb0ELb1EEEvPT_PKS4_PfPimiiiif
; %bb.0:
	s_load_dwordx4 s[8:11], s[4:5], 0x28
	s_load_dwordx4 s[12:15], s[4:5], 0x10
	v_mov_b32_e32 v2, 0xff800000
	v_lshl_add_u32 v1, v0, 2, 0
	s_waitcnt lgkmcnt(0)
	v_cmp_gt_i32_e64 s[0:1], s8, v0
	s_and_saveexec_b64 s[2:3], s[0:1]
	s_cbranch_execz .LBB201_4
; %bb.1:
	s_load_dword s11, s[4:5], 0x4c
	s_load_dwordx2 s[16:17], s[4:5], 0x0
	s_mul_i32 s7, s6, s8
	v_lshl_add_u32 v3, v0, 2, 0
	s_mov_b64 s[18:19], 0
	s_waitcnt lgkmcnt(0)
	s_and_b32 s11, s11, 0xffff
	s_lshl_b32 s20, s11, 2
	v_mov_b32_e32 v2, 0xff800000
	v_mov_b32_e32 v4, s17
	;; [unrolled: 1-line block ×3, first 2 shown]
.LBB201_2:                              ; =>This Inner Loop Header: Depth=1
	v_add_u32_e32 v6, s7, v5
	v_ashrrev_i32_e32 v7, 31, v6
	v_lshlrev_b64 v[6:7], 1, v[6:7]
	v_add_co_u32_e32 v6, vcc, s16, v6
	v_addc_co_u32_e32 v7, vcc, v4, v7, vcc
	global_load_ushort v6, v[6:7], off
	v_add_u32_e32 v5, s11, v5
	v_cmp_le_i32_e32 vcc, s8, v5
	s_or_b64 s[18:19], vcc, s[18:19]
	s_waitcnt vmcnt(0)
	v_lshrrev_b16_e32 v7, 8, v6
	v_and_b32_e32 v6, 0xff, v6
	v_lshlrev_b32_e32 v6, 16, v6
	v_lshl_or_b32 v6, v7, 24, v6
	v_cmp_lt_f32_e32 vcc, v2, v6
	ds_write_b32 v3, v6
	v_cndmask_b32_e32 v2, v2, v6, vcc
	v_add_u32_e32 v3, s20, v3
	s_andn2_b64 exec, exec, s[18:19]
	s_cbranch_execnz .LBB201_2
; %bb.3:
	s_or_b64 exec, exec, s[18:19]
.LBB201_4:
	s_or_b64 exec, exec, s[2:3]
	v_mov_b32_dpp v3, v2 quad_perm:[1,0,3,2] row_mask:0xf bank_mask:0xf
	v_cmp_lt_f32_e32 vcc, v2, v3
	v_cndmask_b32_e32 v2, v2, v3, vcc
	v_bfrev_b32_e32 v4, 0.5
	s_waitcnt lgkmcnt(0)
	v_mov_b32_dpp v3, v2 quad_perm:[2,3,0,1] row_mask:0xf bank_mask:0xf
	v_cmp_lt_f32_e32 vcc, v2, v3
	v_cndmask_b32_e32 v2, v2, v3, vcc
	s_barrier
	s_nop 0
	v_mov_b32_dpp v3, v2 row_half_mirror row_mask:0xf bank_mask:0xf
	v_cmp_lt_f32_e32 vcc, v2, v3
	v_cndmask_b32_e32 v2, v2, v3, vcc
	s_nop 1
	v_mov_b32_dpp v3, v2 row_mirror row_mask:0xf bank_mask:0xf
	v_cmp_lt_f32_e32 vcc, v2, v3
	v_cndmask_b32_e32 v2, v2, v3, vcc
	s_nop 1
	v_mov_b32_dpp v3, v2 row_bcast:15 row_mask:0xf bank_mask:0xf
	v_cmp_lt_f32_e32 vcc, v2, v3
	v_cndmask_b32_e32 v2, v2, v3, vcc
	s_nop 1
	v_mov_b32_dpp v3, v2 row_bcast:31 row_mask:0xf bank_mask:0xf
	v_cmp_lt_f32_e32 vcc, v2, v3
	v_cndmask_b32_e32 v3, v2, v3, vcc
	v_mbcnt_lo_u32_b32 v2, -1, 0
	v_mbcnt_hi_u32_b32 v2, -1, v2
	v_lshl_or_b32 v2, v2, 2, v4
	ds_bpermute_b32 v4, v2, v3
	v_mov_b32_e32 v3, 0
	s_and_saveexec_b64 s[2:3], s[0:1]
	s_cbranch_execz .LBB201_8
; %bb.5:
	s_load_dword s11, s[4:5], 0x4c
	v_lshl_add_u32 v5, v0, 2, 0
	s_mov_b64 s[16:17], 0
	v_mov_b32_e32 v3, 0
	s_mov_b32 s7, 0x3fb8aa3b
	s_waitcnt lgkmcnt(0)
	s_and_b32 s11, s11, 0xffff
	s_lshl_b32 s18, s11, 2
	s_mov_b32 s19, 0xc2ce8ed0
	s_mov_b32 s20, 0x42b17218
	v_mov_b32_e32 v6, 0x7f800000
	v_mov_b32_e32 v7, v0
.LBB201_6:                              ; =>This Inner Loop Header: Depth=1
	ds_read_b32 v8, v5
	v_add_u32_e32 v7, s11, v7
	s_waitcnt lgkmcnt(0)
	v_sub_f32_e32 v8, v8, v4
	v_mul_f32_e32 v9, 0x3fb8aa3b, v8
	v_fma_f32 v10, v8, s7, -v9
	v_rndne_f32_e32 v11, v9
	v_fmac_f32_e32 v10, 0x32a5705f, v8
	v_sub_f32_e32 v9, v9, v11
	v_add_f32_e32 v9, v9, v10
	v_cvt_i32_f32_e32 v11, v11
	v_exp_f32_e32 v9, v9
	v_cmp_ngt_f32_e32 vcc, s19, v8
	v_ldexp_f32 v9, v9, v11
	v_cndmask_b32_e32 v9, 0, v9, vcc
	v_cmp_nlt_f32_e32 vcc, s20, v8
	v_cndmask_b32_e32 v8, v6, v9, vcc
	v_cmp_le_i32_e32 vcc, s8, v7
	ds_write_b32 v5, v8
	v_add_f32_e32 v3, v3, v8
	s_or_b64 s[16:17], vcc, s[16:17]
	v_add_u32_e32 v5, s18, v5
	s_andn2_b64 exec, exec, s[16:17]
	s_cbranch_execnz .LBB201_6
; %bb.7:
	s_or_b64 exec, exec, s[16:17]
.LBB201_8:
	s_or_b64 exec, exec, s[2:3]
	s_waitcnt lgkmcnt(0)
	v_mov_b32_dpp v4, v3 quad_perm:[1,0,3,2] row_mask:0xf bank_mask:0xf
	v_add_f32_e32 v3, v3, v4
	s_barrier
	s_nop 0
	v_mov_b32_dpp v4, v3 quad_perm:[2,3,0,1] row_mask:0xf bank_mask:0xf
	v_add_f32_e32 v3, v3, v4
	s_nop 1
	v_mov_b32_dpp v4, v3 row_half_mirror row_mask:0xf bank_mask:0xf
	v_add_f32_e32 v3, v3, v4
	s_nop 1
	v_mov_b32_dpp v4, v3 row_mirror row_mask:0xf bank_mask:0xf
	v_add_f32_e32 v3, v3, v4
	s_nop 1
	v_mov_b32_dpp v4, v3 row_bcast:15 row_mask:0xf bank_mask:0xf
	v_add_f32_e32 v3, v3, v4
	s_nop 1
	v_mov_b32_dpp v4, v3 row_bcast:31 row_mask:0xf bank_mask:0xf
	v_add_f32_e32 v3, v3, v4
	ds_bpermute_b32 v2, v2, v3
	s_and_saveexec_b64 s[2:3], s[0:1]
	s_cbranch_execz .LBB201_11
; %bb.9:
	s_load_dword s7, s[4:5], 0x4c
	v_lshl_add_u32 v3, v0, 2, 0
	s_mov_b64 s[16:17], 0
	v_mov_b32_e32 v4, v0
	s_waitcnt lgkmcnt(0)
	s_and_b32 s7, s7, 0xffff
	s_lshl_b32 s11, s7, 2
.LBB201_10:                             ; =>This Inner Loop Header: Depth=1
	ds_read_b32 v5, v3
	v_add_u32_e32 v4, s7, v4
	v_cmp_le_i32_e32 vcc, s8, v4
	s_or_b64 s[16:17], vcc, s[16:17]
	s_waitcnt lgkmcnt(0)
	v_div_scale_f32 v6, s[18:19], v2, v2, v5
	v_rcp_f32_e32 v7, v6
	v_div_scale_f32 v8, vcc, v5, v2, v5
	v_fma_f32 v9, -v6, v7, 1.0
	v_fmac_f32_e32 v7, v9, v7
	v_mul_f32_e32 v9, v8, v7
	v_fma_f32 v10, -v6, v9, v8
	v_fmac_f32_e32 v9, v10, v7
	v_fma_f32 v6, -v6, v9, v8
	v_div_fmas_f32 v6, v6, v7, v9
	v_div_fixup_f32 v5, v6, v2, v5
	ds_write_b32 v3, v5
	v_add_u32_e32 v3, s11, v3
	s_andn2_b64 exec, exec, s[16:17]
	s_cbranch_execnz .LBB201_10
.LBB201_11:
	s_or_b64 exec, exec, s[2:3]
	s_ashr_i32 s2, s8, 31
	s_lshr_b32 s2, s2, 29
	s_add_i32 s2, s8, s2
	s_ashr_i32 s11, s2, 3
	s_lshl_b32 s2, s8, 2
	s_add_i32 s7, s2, 0
	v_cmp_gt_u32_e32 vcc, 8, v0
	s_waitcnt lgkmcnt(0)
	s_barrier
	s_and_saveexec_b64 s[16:17], vcc
	s_cbranch_execz .LBB201_18
; %bb.12:
	s_load_dword s2, s[4:5], 0x4c
	v_mul_lo_u32 v2, v0, s11
	v_lshl_add_u32 v2, v2, 2, 0
	s_waitcnt lgkmcnt(0)
	s_and_b32 s22, s2, 0xffff
	s_cmp_gt_i32 s8, 7
	s_cselect_b64 s[2:3], -1, 0
	s_mul_i32 s18, s11, s22
	v_cndmask_b32_e64 v3, 0, 1, s[2:3]
	s_lshl_b32 s23, s18, 2
	s_mov_b64 s[18:19], 0
	v_cmp_ne_u32_e64 s[2:3], 1, v3
	v_mov_b32_e32 v3, v0
	s_branch .LBB201_14
.LBB201_13:                             ;   in Loop: Header=BB201_14 Depth=1
	v_lshl_add_u32 v5, v3, 2, s7
	v_add_u32_e32 v3, s22, v3
	v_cmp_lt_u32_e32 vcc, 7, v3
	s_or_b64 s[18:19], vcc, s[18:19]
	v_add_u32_e32 v2, s23, v2
	ds_write_b32 v5, v4
	s_andn2_b64 exec, exec, s[18:19]
	s_cbranch_execz .LBB201_18
.LBB201_14:                             ; =>This Loop Header: Depth=1
                                        ;     Child Loop BB201_16 Depth 2
	s_and_b64 vcc, exec, s[2:3]
	v_mov_b32_e32 v4, 0xff800000
	s_cbranch_vccnz .LBB201_13
; %bb.15:                               ;   in Loop: Header=BB201_14 Depth=1
	v_mul_lo_u32 v5, v3, s11
	v_add_u32_e32 v6, s11, v5
	s_mov_b64 s[20:21], 0
	v_mov_b32_e32 v4, 0xff800000
	v_mov_b32_e32 v7, v2
.LBB201_16:                             ;   Parent Loop BB201_14 Depth=1
                                        ; =>  This Inner Loop Header: Depth=2
	ds_read_b32 v8, v7
	v_add_u32_e32 v5, 1, v5
	v_cmp_ge_i32_e32 vcc, v5, v6
	s_or_b64 s[20:21], vcc, s[20:21]
	v_add_u32_e32 v7, 4, v7
	s_waitcnt lgkmcnt(0)
	v_cmp_gt_f32_e32 vcc, v8, v4
	v_cndmask_b32_e32 v4, v4, v8, vcc
	s_andn2_b64 exec, exec, s[20:21]
	s_cbranch_execnz .LBB201_16
; %bb.17:                               ;   in Loop: Header=BB201_14 Depth=1
	s_or_b64 exec, exec, s[20:21]
	s_branch .LBB201_13
.LBB201_18:
	s_or_b64 exec, exec, s[16:17]
	s_cmp_lt_i32 s10, 1
	s_waitcnt lgkmcnt(0)
	s_barrier
	s_cbranch_scc1 .LBB201_21
; %bb.19:
	v_mov_b32_e32 v2, s7
	s_mov_b32 s2, 0xff800000
	v_mov_b32_e32 v3, 0xff800000
.LBB201_20:                             ; =>This Inner Loop Header: Depth=1
	ds_read2_b32 v[4:5], v2 offset1:1
	ds_read2_b32 v[6:7], v2 offset0:2 offset1:3
	ds_read2_b32 v[8:9], v2 offset0:4 offset1:5
	;; [unrolled: 1-line block ×3, first 2 shown]
	s_waitcnt lgkmcnt(3)
	v_cmp_nlg_f32_e32 vcc, s2, v4
	v_cndmask_b32_e64 v12, 0, 1, vcc
	v_cmp_lg_f32_e32 vcc, s2, v4
	v_cndmask_b32_e32 v4, v3, v4, vcc
	v_readfirstlane_b32 s3, v12
	v_cmp_gt_f32_e32 vcc, v5, v4
	s_lshl_b32 s3, s3, 3
	v_cndmask_b32_e32 v4, v4, v5, vcc
	s_and_b64 s[16:17], vcc, exec
	s_waitcnt lgkmcnt(2)
	v_cmp_gt_f32_e32 vcc, v6, v4
	v_cndmask_b32_e32 v4, v4, v6, vcc
	s_cselect_b32 s3, 1, s3
	s_and_b64 s[16:17], vcc, exec
	v_cmp_gt_f32_e32 vcc, v7, v4
	v_cndmask_b32_e32 v4, v4, v7, vcc
	s_cselect_b32 s3, 2, s3
	s_and_b64 s[16:17], vcc, exec
	s_waitcnt lgkmcnt(1)
	v_cmp_gt_f32_e32 vcc, v8, v4
	v_cndmask_b32_e32 v4, v4, v8, vcc
	s_cselect_b32 s3, 3, s3
	s_and_b64 s[16:17], vcc, exec
	v_cmp_gt_f32_e32 vcc, v9, v4
	v_cndmask_b32_e32 v4, v4, v9, vcc
	s_cselect_b32 s3, 4, s3
	s_and_b64 s[16:17], vcc, exec
	s_waitcnt lgkmcnt(0)
	v_cmp_gt_f32_e32 vcc, v10, v4
	v_cndmask_b32_e32 v4, v4, v10, vcc
	s_cselect_b32 s3, 5, s3
	s_and_b64 s[16:17], vcc, exec
	v_cmp_ngt_f32_e32 vcc, v11, v4
	s_cselect_b32 s3, 6, s3
	s_and_b64 s[16:17], vcc, exec
	s_cselect_b32 s3, s3, 7
	s_lshl_b32 s3, s3, 2
	s_add_i32 s3, s7, s3
	s_add_i32 s10, s10, -1
	v_mov_b32_e32 v4, s3
	s_cmp_lg_u32 s10, 0
	ds_write_b32 v4, v3
	s_cbranch_scc1 .LBB201_20
.LBB201_21:
	s_and_saveexec_b64 s[2:3], s[0:1]
	s_cbranch_execz .LBB201_26
; %bb.22:
	s_abs_i32 s18, s11
	v_cvt_f32_u32_e32 v3, s18
	s_load_dword s16, s[4:5], 0x4c
	s_sub_i32 s17, 0, s18
	s_ashr_i32 s19, s11, 31
	v_rcp_iflag_f32_e32 v4, v3
	v_lshl_add_u32 v2, v0, 2, 0
	s_waitcnt lgkmcnt(0)
	s_and_b32 s21, s16, 0xffff
	s_mov_b64 s[10:11], 0
	v_mul_f32_e32 v4, 0x4f7ffffe, v4
	v_cvt_u32_f32_e32 v4, v4
	s_mov_b32 s20, 0xff800000
	v_mov_b32_e32 v3, 0xff800000
	s_lshl_b32 s22, s21, 2
	v_mul_lo_u32 v5, s17, v4
	v_mul_hi_u32 v5, v4, v5
	v_add_u32_e32 v4, v4, v5
	v_mov_b32_e32 v5, v0
	s_branch .LBB201_24
.LBB201_23:                             ;   in Loop: Header=BB201_24 Depth=1
	s_or_b64 exec, exec, s[16:17]
	v_add_u32_e32 v5, s21, v5
	v_cmp_le_i32_e32 vcc, s8, v5
	s_or_b64 s[10:11], vcc, s[10:11]
	v_add_u32_e32 v2, s22, v2
	s_andn2_b64 exec, exec, s[10:11]
	s_cbranch_execz .LBB201_26
.LBB201_24:                             ; =>This Inner Loop Header: Depth=1
	v_sub_u32_e32 v7, 0, v5
	v_max_i32_e32 v7, v5, v7
	v_mul_hi_u32 v8, v7, v4
	v_mul_lo_u32 v9, v8, s18
	v_sub_u32_e32 v7, v7, v9
	v_add_u32_e32 v9, 1, v8
	v_cmp_le_u32_e32 vcc, s18, v7
	v_cndmask_b32_e32 v8, v8, v9, vcc
	v_subrev_u32_e32 v9, s18, v7
	v_cndmask_b32_e32 v7, v7, v9, vcc
	v_ashrrev_i32_e32 v6, 31, v5
	v_add_u32_e32 v9, 1, v8
	v_cmp_le_u32_e32 vcc, s18, v7
	v_xor_b32_e32 v6, s19, v6
	v_cndmask_b32_e32 v7, v8, v9, vcc
	v_xor_b32_e32 v7, v7, v6
	v_sub_u32_e32 v6, v7, v6
	v_lshl_add_u32 v6, v6, 2, s7
	ds_read_b32 v6, v6
	s_waitcnt lgkmcnt(0)
	v_cmp_neq_f32_e32 vcc, s20, v6
	s_and_saveexec_b64 s[16:17], vcc
	s_cbranch_execz .LBB201_23
; %bb.25:                               ;   in Loop: Header=BB201_24 Depth=1
	ds_write_b32 v2, v3
	s_branch .LBB201_23
.LBB201_26:
	s_or_b64 exec, exec, s[2:3]
	s_cmp_lt_i32 s9, 1
	s_waitcnt lgkmcnt(0)
	s_barrier
	s_cbranch_scc1 .LBB201_33
; %bb.27:
	s_add_u32 s2, s4, 64
	s_addc_u32 s3, s5, 0
	s_mov_b32 s7, 0
	v_mov_b32_e32 v3, 0
	v_mov_b32_e32 v5, 0xff800000
                                        ; implicit-def: $vgpr4
                                        ; implicit-def: $vgpr2
	s_branch .LBB201_29
.LBB201_28:                             ;   in Loop: Header=BB201_29 Depth=1
	s_or_b64 exec, exec, s[10:11]
	v_mov_b32_dpp v9, v7 quad_perm:[1,0,3,2] row_mask:0xf bank_mask:0xf
	v_cmp_lt_f32_e32 vcc, v7, v9
	v_cndmask_b32_e32 v7, v7, v9, vcc
	v_mov_b32_dpp v8, v6 quad_perm:[1,0,3,2] row_mask:0xf bank_mask:0xf
	v_cndmask_b32_e32 v6, v6, v8, vcc
	v_mov_b32_dpp v9, v7 quad_perm:[2,3,0,1] row_mask:0xf bank_mask:0xf
	v_cmp_gt_f32_e32 vcc, v9, v7
	v_cndmask_b32_e32 v7, v7, v9, vcc
	v_mov_b32_dpp v8, v6 quad_perm:[2,3,0,1] row_mask:0xf bank_mask:0xf
	v_cndmask_b32_e32 v6, v6, v8, vcc
	v_mov_b32_dpp v9, v7 row_half_mirror row_mask:0xf bank_mask:0xf
	v_cmp_gt_f32_e32 vcc, v9, v7
	v_cndmask_b32_e32 v7, v7, v9, vcc
	v_mov_b32_dpp v8, v6 row_half_mirror row_mask:0xf bank_mask:0xf
	v_cndmask_b32_e32 v6, v6, v8, vcc
	v_mov_b32_dpp v9, v7 row_mirror row_mask:0xf bank_mask:0xf
	v_cmp_gt_f32_e32 vcc, v9, v7
	v_cndmask_b32_e32 v7, v7, v9, vcc
	v_mov_b32_dpp v8, v6 row_mirror row_mask:0xf bank_mask:0xf
	v_cndmask_b32_e32 v6, v6, v8, vcc
	v_mov_b32_dpp v9, v7 row_bcast:15 row_mask:0xf bank_mask:0xf
	v_cmp_gt_f32_e32 vcc, v9, v7
	v_mov_b32_dpp v8, v6 row_bcast:15 row_mask:0xf bank_mask:0xf
	v_cndmask_b32_e32 v7, v7, v9, vcc
	v_cndmask_b32_e32 v6, v6, v8, vcc
	s_nop 0
	v_mov_b32_dpp v9, v7 row_bcast:31 row_mask:0xf bank_mask:0xf
	v_mov_b32_dpp v8, v6 row_bcast:31 row_mask:0xf bank_mask:0xf
	v_cmp_gt_f32_e32 vcc, v9, v7
	v_cndmask_b32_e32 v6, v6, v8, vcc
	v_readlane_b32 s11, v6, 63
	s_lshl_b32 s16, s11, 2
	s_add_i32 s16, s16, 0
	v_cndmask_b32_e32 v7, v7, v9, vcc
	v_mov_b32_e32 v6, s16
	v_readlane_b32 s10, v7, 63
	ds_write_b32 v6, v5
	v_mov_b32_e32 v6, s11
	v_cmp_eq_u32_e32 vcc, s7, v0
	v_cndmask_b32_e32 v2, v2, v6, vcc
	v_mov_b32_e32 v6, s10
	s_add_i32 s7, s7, 1
	v_cndmask_b32_e32 v4, v4, v6, vcc
	s_cmp_eq_u32 s7, s9
	v_add_f32_e32 v3, s10, v3
	s_cbranch_scc1 .LBB201_34
.LBB201_29:                             ; =>This Loop Header: Depth=1
                                        ;     Child Loop BB201_31 Depth 2
	v_mov_b32_e32 v6, s7
	v_mov_b32_e32 v7, 0xff800000
	s_and_saveexec_b64 s[10:11], s[0:1]
	s_cbranch_execz .LBB201_28
; %bb.30:                               ;   in Loop: Header=BB201_29 Depth=1
	s_load_dword s18, s[2:3], 0xc
	s_mov_b64 s[16:17], 0
	v_mov_b32_e32 v6, s7
	v_mov_b32_e32 v7, 0xff800000
	;; [unrolled: 1-line block ×3, first 2 shown]
	s_waitcnt lgkmcnt(0)
	s_and_b32 s18, s18, 0xffff
	s_lshl_b32 s19, s18, 2
	v_mov_b32_e32 v9, v0
.LBB201_31:                             ;   Parent Loop BB201_29 Depth=1
                                        ; =>  This Inner Loop Header: Depth=2
	ds_read_b32 v10, v8
	v_add_u32_e32 v8, s19, v8
	s_waitcnt lgkmcnt(0)
	v_cmp_gt_f32_e32 vcc, v10, v7
	v_cndmask_b32_e32 v6, v6, v9, vcc
	v_add_u32_e32 v9, s18, v9
	v_cndmask_b32_e32 v7, v7, v10, vcc
	v_cmp_le_i32_e32 vcc, s8, v9
	s_or_b64 s[16:17], vcc, s[16:17]
	s_andn2_b64 exec, exec, s[16:17]
	s_cbranch_execnz .LBB201_31
; %bb.32:                               ;   in Loop: Header=BB201_29 Depth=1
	s_or_b64 exec, exec, s[16:17]
	s_branch .LBB201_28
.LBB201_33:
	v_mov_b32_e32 v3, 0
                                        ; implicit-def: $vgpr4
                                        ; implicit-def: $vgpr2
.LBB201_34:
	v_cmp_gt_i32_e32 vcc, s9, v0
	s_and_saveexec_b64 s[0:1], vcc
	s_cbranch_execz .LBB201_37
; %bb.35:
	s_load_dword s7, s[4:5], 0x38
	s_load_dwordx2 s[0:1], s[4:5], 0x20
	s_load_dword s8, s[4:5], 0x4c
	s_waitcnt lgkmcnt(0)
	v_div_scale_f32 v1, s[2:3], v3, v3, s7
	v_rcp_f32_e32 v5, v1
	v_div_scale_f32 v6, vcc, s7, v3, s7
	s_ashr_i32 s2, s6, 31
	v_fma_f32 v7, -v1, v5, 1.0
	v_fmac_f32_e32 v5, v7, v5
	v_mul_f32_e32 v7, v6, v5
	v_fma_f32 v8, -v1, v7, v6
	v_fmac_f32_e32 v7, v8, v5
	v_fma_f32 v1, -v1, v7, v6
	s_mul_i32 s1, s6, s1
	s_mul_hi_u32 s3, s6, s0
	v_div_fmas_f32 v1, v1, v5, v7
	s_add_i32 s1, s3, s1
	s_mul_i32 s2, s2, s0
	v_div_fixup_f32 v1, v1, v3, s7
	s_add_i32 s4, s1, s2
	v_mul_f32_e32 v1, v1, v4
	s_mul_i32 s2, s6, s0
	s_and_b32 s3, s8, 0xffff
	s_mov_b64 s[0:1], 0
	v_mov_b32_e32 v3, s4
	v_mov_b32_e32 v4, s13
	v_mov_b32_e32 v5, s15
.LBB201_36:                             ; =>This Inner Loop Header: Depth=1
	v_ashrrev_i32_e32 v7, 31, v0
	v_add_co_u32_e32 v6, vcc, s2, v0
	v_addc_co_u32_e32 v7, vcc, v3, v7, vcc
	v_add_u32_e32 v0, s3, v0
	v_cmp_le_i32_e32 vcc, s9, v0
	v_lshlrev_b64 v[6:7], 2, v[6:7]
	s_or_b64 s[0:1], vcc, s[0:1]
	v_add_co_u32_e32 v8, vcc, s12, v6
	v_addc_co_u32_e32 v9, vcc, v4, v7, vcc
	v_add_co_u32_e32 v6, vcc, s14, v6
	v_addc_co_u32_e32 v7, vcc, v5, v7, vcc
	global_store_dword v[8:9], v1, off
	global_store_dword v[6:7], v2, off
	s_andn2_b64 exec, exec, s[0:1]
	s_cbranch_execnz .LBB201_36
.LBB201_37:
	s_endpgm
	.section	.rodata,"a",@progbits
	.p2align	6, 0x0
	.amdhsa_kernel _ZN5aiter19grouped_topk_kernelIN3c108BFloat16EDv1_fLi8ELb1ELb0ELb1EEEvPT_PKS4_PfPimiiiif
		.amdhsa_group_segment_fixed_size 0
		.amdhsa_private_segment_fixed_size 0
		.amdhsa_kernarg_size 320
		.amdhsa_user_sgpr_count 6
		.amdhsa_user_sgpr_private_segment_buffer 1
		.amdhsa_user_sgpr_dispatch_ptr 0
		.amdhsa_user_sgpr_queue_ptr 0
		.amdhsa_user_sgpr_kernarg_segment_ptr 1
		.amdhsa_user_sgpr_dispatch_id 0
		.amdhsa_user_sgpr_flat_scratch_init 0
		.amdhsa_user_sgpr_kernarg_preload_length 0
		.amdhsa_user_sgpr_kernarg_preload_offset 0
		.amdhsa_user_sgpr_private_segment_size 0
		.amdhsa_uses_dynamic_stack 0
		.amdhsa_system_sgpr_private_segment_wavefront_offset 0
		.amdhsa_system_sgpr_workgroup_id_x 1
		.amdhsa_system_sgpr_workgroup_id_y 0
		.amdhsa_system_sgpr_workgroup_id_z 0
		.amdhsa_system_sgpr_workgroup_info 0
		.amdhsa_system_vgpr_workitem_id 0
		.amdhsa_next_free_vgpr 13
		.amdhsa_next_free_sgpr 24
		.amdhsa_accum_offset 16
		.amdhsa_reserve_vcc 1
		.amdhsa_reserve_flat_scratch 0
		.amdhsa_float_round_mode_32 0
		.amdhsa_float_round_mode_16_64 0
		.amdhsa_float_denorm_mode_32 3
		.amdhsa_float_denorm_mode_16_64 3
		.amdhsa_dx10_clamp 1
		.amdhsa_ieee_mode 1
		.amdhsa_fp16_overflow 0
		.amdhsa_tg_split 0
		.amdhsa_exception_fp_ieee_invalid_op 0
		.amdhsa_exception_fp_denorm_src 0
		.amdhsa_exception_fp_ieee_div_zero 0
		.amdhsa_exception_fp_ieee_overflow 0
		.amdhsa_exception_fp_ieee_underflow 0
		.amdhsa_exception_fp_ieee_inexact 0
		.amdhsa_exception_int_div_zero 0
	.end_amdhsa_kernel
	.section	.text._ZN5aiter19grouped_topk_kernelIN3c108BFloat16EDv1_fLi8ELb1ELb0ELb1EEEvPT_PKS4_PfPimiiiif,"axG",@progbits,_ZN5aiter19grouped_topk_kernelIN3c108BFloat16EDv1_fLi8ELb1ELb0ELb1EEEvPT_PKS4_PfPimiiiif,comdat
.Lfunc_end201:
	.size	_ZN5aiter19grouped_topk_kernelIN3c108BFloat16EDv1_fLi8ELb1ELb0ELb1EEEvPT_PKS4_PfPimiiiif, .Lfunc_end201-_ZN5aiter19grouped_topk_kernelIN3c108BFloat16EDv1_fLi8ELb1ELb0ELb1EEEvPT_PKS4_PfPimiiiif
                                        ; -- End function
	.section	.AMDGPU.csdata,"",@progbits
; Kernel info:
; codeLenInByte = 2324
; NumSgprs: 28
; NumVgprs: 13
; NumAgprs: 0
; TotalNumVgprs: 13
; ScratchSize: 0
; MemoryBound: 0
; FloatMode: 240
; IeeeMode: 1
; LDSByteSize: 0 bytes/workgroup (compile time only)
; SGPRBlocks: 3
; VGPRBlocks: 1
; NumSGPRsForWavesPerEU: 28
; NumVGPRsForWavesPerEU: 13
; AccumOffset: 16
; Occupancy: 8
; WaveLimiterHint : 0
; COMPUTE_PGM_RSRC2:SCRATCH_EN: 0
; COMPUTE_PGM_RSRC2:USER_SGPR: 6
; COMPUTE_PGM_RSRC2:TRAP_HANDLER: 0
; COMPUTE_PGM_RSRC2:TGID_X_EN: 1
; COMPUTE_PGM_RSRC2:TGID_Y_EN: 0
; COMPUTE_PGM_RSRC2:TGID_Z_EN: 0
; COMPUTE_PGM_RSRC2:TIDIG_COMP_CNT: 0
; COMPUTE_PGM_RSRC3_GFX90A:ACCUM_OFFSET: 3
; COMPUTE_PGM_RSRC3_GFX90A:TG_SPLIT: 0
	.section	.text._ZN5aiter19grouped_topk_kernelIfDv1_fLi8ELb1ELb0ELb0EEEvPT_PKS2_PfPimiiiif,"axG",@progbits,_ZN5aiter19grouped_topk_kernelIfDv1_fLi8ELb1ELb0ELb0EEEvPT_PKS2_PfPimiiiif,comdat
	.protected	_ZN5aiter19grouped_topk_kernelIfDv1_fLi8ELb1ELb0ELb0EEEvPT_PKS2_PfPimiiiif ; -- Begin function _ZN5aiter19grouped_topk_kernelIfDv1_fLi8ELb1ELb0ELb0EEEvPT_PKS2_PfPimiiiif
	.globl	_ZN5aiter19grouped_topk_kernelIfDv1_fLi8ELb1ELb0ELb0EEEvPT_PKS2_PfPimiiiif
	.p2align	8
	.type	_ZN5aiter19grouped_topk_kernelIfDv1_fLi8ELb1ELb0ELb0EEEvPT_PKS2_PfPimiiiif,@function
_ZN5aiter19grouped_topk_kernelIfDv1_fLi8ELb1ELb0ELb0EEEvPT_PKS2_PfPimiiiif: ; @_ZN5aiter19grouped_topk_kernelIfDv1_fLi8ELb1ELb0ELb0EEEvPT_PKS2_PfPimiiiif
; %bb.0:
	s_load_dwordx4 s[8:11], s[4:5], 0x28
	s_load_dwordx4 s[12:15], s[4:5], 0x10
	v_lshl_add_u32 v1, v0, 2, 0
	s_waitcnt lgkmcnt(0)
	v_cmp_gt_i32_e64 s[0:1], s8, v0
	s_and_saveexec_b64 s[2:3], s[0:1]
	s_cbranch_execz .LBB202_3
; %bb.1:
	s_load_dwordx2 s[16:17], s[4:5], 0x0
	s_load_dword s11, s[4:5], 0x4c
	s_mul_i32 s18, s6, s8
	s_ashr_i32 s19, s18, 31
	s_lshl_b64 s[18:19], s[18:19], 2
	s_waitcnt lgkmcnt(0)
	s_add_u32 s7, s16, s18
	s_addc_u32 s19, s17, s19
	s_and_b32 s11, s11, 0xffff
	v_lshl_add_u32 v4, v0, 2, 0
	s_lshl_b32 s18, s11, 2
	s_mov_b64 s[16:17], 0
	v_mov_b32_e32 v5, s19
	s_mov_b32 s19, 0xbfb8aa3b
	s_mov_b32 s20, 0x42ce8ed0
	;; [unrolled: 1-line block ×3, first 2 shown]
	v_mov_b32_e32 v6, 0x7f800000
	v_mov_b32_e32 v2, v0
.LBB202_2:                              ; =>This Inner Loop Header: Depth=1
	v_ashrrev_i32_e32 v3, 31, v2
	v_lshlrev_b64 v[8:9], 2, v[2:3]
	v_add_co_u32_e32 v8, vcc, s7, v8
	v_addc_co_u32_e32 v9, vcc, v5, v9, vcc
	global_load_dword v3, v[8:9], off
	v_add_u32_e32 v2, s11, v2
	v_cmp_le_i32_e32 vcc, s8, v2
	s_or_b64 s[16:17], vcc, s[16:17]
	s_waitcnt vmcnt(0)
	v_mul_f32_e32 v7, 0xbfb8aa3b, v3
	v_fma_f32 v8, v3, s19, -v7
	v_rndne_f32_e32 v9, v7
	v_fmac_f32_e32 v8, 0xb2a5705f, v3
	v_sub_f32_e32 v7, v7, v9
	v_add_f32_e32 v7, v7, v8
	v_cvt_i32_f32_e32 v9, v9
	v_exp_f32_e32 v7, v7
	v_cmp_nlt_f32_e32 vcc, s20, v3
	v_ldexp_f32 v7, v7, v9
	v_cndmask_b32_e32 v7, 0, v7, vcc
	v_cmp_ngt_f32_e32 vcc, s21, v3
	v_cndmask_b32_e32 v3, v6, v7, vcc
	v_add_f32_e32 v3, 1.0, v3
	v_div_scale_f32 v7, s[22:23], v3, v3, 1.0
	v_rcp_f32_e32 v8, v7
	v_div_scale_f32 v9, vcc, 1.0, v3, 1.0
	v_fma_f32 v10, -v7, v8, 1.0
	v_fmac_f32_e32 v8, v10, v8
	v_mul_f32_e32 v10, v9, v8
	v_fma_f32 v11, -v7, v10, v9
	v_fmac_f32_e32 v10, v11, v8
	v_fma_f32 v7, -v7, v10, v9
	v_div_fmas_f32 v7, v7, v8, v10
	v_div_fixup_f32 v3, v7, v3, 1.0
	ds_write_b32 v4, v3
	v_add_u32_e32 v4, s18, v4
	s_andn2_b64 exec, exec, s[16:17]
	s_cbranch_execnz .LBB202_2
.LBB202_3:
	s_or_b64 exec, exec, s[2:3]
	s_ashr_i32 s2, s8, 31
	s_lshr_b32 s2, s2, 29
	s_add_i32 s2, s8, s2
	s_ashr_i32 s11, s2, 3
	s_lshl_b32 s2, s8, 2
	s_add_i32 s7, s2, 0
	v_cmp_gt_u32_e32 vcc, 8, v0
	s_waitcnt lgkmcnt(0)
	s_barrier
	s_and_saveexec_b64 s[16:17], vcc
	s_cbranch_execz .LBB202_10
; %bb.4:
	s_load_dword s2, s[4:5], 0x4c
	v_mul_lo_u32 v2, v0, s11
	v_lshl_add_u32 v2, v2, 2, 0
	s_waitcnt lgkmcnt(0)
	s_and_b32 s22, s2, 0xffff
	s_cmp_gt_i32 s8, 7
	s_cselect_b64 s[2:3], -1, 0
	s_mul_i32 s18, s11, s22
	v_cndmask_b32_e64 v3, 0, 1, s[2:3]
	s_lshl_b32 s23, s18, 2
	s_mov_b64 s[18:19], 0
	v_cmp_ne_u32_e64 s[2:3], 1, v3
	v_mov_b32_e32 v3, v0
	s_branch .LBB202_6
.LBB202_5:                              ;   in Loop: Header=BB202_6 Depth=1
	v_lshl_add_u32 v5, v3, 2, s7
	v_add_u32_e32 v3, s22, v3
	v_cmp_lt_u32_e32 vcc, 7, v3
	s_or_b64 s[18:19], vcc, s[18:19]
	v_add_u32_e32 v2, s23, v2
	ds_write_b32 v5, v4
	s_andn2_b64 exec, exec, s[18:19]
	s_cbranch_execz .LBB202_10
.LBB202_6:                              ; =>This Loop Header: Depth=1
                                        ;     Child Loop BB202_8 Depth 2
	s_and_b64 vcc, exec, s[2:3]
	v_mov_b32_e32 v4, 0xff800000
	s_cbranch_vccnz .LBB202_5
; %bb.7:                                ;   in Loop: Header=BB202_6 Depth=1
	v_mul_lo_u32 v5, v3, s11
	v_add_u32_e32 v6, s11, v5
	s_mov_b64 s[20:21], 0
	v_mov_b32_e32 v4, 0xff800000
	v_mov_b32_e32 v7, v2
.LBB202_8:                              ;   Parent Loop BB202_6 Depth=1
                                        ; =>  This Inner Loop Header: Depth=2
	ds_read_b32 v8, v7
	v_add_u32_e32 v5, 1, v5
	v_cmp_ge_i32_e32 vcc, v5, v6
	s_or_b64 s[20:21], vcc, s[20:21]
	v_add_u32_e32 v7, 4, v7
	s_waitcnt lgkmcnt(0)
	v_cmp_gt_f32_e32 vcc, v8, v4
	v_cndmask_b32_e32 v4, v4, v8, vcc
	s_andn2_b64 exec, exec, s[20:21]
	s_cbranch_execnz .LBB202_8
; %bb.9:                                ;   in Loop: Header=BB202_6 Depth=1
	s_or_b64 exec, exec, s[20:21]
	s_branch .LBB202_5
.LBB202_10:
	s_or_b64 exec, exec, s[16:17]
	s_cmp_lt_i32 s10, 1
	s_waitcnt lgkmcnt(0)
	s_barrier
	s_cbranch_scc1 .LBB202_13
; %bb.11:
	v_mov_b32_e32 v2, s7
	s_mov_b32 s2, 0xff800000
	v_mov_b32_e32 v3, 0xff800000
.LBB202_12:                             ; =>This Inner Loop Header: Depth=1
	ds_read2_b32 v[4:5], v2 offset1:1
	ds_read2_b32 v[6:7], v2 offset0:2 offset1:3
	ds_read2_b32 v[8:9], v2 offset0:4 offset1:5
	;; [unrolled: 1-line block ×3, first 2 shown]
	s_waitcnt lgkmcnt(3)
	v_cmp_nlg_f32_e32 vcc, s2, v4
	v_cndmask_b32_e64 v12, 0, 1, vcc
	v_cmp_lg_f32_e32 vcc, s2, v4
	v_cndmask_b32_e32 v4, v3, v4, vcc
	v_readfirstlane_b32 s3, v12
	v_cmp_gt_f32_e32 vcc, v5, v4
	s_lshl_b32 s3, s3, 3
	v_cndmask_b32_e32 v4, v4, v5, vcc
	s_and_b64 s[16:17], vcc, exec
	s_waitcnt lgkmcnt(2)
	v_cmp_gt_f32_e32 vcc, v6, v4
	v_cndmask_b32_e32 v4, v4, v6, vcc
	s_cselect_b32 s3, 1, s3
	s_and_b64 s[16:17], vcc, exec
	v_cmp_gt_f32_e32 vcc, v7, v4
	v_cndmask_b32_e32 v4, v4, v7, vcc
	s_cselect_b32 s3, 2, s3
	s_and_b64 s[16:17], vcc, exec
	s_waitcnt lgkmcnt(1)
	v_cmp_gt_f32_e32 vcc, v8, v4
	v_cndmask_b32_e32 v4, v4, v8, vcc
	s_cselect_b32 s3, 3, s3
	s_and_b64 s[16:17], vcc, exec
	v_cmp_gt_f32_e32 vcc, v9, v4
	v_cndmask_b32_e32 v4, v4, v9, vcc
	s_cselect_b32 s3, 4, s3
	s_and_b64 s[16:17], vcc, exec
	s_waitcnt lgkmcnt(0)
	v_cmp_gt_f32_e32 vcc, v10, v4
	v_cndmask_b32_e32 v4, v4, v10, vcc
	s_cselect_b32 s3, 5, s3
	s_and_b64 s[16:17], vcc, exec
	v_cmp_ngt_f32_e32 vcc, v11, v4
	s_cselect_b32 s3, 6, s3
	s_and_b64 s[16:17], vcc, exec
	s_cselect_b32 s3, s3, 7
	s_lshl_b32 s3, s3, 2
	s_add_i32 s3, s7, s3
	s_add_i32 s10, s10, -1
	v_mov_b32_e32 v4, s3
	s_cmp_lg_u32 s10, 0
	ds_write_b32 v4, v3
	s_cbranch_scc1 .LBB202_12
.LBB202_13:
	s_and_saveexec_b64 s[2:3], s[0:1]
	s_cbranch_execz .LBB202_18
; %bb.14:
	s_abs_i32 s18, s11
	v_cvt_f32_u32_e32 v3, s18
	s_load_dword s16, s[4:5], 0x4c
	s_sub_i32 s17, 0, s18
	s_ashr_i32 s19, s11, 31
	v_rcp_iflag_f32_e32 v4, v3
	v_lshl_add_u32 v2, v0, 2, 0
	s_waitcnt lgkmcnt(0)
	s_and_b32 s21, s16, 0xffff
	s_mov_b64 s[10:11], 0
	v_mul_f32_e32 v4, 0x4f7ffffe, v4
	v_cvt_u32_f32_e32 v4, v4
	s_mov_b32 s20, 0xff800000
	v_mov_b32_e32 v3, 0xff800000
	s_lshl_b32 s22, s21, 2
	v_mul_lo_u32 v5, s17, v4
	v_mul_hi_u32 v5, v4, v5
	v_add_u32_e32 v4, v4, v5
	v_mov_b32_e32 v5, v0
	s_branch .LBB202_16
.LBB202_15:                             ;   in Loop: Header=BB202_16 Depth=1
	s_or_b64 exec, exec, s[16:17]
	v_add_u32_e32 v5, s21, v5
	v_cmp_le_i32_e32 vcc, s8, v5
	s_or_b64 s[10:11], vcc, s[10:11]
	v_add_u32_e32 v2, s22, v2
	s_andn2_b64 exec, exec, s[10:11]
	s_cbranch_execz .LBB202_18
.LBB202_16:                             ; =>This Inner Loop Header: Depth=1
	v_sub_u32_e32 v7, 0, v5
	v_max_i32_e32 v7, v5, v7
	v_mul_hi_u32 v8, v7, v4
	v_mul_lo_u32 v9, v8, s18
	v_sub_u32_e32 v7, v7, v9
	v_add_u32_e32 v9, 1, v8
	v_cmp_le_u32_e32 vcc, s18, v7
	v_cndmask_b32_e32 v8, v8, v9, vcc
	v_subrev_u32_e32 v9, s18, v7
	v_cndmask_b32_e32 v7, v7, v9, vcc
	v_ashrrev_i32_e32 v6, 31, v5
	v_add_u32_e32 v9, 1, v8
	v_cmp_le_u32_e32 vcc, s18, v7
	v_xor_b32_e32 v6, s19, v6
	v_cndmask_b32_e32 v7, v8, v9, vcc
	v_xor_b32_e32 v7, v7, v6
	v_sub_u32_e32 v6, v7, v6
	v_lshl_add_u32 v6, v6, 2, s7
	ds_read_b32 v6, v6
	s_waitcnt lgkmcnt(0)
	v_cmp_neq_f32_e32 vcc, s20, v6
	s_and_saveexec_b64 s[16:17], vcc
	s_cbranch_execz .LBB202_15
; %bb.17:                               ;   in Loop: Header=BB202_16 Depth=1
	ds_write_b32 v2, v3
	s_branch .LBB202_15
.LBB202_18:
	s_or_b64 exec, exec, s[2:3]
	s_cmp_lt_i32 s9, 1
	s_waitcnt lgkmcnt(0)
	s_barrier
	s_cbranch_scc1 .LBB202_25
; %bb.19:
	s_add_u32 s2, s4, 64
	s_addc_u32 s3, s5, 0
	s_mov_b32 s7, 0
	v_mov_b32_e32 v3, 0
	v_mov_b32_e32 v5, 0xff800000
                                        ; implicit-def: $vgpr4
                                        ; implicit-def: $vgpr2
	s_branch .LBB202_21
.LBB202_20:                             ;   in Loop: Header=BB202_21 Depth=1
	s_or_b64 exec, exec, s[10:11]
	v_mov_b32_dpp v9, v7 quad_perm:[1,0,3,2] row_mask:0xf bank_mask:0xf
	v_cmp_lt_f32_e32 vcc, v7, v9
	v_cndmask_b32_e32 v7, v7, v9, vcc
	v_mov_b32_dpp v8, v6 quad_perm:[1,0,3,2] row_mask:0xf bank_mask:0xf
	v_cndmask_b32_e32 v6, v6, v8, vcc
	v_mov_b32_dpp v9, v7 quad_perm:[2,3,0,1] row_mask:0xf bank_mask:0xf
	v_cmp_gt_f32_e32 vcc, v9, v7
	v_cndmask_b32_e32 v7, v7, v9, vcc
	v_mov_b32_dpp v8, v6 quad_perm:[2,3,0,1] row_mask:0xf bank_mask:0xf
	v_cndmask_b32_e32 v6, v6, v8, vcc
	v_mov_b32_dpp v9, v7 row_half_mirror row_mask:0xf bank_mask:0xf
	v_cmp_gt_f32_e32 vcc, v9, v7
	v_cndmask_b32_e32 v7, v7, v9, vcc
	v_mov_b32_dpp v8, v6 row_half_mirror row_mask:0xf bank_mask:0xf
	v_cndmask_b32_e32 v6, v6, v8, vcc
	v_mov_b32_dpp v9, v7 row_mirror row_mask:0xf bank_mask:0xf
	v_cmp_gt_f32_e32 vcc, v9, v7
	v_cndmask_b32_e32 v7, v7, v9, vcc
	v_mov_b32_dpp v8, v6 row_mirror row_mask:0xf bank_mask:0xf
	v_cndmask_b32_e32 v6, v6, v8, vcc
	v_mov_b32_dpp v9, v7 row_bcast:15 row_mask:0xf bank_mask:0xf
	v_cmp_gt_f32_e32 vcc, v9, v7
	v_mov_b32_dpp v8, v6 row_bcast:15 row_mask:0xf bank_mask:0xf
	v_cndmask_b32_e32 v7, v7, v9, vcc
	v_cndmask_b32_e32 v6, v6, v8, vcc
	s_nop 0
	v_mov_b32_dpp v9, v7 row_bcast:31 row_mask:0xf bank_mask:0xf
	v_mov_b32_dpp v8, v6 row_bcast:31 row_mask:0xf bank_mask:0xf
	v_cmp_gt_f32_e32 vcc, v9, v7
	v_cndmask_b32_e32 v6, v6, v8, vcc
	v_readlane_b32 s11, v6, 63
	s_lshl_b32 s16, s11, 2
	s_add_i32 s16, s16, 0
	v_cndmask_b32_e32 v7, v7, v9, vcc
	v_mov_b32_e32 v6, s16
	v_readlane_b32 s10, v7, 63
	ds_write_b32 v6, v5
	v_mov_b32_e32 v6, s11
	v_cmp_eq_u32_e32 vcc, s7, v0
	v_cndmask_b32_e32 v2, v2, v6, vcc
	v_mov_b32_e32 v6, s10
	s_add_i32 s7, s7, 1
	v_cndmask_b32_e32 v4, v4, v6, vcc
	s_cmp_eq_u32 s7, s9
	v_add_f32_e32 v3, s10, v3
	s_cbranch_scc1 .LBB202_26
.LBB202_21:                             ; =>This Loop Header: Depth=1
                                        ;     Child Loop BB202_23 Depth 2
	v_mov_b32_e32 v6, s7
	v_mov_b32_e32 v7, 0xff800000
	s_and_saveexec_b64 s[10:11], s[0:1]
	s_cbranch_execz .LBB202_20
; %bb.22:                               ;   in Loop: Header=BB202_21 Depth=1
	s_load_dword s18, s[2:3], 0xc
	s_mov_b64 s[16:17], 0
	v_mov_b32_e32 v6, s7
	v_mov_b32_e32 v7, 0xff800000
	v_mov_b32_e32 v8, v1
	s_waitcnt lgkmcnt(0)
	s_and_b32 s18, s18, 0xffff
	s_lshl_b32 s19, s18, 2
	v_mov_b32_e32 v9, v0
.LBB202_23:                             ;   Parent Loop BB202_21 Depth=1
                                        ; =>  This Inner Loop Header: Depth=2
	ds_read_b32 v10, v8
	v_add_u32_e32 v8, s19, v8
	s_waitcnt lgkmcnt(0)
	v_cmp_gt_f32_e32 vcc, v10, v7
	v_cndmask_b32_e32 v6, v6, v9, vcc
	v_add_u32_e32 v9, s18, v9
	v_cndmask_b32_e32 v7, v7, v10, vcc
	v_cmp_le_i32_e32 vcc, s8, v9
	s_or_b64 s[16:17], vcc, s[16:17]
	s_andn2_b64 exec, exec, s[16:17]
	s_cbranch_execnz .LBB202_23
; %bb.24:                               ;   in Loop: Header=BB202_21 Depth=1
	s_or_b64 exec, exec, s[16:17]
	s_branch .LBB202_20
.LBB202_25:
	v_mov_b32_e32 v3, 0
                                        ; implicit-def: $vgpr4
                                        ; implicit-def: $vgpr2
.LBB202_26:
	v_cmp_gt_i32_e32 vcc, s9, v0
	s_and_saveexec_b64 s[0:1], vcc
	s_cbranch_execz .LBB202_29
; %bb.27:
	s_load_dword s7, s[4:5], 0x38
	s_load_dwordx2 s[0:1], s[4:5], 0x20
	s_load_dword s8, s[4:5], 0x4c
	s_waitcnt lgkmcnt(0)
	v_div_scale_f32 v1, s[2:3], v3, v3, s7
	v_rcp_f32_e32 v5, v1
	v_div_scale_f32 v6, vcc, s7, v3, s7
	s_ashr_i32 s2, s6, 31
	v_fma_f32 v7, -v1, v5, 1.0
	v_fmac_f32_e32 v5, v7, v5
	v_mul_f32_e32 v7, v6, v5
	v_fma_f32 v8, -v1, v7, v6
	v_fmac_f32_e32 v7, v8, v5
	v_fma_f32 v1, -v1, v7, v6
	s_mul_i32 s1, s6, s1
	s_mul_hi_u32 s3, s6, s0
	v_div_fmas_f32 v1, v1, v5, v7
	s_add_i32 s1, s3, s1
	s_mul_i32 s2, s2, s0
	v_div_fixup_f32 v1, v1, v3, s7
	s_add_i32 s4, s1, s2
	v_mul_f32_e32 v1, v1, v4
	s_mul_i32 s2, s6, s0
	s_and_b32 s3, s8, 0xffff
	s_mov_b64 s[0:1], 0
	v_mov_b32_e32 v3, s4
	v_mov_b32_e32 v4, s13
	;; [unrolled: 1-line block ×3, first 2 shown]
.LBB202_28:                             ; =>This Inner Loop Header: Depth=1
	v_ashrrev_i32_e32 v7, 31, v0
	v_add_co_u32_e32 v6, vcc, s2, v0
	v_addc_co_u32_e32 v7, vcc, v3, v7, vcc
	v_add_u32_e32 v0, s3, v0
	v_cmp_le_i32_e32 vcc, s9, v0
	v_lshlrev_b64 v[6:7], 2, v[6:7]
	s_or_b64 s[0:1], vcc, s[0:1]
	v_add_co_u32_e32 v8, vcc, s12, v6
	v_addc_co_u32_e32 v9, vcc, v4, v7, vcc
	v_add_co_u32_e32 v6, vcc, s14, v6
	v_addc_co_u32_e32 v7, vcc, v5, v7, vcc
	global_store_dword v[8:9], v1, off
	global_store_dword v[6:7], v2, off
	s_andn2_b64 exec, exec, s[0:1]
	s_cbranch_execnz .LBB202_28
.LBB202_29:
	s_endpgm
	.section	.rodata,"a",@progbits
	.p2align	6, 0x0
	.amdhsa_kernel _ZN5aiter19grouped_topk_kernelIfDv1_fLi8ELb1ELb0ELb0EEEvPT_PKS2_PfPimiiiif
		.amdhsa_group_segment_fixed_size 0
		.amdhsa_private_segment_fixed_size 0
		.amdhsa_kernarg_size 320
		.amdhsa_user_sgpr_count 6
		.amdhsa_user_sgpr_private_segment_buffer 1
		.amdhsa_user_sgpr_dispatch_ptr 0
		.amdhsa_user_sgpr_queue_ptr 0
		.amdhsa_user_sgpr_kernarg_segment_ptr 1
		.amdhsa_user_sgpr_dispatch_id 0
		.amdhsa_user_sgpr_flat_scratch_init 0
		.amdhsa_user_sgpr_kernarg_preload_length 0
		.amdhsa_user_sgpr_kernarg_preload_offset 0
		.amdhsa_user_sgpr_private_segment_size 0
		.amdhsa_uses_dynamic_stack 0
		.amdhsa_system_sgpr_private_segment_wavefront_offset 0
		.amdhsa_system_sgpr_workgroup_id_x 1
		.amdhsa_system_sgpr_workgroup_id_y 0
		.amdhsa_system_sgpr_workgroup_id_z 0
		.amdhsa_system_sgpr_workgroup_info 0
		.amdhsa_system_vgpr_workitem_id 0
		.amdhsa_next_free_vgpr 13
		.amdhsa_next_free_sgpr 24
		.amdhsa_accum_offset 16
		.amdhsa_reserve_vcc 1
		.amdhsa_reserve_flat_scratch 0
		.amdhsa_float_round_mode_32 0
		.amdhsa_float_round_mode_16_64 0
		.amdhsa_float_denorm_mode_32 3
		.amdhsa_float_denorm_mode_16_64 3
		.amdhsa_dx10_clamp 1
		.amdhsa_ieee_mode 1
		.amdhsa_fp16_overflow 0
		.amdhsa_tg_split 0
		.amdhsa_exception_fp_ieee_invalid_op 0
		.amdhsa_exception_fp_denorm_src 0
		.amdhsa_exception_fp_ieee_div_zero 0
		.amdhsa_exception_fp_ieee_overflow 0
		.amdhsa_exception_fp_ieee_underflow 0
		.amdhsa_exception_fp_ieee_inexact 0
		.amdhsa_exception_int_div_zero 0
	.end_amdhsa_kernel
	.section	.text._ZN5aiter19grouped_topk_kernelIfDv1_fLi8ELb1ELb0ELb0EEEvPT_PKS2_PfPimiiiif,"axG",@progbits,_ZN5aiter19grouped_topk_kernelIfDv1_fLi8ELb1ELb0ELb0EEEvPT_PKS2_PfPimiiiif,comdat
.Lfunc_end202:
	.size	_ZN5aiter19grouped_topk_kernelIfDv1_fLi8ELb1ELb0ELb0EEEvPT_PKS2_PfPimiiiif, .Lfunc_end202-_ZN5aiter19grouped_topk_kernelIfDv1_fLi8ELb1ELb0ELb0EEEvPT_PKS2_PfPimiiiif
                                        ; -- End function
	.section	.AMDGPU.csdata,"",@progbits
; Kernel info:
; codeLenInByte = 1812
; NumSgprs: 28
; NumVgprs: 13
; NumAgprs: 0
; TotalNumVgprs: 13
; ScratchSize: 0
; MemoryBound: 0
; FloatMode: 240
; IeeeMode: 1
; LDSByteSize: 0 bytes/workgroup (compile time only)
; SGPRBlocks: 3
; VGPRBlocks: 1
; NumSGPRsForWavesPerEU: 28
; NumVGPRsForWavesPerEU: 13
; AccumOffset: 16
; Occupancy: 8
; WaveLimiterHint : 0
; COMPUTE_PGM_RSRC2:SCRATCH_EN: 0
; COMPUTE_PGM_RSRC2:USER_SGPR: 6
; COMPUTE_PGM_RSRC2:TRAP_HANDLER: 0
; COMPUTE_PGM_RSRC2:TGID_X_EN: 1
; COMPUTE_PGM_RSRC2:TGID_Y_EN: 0
; COMPUTE_PGM_RSRC2:TGID_Z_EN: 0
; COMPUTE_PGM_RSRC2:TIDIG_COMP_CNT: 0
; COMPUTE_PGM_RSRC3_GFX90A:ACCUM_OFFSET: 3
; COMPUTE_PGM_RSRC3_GFX90A:TG_SPLIT: 0
	.section	.text._ZN5aiter19grouped_topk_kernelIN3c104HalfEDv1_fLi8ELb1ELb0ELb0EEEvPT_PKS4_PfPimiiiif,"axG",@progbits,_ZN5aiter19grouped_topk_kernelIN3c104HalfEDv1_fLi8ELb1ELb0ELb0EEEvPT_PKS4_PfPimiiiif,comdat
	.protected	_ZN5aiter19grouped_topk_kernelIN3c104HalfEDv1_fLi8ELb1ELb0ELb0EEEvPT_PKS4_PfPimiiiif ; -- Begin function _ZN5aiter19grouped_topk_kernelIN3c104HalfEDv1_fLi8ELb1ELb0ELb0EEEvPT_PKS4_PfPimiiiif
	.globl	_ZN5aiter19grouped_topk_kernelIN3c104HalfEDv1_fLi8ELb1ELb0ELb0EEEvPT_PKS4_PfPimiiiif
	.p2align	8
	.type	_ZN5aiter19grouped_topk_kernelIN3c104HalfEDv1_fLi8ELb1ELb0ELb0EEEvPT_PKS4_PfPimiiiif,@function
_ZN5aiter19grouped_topk_kernelIN3c104HalfEDv1_fLi8ELb1ELb0ELb0EEEvPT_PKS4_PfPimiiiif: ; @_ZN5aiter19grouped_topk_kernelIN3c104HalfEDv1_fLi8ELb1ELb0ELb0EEEvPT_PKS4_PfPimiiiif
; %bb.0:
	s_load_dwordx4 s[8:11], s[4:5], 0x28
	s_load_dwordx4 s[12:15], s[4:5], 0x10
	v_lshl_add_u32 v1, v0, 2, 0
	s_waitcnt lgkmcnt(0)
	v_cmp_gt_i32_e64 s[0:1], s8, v0
	s_and_saveexec_b64 s[2:3], s[0:1]
	s_cbranch_execz .LBB203_3
; %bb.1:
	s_load_dwordx2 s[16:17], s[4:5], 0x0
	s_load_dword s11, s[4:5], 0x4c
	s_mul_i32 s18, s6, s8
	s_ashr_i32 s19, s18, 31
	s_lshl_b64 s[18:19], s[18:19], 1
	s_waitcnt lgkmcnt(0)
	s_add_u32 s7, s16, s18
	s_addc_u32 s19, s17, s19
	s_and_b32 s11, s11, 0xffff
	v_lshl_add_u32 v4, v0, 2, 0
	s_lshl_b32 s18, s11, 2
	s_mov_b64 s[16:17], 0
	v_mov_b32_e32 v5, s19
	s_mov_b32 s19, 0x3fb8aa3b
	s_mov_b32 s20, 0x32a5705f
	;; [unrolled: 1-line block ×4, first 2 shown]
	v_mov_b32_e32 v6, 0x7f800000
	v_mov_b32_e32 v2, v0
.LBB203_2:                              ; =>This Inner Loop Header: Depth=1
	v_ashrrev_i32_e32 v3, 31, v2
	v_lshlrev_b64 v[8:9], 1, v[2:3]
	v_add_co_u32_e32 v8, vcc, s7, v8
	v_addc_co_u32_e32 v9, vcc, v5, v9, vcc
	global_load_ushort v3, v[8:9], off
	v_add_u32_e32 v2, s11, v2
	v_cmp_le_i32_e32 vcc, s8, v2
	s_or_b64 s[16:17], vcc, s[16:17]
	s_waitcnt vmcnt(0)
	v_cvt_f32_f16_e64 v7, -v3
	v_mul_f32_e32 v8, 0x3fb8aa3b, v7
	v_fma_mix_f32 v9, -v3, s19, -v8 op_sel_hi:[1,0,0]
	v_rndne_f32_e32 v10, v8
	v_fma_mix_f32 v3, -v3, s20, v9 op_sel_hi:[1,0,0]
	v_sub_f32_e32 v8, v8, v10
	v_add_f32_e32 v3, v8, v3
	v_cvt_i32_f32_e32 v9, v10
	v_exp_f32_e32 v3, v3
	v_cmp_ngt_f32_e32 vcc, s21, v7
	v_ldexp_f32 v3, v3, v9
	v_cndmask_b32_e32 v3, 0, v3, vcc
	v_cmp_nlt_f32_e32 vcc, s22, v7
	v_cndmask_b32_e32 v3, v6, v3, vcc
	v_add_f32_e32 v3, 1.0, v3
	v_div_scale_f32 v7, s[24:25], v3, v3, 1.0
	v_rcp_f32_e32 v8, v7
	v_div_scale_f32 v9, vcc, 1.0, v3, 1.0
	v_fma_f32 v10, -v7, v8, 1.0
	v_fmac_f32_e32 v8, v10, v8
	v_mul_f32_e32 v10, v9, v8
	v_fma_f32 v11, -v7, v10, v9
	v_fmac_f32_e32 v10, v11, v8
	v_fma_f32 v7, -v7, v10, v9
	v_div_fmas_f32 v7, v7, v8, v10
	v_div_fixup_f32 v3, v7, v3, 1.0
	ds_write_b32 v4, v3
	v_add_u32_e32 v4, s18, v4
	s_andn2_b64 exec, exec, s[16:17]
	s_cbranch_execnz .LBB203_2
.LBB203_3:
	s_or_b64 exec, exec, s[2:3]
	s_ashr_i32 s2, s8, 31
	s_lshr_b32 s2, s2, 29
	s_add_i32 s2, s8, s2
	s_ashr_i32 s11, s2, 3
	s_lshl_b32 s2, s8, 2
	s_add_i32 s7, s2, 0
	v_cmp_gt_u32_e32 vcc, 8, v0
	s_waitcnt lgkmcnt(0)
	s_barrier
	s_and_saveexec_b64 s[16:17], vcc
	s_cbranch_execz .LBB203_10
; %bb.4:
	s_load_dword s2, s[4:5], 0x4c
	v_mul_lo_u32 v2, v0, s11
	v_lshl_add_u32 v2, v2, 2, 0
	s_waitcnt lgkmcnt(0)
	s_and_b32 s22, s2, 0xffff
	s_cmp_gt_i32 s8, 7
	s_cselect_b64 s[2:3], -1, 0
	s_mul_i32 s18, s11, s22
	v_cndmask_b32_e64 v3, 0, 1, s[2:3]
	s_lshl_b32 s23, s18, 2
	s_mov_b64 s[18:19], 0
	v_cmp_ne_u32_e64 s[2:3], 1, v3
	v_mov_b32_e32 v3, v0
	s_branch .LBB203_6
.LBB203_5:                              ;   in Loop: Header=BB203_6 Depth=1
	v_lshl_add_u32 v5, v3, 2, s7
	v_add_u32_e32 v3, s22, v3
	v_cmp_lt_u32_e32 vcc, 7, v3
	s_or_b64 s[18:19], vcc, s[18:19]
	v_add_u32_e32 v2, s23, v2
	ds_write_b32 v5, v4
	s_andn2_b64 exec, exec, s[18:19]
	s_cbranch_execz .LBB203_10
.LBB203_6:                              ; =>This Loop Header: Depth=1
                                        ;     Child Loop BB203_8 Depth 2
	s_and_b64 vcc, exec, s[2:3]
	v_mov_b32_e32 v4, 0xff800000
	s_cbranch_vccnz .LBB203_5
; %bb.7:                                ;   in Loop: Header=BB203_6 Depth=1
	v_mul_lo_u32 v5, v3, s11
	v_add_u32_e32 v6, s11, v5
	s_mov_b64 s[20:21], 0
	v_mov_b32_e32 v4, 0xff800000
	v_mov_b32_e32 v7, v2
.LBB203_8:                              ;   Parent Loop BB203_6 Depth=1
                                        ; =>  This Inner Loop Header: Depth=2
	ds_read_b32 v8, v7
	v_add_u32_e32 v5, 1, v5
	v_cmp_ge_i32_e32 vcc, v5, v6
	s_or_b64 s[20:21], vcc, s[20:21]
	v_add_u32_e32 v7, 4, v7
	s_waitcnt lgkmcnt(0)
	v_cmp_gt_f32_e32 vcc, v8, v4
	v_cndmask_b32_e32 v4, v4, v8, vcc
	s_andn2_b64 exec, exec, s[20:21]
	s_cbranch_execnz .LBB203_8
; %bb.9:                                ;   in Loop: Header=BB203_6 Depth=1
	s_or_b64 exec, exec, s[20:21]
	s_branch .LBB203_5
.LBB203_10:
	s_or_b64 exec, exec, s[16:17]
	s_cmp_lt_i32 s10, 1
	s_waitcnt lgkmcnt(0)
	s_barrier
	s_cbranch_scc1 .LBB203_13
; %bb.11:
	v_mov_b32_e32 v2, s7
	s_mov_b32 s2, 0xff800000
	v_mov_b32_e32 v3, 0xff800000
.LBB203_12:                             ; =>This Inner Loop Header: Depth=1
	ds_read2_b32 v[4:5], v2 offset1:1
	ds_read2_b32 v[6:7], v2 offset0:2 offset1:3
	ds_read2_b32 v[8:9], v2 offset0:4 offset1:5
	;; [unrolled: 1-line block ×3, first 2 shown]
	s_waitcnt lgkmcnt(3)
	v_cmp_nlg_f32_e32 vcc, s2, v4
	v_cndmask_b32_e64 v12, 0, 1, vcc
	v_cmp_lg_f32_e32 vcc, s2, v4
	v_cndmask_b32_e32 v4, v3, v4, vcc
	v_readfirstlane_b32 s3, v12
	v_cmp_gt_f32_e32 vcc, v5, v4
	s_lshl_b32 s3, s3, 3
	v_cndmask_b32_e32 v4, v4, v5, vcc
	s_and_b64 s[16:17], vcc, exec
	s_waitcnt lgkmcnt(2)
	v_cmp_gt_f32_e32 vcc, v6, v4
	v_cndmask_b32_e32 v4, v4, v6, vcc
	s_cselect_b32 s3, 1, s3
	s_and_b64 s[16:17], vcc, exec
	v_cmp_gt_f32_e32 vcc, v7, v4
	v_cndmask_b32_e32 v4, v4, v7, vcc
	s_cselect_b32 s3, 2, s3
	s_and_b64 s[16:17], vcc, exec
	s_waitcnt lgkmcnt(1)
	v_cmp_gt_f32_e32 vcc, v8, v4
	v_cndmask_b32_e32 v4, v4, v8, vcc
	s_cselect_b32 s3, 3, s3
	s_and_b64 s[16:17], vcc, exec
	v_cmp_gt_f32_e32 vcc, v9, v4
	v_cndmask_b32_e32 v4, v4, v9, vcc
	s_cselect_b32 s3, 4, s3
	s_and_b64 s[16:17], vcc, exec
	s_waitcnt lgkmcnt(0)
	v_cmp_gt_f32_e32 vcc, v10, v4
	v_cndmask_b32_e32 v4, v4, v10, vcc
	s_cselect_b32 s3, 5, s3
	s_and_b64 s[16:17], vcc, exec
	v_cmp_ngt_f32_e32 vcc, v11, v4
	s_cselect_b32 s3, 6, s3
	s_and_b64 s[16:17], vcc, exec
	s_cselect_b32 s3, s3, 7
	s_lshl_b32 s3, s3, 2
	s_add_i32 s3, s7, s3
	s_add_i32 s10, s10, -1
	v_mov_b32_e32 v4, s3
	s_cmp_lg_u32 s10, 0
	ds_write_b32 v4, v3
	s_cbranch_scc1 .LBB203_12
.LBB203_13:
	s_and_saveexec_b64 s[2:3], s[0:1]
	s_cbranch_execz .LBB203_18
; %bb.14:
	s_abs_i32 s18, s11
	v_cvt_f32_u32_e32 v3, s18
	s_load_dword s16, s[4:5], 0x4c
	s_sub_i32 s17, 0, s18
	s_ashr_i32 s19, s11, 31
	v_rcp_iflag_f32_e32 v4, v3
	v_lshl_add_u32 v2, v0, 2, 0
	s_waitcnt lgkmcnt(0)
	s_and_b32 s21, s16, 0xffff
	s_mov_b64 s[10:11], 0
	v_mul_f32_e32 v4, 0x4f7ffffe, v4
	v_cvt_u32_f32_e32 v4, v4
	s_mov_b32 s20, 0xff800000
	v_mov_b32_e32 v3, 0xff800000
	s_lshl_b32 s22, s21, 2
	v_mul_lo_u32 v5, s17, v4
	v_mul_hi_u32 v5, v4, v5
	v_add_u32_e32 v4, v4, v5
	v_mov_b32_e32 v5, v0
	s_branch .LBB203_16
.LBB203_15:                             ;   in Loop: Header=BB203_16 Depth=1
	s_or_b64 exec, exec, s[16:17]
	v_add_u32_e32 v5, s21, v5
	v_cmp_le_i32_e32 vcc, s8, v5
	s_or_b64 s[10:11], vcc, s[10:11]
	v_add_u32_e32 v2, s22, v2
	s_andn2_b64 exec, exec, s[10:11]
	s_cbranch_execz .LBB203_18
.LBB203_16:                             ; =>This Inner Loop Header: Depth=1
	v_sub_u32_e32 v7, 0, v5
	v_max_i32_e32 v7, v5, v7
	v_mul_hi_u32 v8, v7, v4
	v_mul_lo_u32 v9, v8, s18
	v_sub_u32_e32 v7, v7, v9
	v_add_u32_e32 v9, 1, v8
	v_cmp_le_u32_e32 vcc, s18, v7
	v_cndmask_b32_e32 v8, v8, v9, vcc
	v_subrev_u32_e32 v9, s18, v7
	v_cndmask_b32_e32 v7, v7, v9, vcc
	v_ashrrev_i32_e32 v6, 31, v5
	v_add_u32_e32 v9, 1, v8
	v_cmp_le_u32_e32 vcc, s18, v7
	v_xor_b32_e32 v6, s19, v6
	v_cndmask_b32_e32 v7, v8, v9, vcc
	v_xor_b32_e32 v7, v7, v6
	v_sub_u32_e32 v6, v7, v6
	v_lshl_add_u32 v6, v6, 2, s7
	ds_read_b32 v6, v6
	s_waitcnt lgkmcnt(0)
	v_cmp_neq_f32_e32 vcc, s20, v6
	s_and_saveexec_b64 s[16:17], vcc
	s_cbranch_execz .LBB203_15
; %bb.17:                               ;   in Loop: Header=BB203_16 Depth=1
	ds_write_b32 v2, v3
	s_branch .LBB203_15
.LBB203_18:
	s_or_b64 exec, exec, s[2:3]
	s_cmp_lt_i32 s9, 1
	s_waitcnt lgkmcnt(0)
	s_barrier
	s_cbranch_scc1 .LBB203_25
; %bb.19:
	s_add_u32 s2, s4, 64
	s_addc_u32 s3, s5, 0
	s_mov_b32 s7, 0
	v_mov_b32_e32 v3, 0
	v_mov_b32_e32 v5, 0xff800000
                                        ; implicit-def: $vgpr4
                                        ; implicit-def: $vgpr2
	s_branch .LBB203_21
.LBB203_20:                             ;   in Loop: Header=BB203_21 Depth=1
	s_or_b64 exec, exec, s[10:11]
	v_mov_b32_dpp v9, v7 quad_perm:[1,0,3,2] row_mask:0xf bank_mask:0xf
	v_cmp_lt_f32_e32 vcc, v7, v9
	v_cndmask_b32_e32 v7, v7, v9, vcc
	v_mov_b32_dpp v8, v6 quad_perm:[1,0,3,2] row_mask:0xf bank_mask:0xf
	v_cndmask_b32_e32 v6, v6, v8, vcc
	v_mov_b32_dpp v9, v7 quad_perm:[2,3,0,1] row_mask:0xf bank_mask:0xf
	v_cmp_gt_f32_e32 vcc, v9, v7
	v_cndmask_b32_e32 v7, v7, v9, vcc
	v_mov_b32_dpp v8, v6 quad_perm:[2,3,0,1] row_mask:0xf bank_mask:0xf
	v_cndmask_b32_e32 v6, v6, v8, vcc
	v_mov_b32_dpp v9, v7 row_half_mirror row_mask:0xf bank_mask:0xf
	v_cmp_gt_f32_e32 vcc, v9, v7
	v_cndmask_b32_e32 v7, v7, v9, vcc
	v_mov_b32_dpp v8, v6 row_half_mirror row_mask:0xf bank_mask:0xf
	v_cndmask_b32_e32 v6, v6, v8, vcc
	v_mov_b32_dpp v9, v7 row_mirror row_mask:0xf bank_mask:0xf
	v_cmp_gt_f32_e32 vcc, v9, v7
	v_cndmask_b32_e32 v7, v7, v9, vcc
	v_mov_b32_dpp v8, v6 row_mirror row_mask:0xf bank_mask:0xf
	v_cndmask_b32_e32 v6, v6, v8, vcc
	v_mov_b32_dpp v9, v7 row_bcast:15 row_mask:0xf bank_mask:0xf
	v_cmp_gt_f32_e32 vcc, v9, v7
	v_mov_b32_dpp v8, v6 row_bcast:15 row_mask:0xf bank_mask:0xf
	v_cndmask_b32_e32 v7, v7, v9, vcc
	v_cndmask_b32_e32 v6, v6, v8, vcc
	s_nop 0
	v_mov_b32_dpp v9, v7 row_bcast:31 row_mask:0xf bank_mask:0xf
	v_mov_b32_dpp v8, v6 row_bcast:31 row_mask:0xf bank_mask:0xf
	v_cmp_gt_f32_e32 vcc, v9, v7
	v_cndmask_b32_e32 v6, v6, v8, vcc
	v_readlane_b32 s11, v6, 63
	s_lshl_b32 s16, s11, 2
	s_add_i32 s16, s16, 0
	v_cndmask_b32_e32 v7, v7, v9, vcc
	v_mov_b32_e32 v6, s16
	v_readlane_b32 s10, v7, 63
	ds_write_b32 v6, v5
	v_mov_b32_e32 v6, s11
	v_cmp_eq_u32_e32 vcc, s7, v0
	v_cndmask_b32_e32 v2, v2, v6, vcc
	v_mov_b32_e32 v6, s10
	s_add_i32 s7, s7, 1
	v_cndmask_b32_e32 v4, v4, v6, vcc
	s_cmp_eq_u32 s7, s9
	v_add_f32_e32 v3, s10, v3
	s_cbranch_scc1 .LBB203_26
.LBB203_21:                             ; =>This Loop Header: Depth=1
                                        ;     Child Loop BB203_23 Depth 2
	v_mov_b32_e32 v6, s7
	v_mov_b32_e32 v7, 0xff800000
	s_and_saveexec_b64 s[10:11], s[0:1]
	s_cbranch_execz .LBB203_20
; %bb.22:                               ;   in Loop: Header=BB203_21 Depth=1
	s_load_dword s18, s[2:3], 0xc
	s_mov_b64 s[16:17], 0
	v_mov_b32_e32 v6, s7
	v_mov_b32_e32 v7, 0xff800000
	;; [unrolled: 1-line block ×3, first 2 shown]
	s_waitcnt lgkmcnt(0)
	s_and_b32 s18, s18, 0xffff
	s_lshl_b32 s19, s18, 2
	v_mov_b32_e32 v9, v0
.LBB203_23:                             ;   Parent Loop BB203_21 Depth=1
                                        ; =>  This Inner Loop Header: Depth=2
	ds_read_b32 v10, v8
	v_add_u32_e32 v8, s19, v8
	s_waitcnt lgkmcnt(0)
	v_cmp_gt_f32_e32 vcc, v10, v7
	v_cndmask_b32_e32 v6, v6, v9, vcc
	v_add_u32_e32 v9, s18, v9
	v_cndmask_b32_e32 v7, v7, v10, vcc
	v_cmp_le_i32_e32 vcc, s8, v9
	s_or_b64 s[16:17], vcc, s[16:17]
	s_andn2_b64 exec, exec, s[16:17]
	s_cbranch_execnz .LBB203_23
; %bb.24:                               ;   in Loop: Header=BB203_21 Depth=1
	s_or_b64 exec, exec, s[16:17]
	s_branch .LBB203_20
.LBB203_25:
	v_mov_b32_e32 v3, 0
                                        ; implicit-def: $vgpr4
                                        ; implicit-def: $vgpr2
.LBB203_26:
	v_cmp_gt_i32_e32 vcc, s9, v0
	s_and_saveexec_b64 s[0:1], vcc
	s_cbranch_execz .LBB203_29
; %bb.27:
	s_load_dword s7, s[4:5], 0x38
	s_load_dwordx2 s[0:1], s[4:5], 0x20
	s_load_dword s8, s[4:5], 0x4c
	s_waitcnt lgkmcnt(0)
	v_div_scale_f32 v1, s[2:3], v3, v3, s7
	v_rcp_f32_e32 v5, v1
	v_div_scale_f32 v6, vcc, s7, v3, s7
	s_ashr_i32 s2, s6, 31
	v_fma_f32 v7, -v1, v5, 1.0
	v_fmac_f32_e32 v5, v7, v5
	v_mul_f32_e32 v7, v6, v5
	v_fma_f32 v8, -v1, v7, v6
	v_fmac_f32_e32 v7, v8, v5
	v_fma_f32 v1, -v1, v7, v6
	s_mul_i32 s1, s6, s1
	s_mul_hi_u32 s3, s6, s0
	v_div_fmas_f32 v1, v1, v5, v7
	s_add_i32 s1, s3, s1
	s_mul_i32 s2, s2, s0
	v_div_fixup_f32 v1, v1, v3, s7
	s_add_i32 s4, s1, s2
	v_mul_f32_e32 v1, v1, v4
	s_mul_i32 s2, s6, s0
	s_and_b32 s3, s8, 0xffff
	s_mov_b64 s[0:1], 0
	v_mov_b32_e32 v3, s4
	v_mov_b32_e32 v4, s13
	;; [unrolled: 1-line block ×3, first 2 shown]
.LBB203_28:                             ; =>This Inner Loop Header: Depth=1
	v_ashrrev_i32_e32 v7, 31, v0
	v_add_co_u32_e32 v6, vcc, s2, v0
	v_addc_co_u32_e32 v7, vcc, v3, v7, vcc
	v_add_u32_e32 v0, s3, v0
	v_cmp_le_i32_e32 vcc, s9, v0
	v_lshlrev_b64 v[6:7], 2, v[6:7]
	s_or_b64 s[0:1], vcc, s[0:1]
	v_add_co_u32_e32 v8, vcc, s12, v6
	v_addc_co_u32_e32 v9, vcc, v4, v7, vcc
	v_add_co_u32_e32 v6, vcc, s14, v6
	v_addc_co_u32_e32 v7, vcc, v5, v7, vcc
	global_store_dword v[8:9], v1, off
	global_store_dword v[6:7], v2, off
	s_andn2_b64 exec, exec, s[0:1]
	s_cbranch_execnz .LBB203_28
.LBB203_29:
	s_endpgm
	.section	.rodata,"a",@progbits
	.p2align	6, 0x0
	.amdhsa_kernel _ZN5aiter19grouped_topk_kernelIN3c104HalfEDv1_fLi8ELb1ELb0ELb0EEEvPT_PKS4_PfPimiiiif
		.amdhsa_group_segment_fixed_size 0
		.amdhsa_private_segment_fixed_size 0
		.amdhsa_kernarg_size 320
		.amdhsa_user_sgpr_count 6
		.amdhsa_user_sgpr_private_segment_buffer 1
		.amdhsa_user_sgpr_dispatch_ptr 0
		.amdhsa_user_sgpr_queue_ptr 0
		.amdhsa_user_sgpr_kernarg_segment_ptr 1
		.amdhsa_user_sgpr_dispatch_id 0
		.amdhsa_user_sgpr_flat_scratch_init 0
		.amdhsa_user_sgpr_kernarg_preload_length 0
		.amdhsa_user_sgpr_kernarg_preload_offset 0
		.amdhsa_user_sgpr_private_segment_size 0
		.amdhsa_uses_dynamic_stack 0
		.amdhsa_system_sgpr_private_segment_wavefront_offset 0
		.amdhsa_system_sgpr_workgroup_id_x 1
		.amdhsa_system_sgpr_workgroup_id_y 0
		.amdhsa_system_sgpr_workgroup_id_z 0
		.amdhsa_system_sgpr_workgroup_info 0
		.amdhsa_system_vgpr_workitem_id 0
		.amdhsa_next_free_vgpr 13
		.amdhsa_next_free_sgpr 26
		.amdhsa_accum_offset 16
		.amdhsa_reserve_vcc 1
		.amdhsa_reserve_flat_scratch 0
		.amdhsa_float_round_mode_32 0
		.amdhsa_float_round_mode_16_64 0
		.amdhsa_float_denorm_mode_32 3
		.amdhsa_float_denorm_mode_16_64 3
		.amdhsa_dx10_clamp 1
		.amdhsa_ieee_mode 1
		.amdhsa_fp16_overflow 0
		.amdhsa_tg_split 0
		.amdhsa_exception_fp_ieee_invalid_op 0
		.amdhsa_exception_fp_denorm_src 0
		.amdhsa_exception_fp_ieee_div_zero 0
		.amdhsa_exception_fp_ieee_overflow 0
		.amdhsa_exception_fp_ieee_underflow 0
		.amdhsa_exception_fp_ieee_inexact 0
		.amdhsa_exception_int_div_zero 0
	.end_amdhsa_kernel
	.section	.text._ZN5aiter19grouped_topk_kernelIN3c104HalfEDv1_fLi8ELb1ELb0ELb0EEEvPT_PKS4_PfPimiiiif,"axG",@progbits,_ZN5aiter19grouped_topk_kernelIN3c104HalfEDv1_fLi8ELb1ELb0ELb0EEEvPT_PKS4_PfPimiiiif,comdat
.Lfunc_end203:
	.size	_ZN5aiter19grouped_topk_kernelIN3c104HalfEDv1_fLi8ELb1ELb0ELb0EEEvPT_PKS4_PfPimiiiif, .Lfunc_end203-_ZN5aiter19grouped_topk_kernelIN3c104HalfEDv1_fLi8ELb1ELb0ELb0EEEvPT_PKS4_PfPimiiiif
                                        ; -- End function
	.section	.AMDGPU.csdata,"",@progbits
; Kernel info:
; codeLenInByte = 1828
; NumSgprs: 30
; NumVgprs: 13
; NumAgprs: 0
; TotalNumVgprs: 13
; ScratchSize: 0
; MemoryBound: 0
; FloatMode: 240
; IeeeMode: 1
; LDSByteSize: 0 bytes/workgroup (compile time only)
; SGPRBlocks: 3
; VGPRBlocks: 1
; NumSGPRsForWavesPerEU: 30
; NumVGPRsForWavesPerEU: 13
; AccumOffset: 16
; Occupancy: 8
; WaveLimiterHint : 0
; COMPUTE_PGM_RSRC2:SCRATCH_EN: 0
; COMPUTE_PGM_RSRC2:USER_SGPR: 6
; COMPUTE_PGM_RSRC2:TRAP_HANDLER: 0
; COMPUTE_PGM_RSRC2:TGID_X_EN: 1
; COMPUTE_PGM_RSRC2:TGID_Y_EN: 0
; COMPUTE_PGM_RSRC2:TGID_Z_EN: 0
; COMPUTE_PGM_RSRC2:TIDIG_COMP_CNT: 0
; COMPUTE_PGM_RSRC3_GFX90A:ACCUM_OFFSET: 3
; COMPUTE_PGM_RSRC3_GFX90A:TG_SPLIT: 0
	.section	.text._ZN5aiter19grouped_topk_kernelIN3c108BFloat16EDv1_fLi8ELb1ELb0ELb0EEEvPT_PKS4_PfPimiiiif,"axG",@progbits,_ZN5aiter19grouped_topk_kernelIN3c108BFloat16EDv1_fLi8ELb1ELb0ELb0EEEvPT_PKS4_PfPimiiiif,comdat
	.protected	_ZN5aiter19grouped_topk_kernelIN3c108BFloat16EDv1_fLi8ELb1ELb0ELb0EEEvPT_PKS4_PfPimiiiif ; -- Begin function _ZN5aiter19grouped_topk_kernelIN3c108BFloat16EDv1_fLi8ELb1ELb0ELb0EEEvPT_PKS4_PfPimiiiif
	.globl	_ZN5aiter19grouped_topk_kernelIN3c108BFloat16EDv1_fLi8ELb1ELb0ELb0EEEvPT_PKS4_PfPimiiiif
	.p2align	8
	.type	_ZN5aiter19grouped_topk_kernelIN3c108BFloat16EDv1_fLi8ELb1ELb0ELb0EEEvPT_PKS4_PfPimiiiif,@function
_ZN5aiter19grouped_topk_kernelIN3c108BFloat16EDv1_fLi8ELb1ELb0ELb0EEEvPT_PKS4_PfPimiiiif: ; @_ZN5aiter19grouped_topk_kernelIN3c108BFloat16EDv1_fLi8ELb1ELb0ELb0EEEvPT_PKS4_PfPimiiiif
; %bb.0:
	s_load_dwordx4 s[8:11], s[4:5], 0x28
	s_load_dwordx4 s[12:15], s[4:5], 0x10
	v_lshl_add_u32 v1, v0, 2, 0
	s_waitcnt lgkmcnt(0)
	v_cmp_gt_i32_e64 s[0:1], s8, v0
	s_and_saveexec_b64 s[2:3], s[0:1]
	s_cbranch_execz .LBB204_3
; %bb.1:
	s_load_dwordx2 s[16:17], s[4:5], 0x0
	s_load_dword s11, s[4:5], 0x4c
	s_mul_i32 s18, s6, s8
	s_ashr_i32 s19, s18, 31
	s_lshl_b64 s[18:19], s[18:19], 1
	s_waitcnt lgkmcnt(0)
	s_add_u32 s7, s16, s18
	s_addc_u32 s19, s17, s19
	s_and_b32 s11, s11, 0xffff
	v_lshl_add_u32 v4, v0, 2, 0
	s_lshl_b32 s18, s11, 2
	s_mov_b64 s[16:17], 0
	v_mov_b32_e32 v5, s19
	s_mov_b32 s19, 0xbfb8aa3b
	s_mov_b32 s20, 0x42ce8ed0
	;; [unrolled: 1-line block ×3, first 2 shown]
	v_mov_b32_e32 v6, 0x7f800000
	v_mov_b32_e32 v2, v0
.LBB204_2:                              ; =>This Inner Loop Header: Depth=1
	v_ashrrev_i32_e32 v3, 31, v2
	v_lshlrev_b64 v[8:9], 1, v[2:3]
	v_add_co_u32_e32 v8, vcc, s7, v8
	v_addc_co_u32_e32 v9, vcc, v5, v9, vcc
	global_load_ushort v3, v[8:9], off
	v_add_u32_e32 v2, s11, v2
	v_cmp_le_i32_e32 vcc, s8, v2
	s_or_b64 s[16:17], vcc, s[16:17]
	s_waitcnt vmcnt(0)
	v_cvt_f32_u32_e32 v3, v3
	v_mul_f32_e32 v7, 0xbfb8aa3b, v3
	v_fma_f32 v8, v3, s19, -v7
	v_rndne_f32_e32 v9, v7
	v_fmac_f32_e32 v8, 0xb2a5705f, v3
	v_sub_f32_e32 v7, v7, v9
	v_add_f32_e32 v7, v7, v8
	v_cvt_i32_f32_e32 v9, v9
	v_exp_f32_e32 v7, v7
	v_cmp_nlt_f32_e32 vcc, s20, v3
	v_ldexp_f32 v7, v7, v9
	v_cndmask_b32_e32 v7, 0, v7, vcc
	v_cmp_ngt_f32_e32 vcc, s21, v3
	v_cndmask_b32_e32 v3, v6, v7, vcc
	v_add_f32_e32 v3, 1.0, v3
	v_div_scale_f32 v7, s[22:23], v3, v3, 1.0
	v_rcp_f32_e32 v8, v7
	v_div_scale_f32 v9, vcc, 1.0, v3, 1.0
	v_fma_f32 v10, -v7, v8, 1.0
	v_fmac_f32_e32 v8, v10, v8
	v_mul_f32_e32 v10, v9, v8
	v_fma_f32 v11, -v7, v10, v9
	v_fmac_f32_e32 v10, v11, v8
	v_fma_f32 v7, -v7, v10, v9
	v_div_fmas_f32 v7, v7, v8, v10
	v_div_fixup_f32 v3, v7, v3, 1.0
	ds_write_b32 v4, v3
	v_add_u32_e32 v4, s18, v4
	s_andn2_b64 exec, exec, s[16:17]
	s_cbranch_execnz .LBB204_2
.LBB204_3:
	s_or_b64 exec, exec, s[2:3]
	s_ashr_i32 s2, s8, 31
	s_lshr_b32 s2, s2, 29
	s_add_i32 s2, s8, s2
	s_ashr_i32 s11, s2, 3
	s_lshl_b32 s2, s8, 2
	s_add_i32 s7, s2, 0
	v_cmp_gt_u32_e32 vcc, 8, v0
	s_waitcnt lgkmcnt(0)
	s_barrier
	s_and_saveexec_b64 s[16:17], vcc
	s_cbranch_execz .LBB204_10
; %bb.4:
	s_load_dword s2, s[4:5], 0x4c
	v_mul_lo_u32 v2, v0, s11
	v_lshl_add_u32 v2, v2, 2, 0
	s_waitcnt lgkmcnt(0)
	s_and_b32 s22, s2, 0xffff
	s_cmp_gt_i32 s8, 7
	s_cselect_b64 s[2:3], -1, 0
	s_mul_i32 s18, s11, s22
	v_cndmask_b32_e64 v3, 0, 1, s[2:3]
	s_lshl_b32 s23, s18, 2
	s_mov_b64 s[18:19], 0
	v_cmp_ne_u32_e64 s[2:3], 1, v3
	v_mov_b32_e32 v3, v0
	s_branch .LBB204_6
.LBB204_5:                              ;   in Loop: Header=BB204_6 Depth=1
	v_lshl_add_u32 v5, v3, 2, s7
	v_add_u32_e32 v3, s22, v3
	v_cmp_lt_u32_e32 vcc, 7, v3
	s_or_b64 s[18:19], vcc, s[18:19]
	v_add_u32_e32 v2, s23, v2
	ds_write_b32 v5, v4
	s_andn2_b64 exec, exec, s[18:19]
	s_cbranch_execz .LBB204_10
.LBB204_6:                              ; =>This Loop Header: Depth=1
                                        ;     Child Loop BB204_8 Depth 2
	s_and_b64 vcc, exec, s[2:3]
	v_mov_b32_e32 v4, 0xff800000
	s_cbranch_vccnz .LBB204_5
; %bb.7:                                ;   in Loop: Header=BB204_6 Depth=1
	v_mul_lo_u32 v5, v3, s11
	v_add_u32_e32 v6, s11, v5
	s_mov_b64 s[20:21], 0
	v_mov_b32_e32 v4, 0xff800000
	v_mov_b32_e32 v7, v2
.LBB204_8:                              ;   Parent Loop BB204_6 Depth=1
                                        ; =>  This Inner Loop Header: Depth=2
	ds_read_b32 v8, v7
	v_add_u32_e32 v5, 1, v5
	v_cmp_ge_i32_e32 vcc, v5, v6
	s_or_b64 s[20:21], vcc, s[20:21]
	v_add_u32_e32 v7, 4, v7
	s_waitcnt lgkmcnt(0)
	v_cmp_gt_f32_e32 vcc, v8, v4
	v_cndmask_b32_e32 v4, v4, v8, vcc
	s_andn2_b64 exec, exec, s[20:21]
	s_cbranch_execnz .LBB204_8
; %bb.9:                                ;   in Loop: Header=BB204_6 Depth=1
	s_or_b64 exec, exec, s[20:21]
	s_branch .LBB204_5
.LBB204_10:
	s_or_b64 exec, exec, s[16:17]
	s_cmp_lt_i32 s10, 1
	s_waitcnt lgkmcnt(0)
	s_barrier
	s_cbranch_scc1 .LBB204_13
; %bb.11:
	v_mov_b32_e32 v2, s7
	s_mov_b32 s2, 0xff800000
	v_mov_b32_e32 v3, 0xff800000
.LBB204_12:                             ; =>This Inner Loop Header: Depth=1
	ds_read2_b32 v[4:5], v2 offset1:1
	ds_read2_b32 v[6:7], v2 offset0:2 offset1:3
	ds_read2_b32 v[8:9], v2 offset0:4 offset1:5
	ds_read2_b32 v[10:11], v2 offset0:6 offset1:7
	s_waitcnt lgkmcnt(3)
	v_cmp_nlg_f32_e32 vcc, s2, v4
	v_cndmask_b32_e64 v12, 0, 1, vcc
	v_cmp_lg_f32_e32 vcc, s2, v4
	v_cndmask_b32_e32 v4, v3, v4, vcc
	v_readfirstlane_b32 s3, v12
	v_cmp_gt_f32_e32 vcc, v5, v4
	s_lshl_b32 s3, s3, 3
	v_cndmask_b32_e32 v4, v4, v5, vcc
	s_and_b64 s[16:17], vcc, exec
	s_waitcnt lgkmcnt(2)
	v_cmp_gt_f32_e32 vcc, v6, v4
	v_cndmask_b32_e32 v4, v4, v6, vcc
	s_cselect_b32 s3, 1, s3
	s_and_b64 s[16:17], vcc, exec
	v_cmp_gt_f32_e32 vcc, v7, v4
	v_cndmask_b32_e32 v4, v4, v7, vcc
	s_cselect_b32 s3, 2, s3
	s_and_b64 s[16:17], vcc, exec
	s_waitcnt lgkmcnt(1)
	v_cmp_gt_f32_e32 vcc, v8, v4
	v_cndmask_b32_e32 v4, v4, v8, vcc
	s_cselect_b32 s3, 3, s3
	s_and_b64 s[16:17], vcc, exec
	v_cmp_gt_f32_e32 vcc, v9, v4
	v_cndmask_b32_e32 v4, v4, v9, vcc
	s_cselect_b32 s3, 4, s3
	s_and_b64 s[16:17], vcc, exec
	s_waitcnt lgkmcnt(0)
	v_cmp_gt_f32_e32 vcc, v10, v4
	v_cndmask_b32_e32 v4, v4, v10, vcc
	s_cselect_b32 s3, 5, s3
	s_and_b64 s[16:17], vcc, exec
	v_cmp_ngt_f32_e32 vcc, v11, v4
	s_cselect_b32 s3, 6, s3
	s_and_b64 s[16:17], vcc, exec
	s_cselect_b32 s3, s3, 7
	s_lshl_b32 s3, s3, 2
	s_add_i32 s3, s7, s3
	s_add_i32 s10, s10, -1
	v_mov_b32_e32 v4, s3
	s_cmp_lg_u32 s10, 0
	ds_write_b32 v4, v3
	s_cbranch_scc1 .LBB204_12
.LBB204_13:
	s_and_saveexec_b64 s[2:3], s[0:1]
	s_cbranch_execz .LBB204_18
; %bb.14:
	s_abs_i32 s18, s11
	v_cvt_f32_u32_e32 v3, s18
	s_load_dword s16, s[4:5], 0x4c
	s_sub_i32 s17, 0, s18
	s_ashr_i32 s19, s11, 31
	v_rcp_iflag_f32_e32 v4, v3
	v_lshl_add_u32 v2, v0, 2, 0
	s_waitcnt lgkmcnt(0)
	s_and_b32 s21, s16, 0xffff
	s_mov_b64 s[10:11], 0
	v_mul_f32_e32 v4, 0x4f7ffffe, v4
	v_cvt_u32_f32_e32 v4, v4
	s_mov_b32 s20, 0xff800000
	v_mov_b32_e32 v3, 0xff800000
	s_lshl_b32 s22, s21, 2
	v_mul_lo_u32 v5, s17, v4
	v_mul_hi_u32 v5, v4, v5
	v_add_u32_e32 v4, v4, v5
	v_mov_b32_e32 v5, v0
	s_branch .LBB204_16
.LBB204_15:                             ;   in Loop: Header=BB204_16 Depth=1
	s_or_b64 exec, exec, s[16:17]
	v_add_u32_e32 v5, s21, v5
	v_cmp_le_i32_e32 vcc, s8, v5
	s_or_b64 s[10:11], vcc, s[10:11]
	v_add_u32_e32 v2, s22, v2
	s_andn2_b64 exec, exec, s[10:11]
	s_cbranch_execz .LBB204_18
.LBB204_16:                             ; =>This Inner Loop Header: Depth=1
	v_sub_u32_e32 v7, 0, v5
	v_max_i32_e32 v7, v5, v7
	v_mul_hi_u32 v8, v7, v4
	v_mul_lo_u32 v9, v8, s18
	v_sub_u32_e32 v7, v7, v9
	v_add_u32_e32 v9, 1, v8
	v_cmp_le_u32_e32 vcc, s18, v7
	v_cndmask_b32_e32 v8, v8, v9, vcc
	v_subrev_u32_e32 v9, s18, v7
	v_cndmask_b32_e32 v7, v7, v9, vcc
	v_ashrrev_i32_e32 v6, 31, v5
	v_add_u32_e32 v9, 1, v8
	v_cmp_le_u32_e32 vcc, s18, v7
	v_xor_b32_e32 v6, s19, v6
	v_cndmask_b32_e32 v7, v8, v9, vcc
	v_xor_b32_e32 v7, v7, v6
	v_sub_u32_e32 v6, v7, v6
	v_lshl_add_u32 v6, v6, 2, s7
	ds_read_b32 v6, v6
	s_waitcnt lgkmcnt(0)
	v_cmp_neq_f32_e32 vcc, s20, v6
	s_and_saveexec_b64 s[16:17], vcc
	s_cbranch_execz .LBB204_15
; %bb.17:                               ;   in Loop: Header=BB204_16 Depth=1
	ds_write_b32 v2, v3
	s_branch .LBB204_15
.LBB204_18:
	s_or_b64 exec, exec, s[2:3]
	s_cmp_lt_i32 s9, 1
	s_waitcnt lgkmcnt(0)
	s_barrier
	s_cbranch_scc1 .LBB204_25
; %bb.19:
	s_add_u32 s2, s4, 64
	s_addc_u32 s3, s5, 0
	s_mov_b32 s7, 0
	v_mov_b32_e32 v3, 0
	v_mov_b32_e32 v5, 0xff800000
                                        ; implicit-def: $vgpr4
                                        ; implicit-def: $vgpr2
	s_branch .LBB204_21
.LBB204_20:                             ;   in Loop: Header=BB204_21 Depth=1
	s_or_b64 exec, exec, s[10:11]
	v_mov_b32_dpp v9, v7 quad_perm:[1,0,3,2] row_mask:0xf bank_mask:0xf
	v_cmp_lt_f32_e32 vcc, v7, v9
	v_cndmask_b32_e32 v7, v7, v9, vcc
	v_mov_b32_dpp v8, v6 quad_perm:[1,0,3,2] row_mask:0xf bank_mask:0xf
	v_cndmask_b32_e32 v6, v6, v8, vcc
	v_mov_b32_dpp v9, v7 quad_perm:[2,3,0,1] row_mask:0xf bank_mask:0xf
	v_cmp_gt_f32_e32 vcc, v9, v7
	v_cndmask_b32_e32 v7, v7, v9, vcc
	v_mov_b32_dpp v8, v6 quad_perm:[2,3,0,1] row_mask:0xf bank_mask:0xf
	v_cndmask_b32_e32 v6, v6, v8, vcc
	v_mov_b32_dpp v9, v7 row_half_mirror row_mask:0xf bank_mask:0xf
	v_cmp_gt_f32_e32 vcc, v9, v7
	v_cndmask_b32_e32 v7, v7, v9, vcc
	v_mov_b32_dpp v8, v6 row_half_mirror row_mask:0xf bank_mask:0xf
	v_cndmask_b32_e32 v6, v6, v8, vcc
	v_mov_b32_dpp v9, v7 row_mirror row_mask:0xf bank_mask:0xf
	v_cmp_gt_f32_e32 vcc, v9, v7
	v_cndmask_b32_e32 v7, v7, v9, vcc
	v_mov_b32_dpp v8, v6 row_mirror row_mask:0xf bank_mask:0xf
	v_cndmask_b32_e32 v6, v6, v8, vcc
	v_mov_b32_dpp v9, v7 row_bcast:15 row_mask:0xf bank_mask:0xf
	v_cmp_gt_f32_e32 vcc, v9, v7
	v_mov_b32_dpp v8, v6 row_bcast:15 row_mask:0xf bank_mask:0xf
	v_cndmask_b32_e32 v7, v7, v9, vcc
	v_cndmask_b32_e32 v6, v6, v8, vcc
	s_nop 0
	v_mov_b32_dpp v9, v7 row_bcast:31 row_mask:0xf bank_mask:0xf
	v_mov_b32_dpp v8, v6 row_bcast:31 row_mask:0xf bank_mask:0xf
	v_cmp_gt_f32_e32 vcc, v9, v7
	v_cndmask_b32_e32 v6, v6, v8, vcc
	v_readlane_b32 s11, v6, 63
	s_lshl_b32 s16, s11, 2
	s_add_i32 s16, s16, 0
	v_cndmask_b32_e32 v7, v7, v9, vcc
	v_mov_b32_e32 v6, s16
	v_readlane_b32 s10, v7, 63
	ds_write_b32 v6, v5
	v_mov_b32_e32 v6, s11
	v_cmp_eq_u32_e32 vcc, s7, v0
	v_cndmask_b32_e32 v2, v2, v6, vcc
	v_mov_b32_e32 v6, s10
	s_add_i32 s7, s7, 1
	v_cndmask_b32_e32 v4, v4, v6, vcc
	s_cmp_eq_u32 s7, s9
	v_add_f32_e32 v3, s10, v3
	s_cbranch_scc1 .LBB204_26
.LBB204_21:                             ; =>This Loop Header: Depth=1
                                        ;     Child Loop BB204_23 Depth 2
	v_mov_b32_e32 v6, s7
	v_mov_b32_e32 v7, 0xff800000
	s_and_saveexec_b64 s[10:11], s[0:1]
	s_cbranch_execz .LBB204_20
; %bb.22:                               ;   in Loop: Header=BB204_21 Depth=1
	s_load_dword s18, s[2:3], 0xc
	s_mov_b64 s[16:17], 0
	v_mov_b32_e32 v6, s7
	v_mov_b32_e32 v7, 0xff800000
	v_mov_b32_e32 v8, v1
	s_waitcnt lgkmcnt(0)
	s_and_b32 s18, s18, 0xffff
	s_lshl_b32 s19, s18, 2
	v_mov_b32_e32 v9, v0
.LBB204_23:                             ;   Parent Loop BB204_21 Depth=1
                                        ; =>  This Inner Loop Header: Depth=2
	ds_read_b32 v10, v8
	v_add_u32_e32 v8, s19, v8
	s_waitcnt lgkmcnt(0)
	v_cmp_gt_f32_e32 vcc, v10, v7
	v_cndmask_b32_e32 v6, v6, v9, vcc
	v_add_u32_e32 v9, s18, v9
	v_cndmask_b32_e32 v7, v7, v10, vcc
	v_cmp_le_i32_e32 vcc, s8, v9
	s_or_b64 s[16:17], vcc, s[16:17]
	s_andn2_b64 exec, exec, s[16:17]
	s_cbranch_execnz .LBB204_23
; %bb.24:                               ;   in Loop: Header=BB204_21 Depth=1
	s_or_b64 exec, exec, s[16:17]
	s_branch .LBB204_20
.LBB204_25:
	v_mov_b32_e32 v3, 0
                                        ; implicit-def: $vgpr4
                                        ; implicit-def: $vgpr2
.LBB204_26:
	v_cmp_gt_i32_e32 vcc, s9, v0
	s_and_saveexec_b64 s[0:1], vcc
	s_cbranch_execz .LBB204_29
; %bb.27:
	s_load_dword s7, s[4:5], 0x38
	s_load_dwordx2 s[0:1], s[4:5], 0x20
	s_load_dword s8, s[4:5], 0x4c
	s_waitcnt lgkmcnt(0)
	v_div_scale_f32 v1, s[2:3], v3, v3, s7
	v_rcp_f32_e32 v5, v1
	v_div_scale_f32 v6, vcc, s7, v3, s7
	s_ashr_i32 s2, s6, 31
	v_fma_f32 v7, -v1, v5, 1.0
	v_fmac_f32_e32 v5, v7, v5
	v_mul_f32_e32 v7, v6, v5
	v_fma_f32 v8, -v1, v7, v6
	v_fmac_f32_e32 v7, v8, v5
	v_fma_f32 v1, -v1, v7, v6
	s_mul_i32 s1, s6, s1
	s_mul_hi_u32 s3, s6, s0
	v_div_fmas_f32 v1, v1, v5, v7
	s_add_i32 s1, s3, s1
	s_mul_i32 s2, s2, s0
	v_div_fixup_f32 v1, v1, v3, s7
	s_add_i32 s4, s1, s2
	v_mul_f32_e32 v1, v1, v4
	s_mul_i32 s2, s6, s0
	s_and_b32 s3, s8, 0xffff
	s_mov_b64 s[0:1], 0
	v_mov_b32_e32 v3, s4
	v_mov_b32_e32 v4, s13
	;; [unrolled: 1-line block ×3, first 2 shown]
.LBB204_28:                             ; =>This Inner Loop Header: Depth=1
	v_ashrrev_i32_e32 v7, 31, v0
	v_add_co_u32_e32 v6, vcc, s2, v0
	v_addc_co_u32_e32 v7, vcc, v3, v7, vcc
	v_add_u32_e32 v0, s3, v0
	v_cmp_le_i32_e32 vcc, s9, v0
	v_lshlrev_b64 v[6:7], 2, v[6:7]
	s_or_b64 s[0:1], vcc, s[0:1]
	v_add_co_u32_e32 v8, vcc, s12, v6
	v_addc_co_u32_e32 v9, vcc, v4, v7, vcc
	v_add_co_u32_e32 v6, vcc, s14, v6
	v_addc_co_u32_e32 v7, vcc, v5, v7, vcc
	global_store_dword v[8:9], v1, off
	global_store_dword v[6:7], v2, off
	s_andn2_b64 exec, exec, s[0:1]
	s_cbranch_execnz .LBB204_28
.LBB204_29:
	s_endpgm
	.section	.rodata,"a",@progbits
	.p2align	6, 0x0
	.amdhsa_kernel _ZN5aiter19grouped_topk_kernelIN3c108BFloat16EDv1_fLi8ELb1ELb0ELb0EEEvPT_PKS4_PfPimiiiif
		.amdhsa_group_segment_fixed_size 0
		.amdhsa_private_segment_fixed_size 0
		.amdhsa_kernarg_size 320
		.amdhsa_user_sgpr_count 6
		.amdhsa_user_sgpr_private_segment_buffer 1
		.amdhsa_user_sgpr_dispatch_ptr 0
		.amdhsa_user_sgpr_queue_ptr 0
		.amdhsa_user_sgpr_kernarg_segment_ptr 1
		.amdhsa_user_sgpr_dispatch_id 0
		.amdhsa_user_sgpr_flat_scratch_init 0
		.amdhsa_user_sgpr_kernarg_preload_length 0
		.amdhsa_user_sgpr_kernarg_preload_offset 0
		.amdhsa_user_sgpr_private_segment_size 0
		.amdhsa_uses_dynamic_stack 0
		.amdhsa_system_sgpr_private_segment_wavefront_offset 0
		.amdhsa_system_sgpr_workgroup_id_x 1
		.amdhsa_system_sgpr_workgroup_id_y 0
		.amdhsa_system_sgpr_workgroup_id_z 0
		.amdhsa_system_sgpr_workgroup_info 0
		.amdhsa_system_vgpr_workitem_id 0
		.amdhsa_next_free_vgpr 13
		.amdhsa_next_free_sgpr 24
		.amdhsa_accum_offset 16
		.amdhsa_reserve_vcc 1
		.amdhsa_reserve_flat_scratch 0
		.amdhsa_float_round_mode_32 0
		.amdhsa_float_round_mode_16_64 0
		.amdhsa_float_denorm_mode_32 3
		.amdhsa_float_denorm_mode_16_64 3
		.amdhsa_dx10_clamp 1
		.amdhsa_ieee_mode 1
		.amdhsa_fp16_overflow 0
		.amdhsa_tg_split 0
		.amdhsa_exception_fp_ieee_invalid_op 0
		.amdhsa_exception_fp_denorm_src 0
		.amdhsa_exception_fp_ieee_div_zero 0
		.amdhsa_exception_fp_ieee_overflow 0
		.amdhsa_exception_fp_ieee_underflow 0
		.amdhsa_exception_fp_ieee_inexact 0
		.amdhsa_exception_int_div_zero 0
	.end_amdhsa_kernel
	.section	.text._ZN5aiter19grouped_topk_kernelIN3c108BFloat16EDv1_fLi8ELb1ELb0ELb0EEEvPT_PKS4_PfPimiiiif,"axG",@progbits,_ZN5aiter19grouped_topk_kernelIN3c108BFloat16EDv1_fLi8ELb1ELb0ELb0EEEvPT_PKS4_PfPimiiiif,comdat
.Lfunc_end204:
	.size	_ZN5aiter19grouped_topk_kernelIN3c108BFloat16EDv1_fLi8ELb1ELb0ELb0EEEvPT_PKS4_PfPimiiiif, .Lfunc_end204-_ZN5aiter19grouped_topk_kernelIN3c108BFloat16EDv1_fLi8ELb1ELb0ELb0EEEvPT_PKS4_PfPimiiiif
                                        ; -- End function
	.section	.AMDGPU.csdata,"",@progbits
; Kernel info:
; codeLenInByte = 1816
; NumSgprs: 28
; NumVgprs: 13
; NumAgprs: 0
; TotalNumVgprs: 13
; ScratchSize: 0
; MemoryBound: 0
; FloatMode: 240
; IeeeMode: 1
; LDSByteSize: 0 bytes/workgroup (compile time only)
; SGPRBlocks: 3
; VGPRBlocks: 1
; NumSGPRsForWavesPerEU: 28
; NumVGPRsForWavesPerEU: 13
; AccumOffset: 16
; Occupancy: 8
; WaveLimiterHint : 0
; COMPUTE_PGM_RSRC2:SCRATCH_EN: 0
; COMPUTE_PGM_RSRC2:USER_SGPR: 6
; COMPUTE_PGM_RSRC2:TRAP_HANDLER: 0
; COMPUTE_PGM_RSRC2:TGID_X_EN: 1
; COMPUTE_PGM_RSRC2:TGID_Y_EN: 0
; COMPUTE_PGM_RSRC2:TGID_Z_EN: 0
; COMPUTE_PGM_RSRC2:TIDIG_COMP_CNT: 0
; COMPUTE_PGM_RSRC3_GFX90A:ACCUM_OFFSET: 3
; COMPUTE_PGM_RSRC3_GFX90A:TG_SPLIT: 0
	.section	.text._ZN5aiter28grouped_topk_opt_sort_kernelIfDv1_fLi8ELb0ELb1ELb0EEEvPT_PKS2_PfPimiiiif,"axG",@progbits,_ZN5aiter28grouped_topk_opt_sort_kernelIfDv1_fLi8ELb0ELb1ELb0EEEvPT_PKS2_PfPimiiiif,comdat
	.protected	_ZN5aiter28grouped_topk_opt_sort_kernelIfDv1_fLi8ELb0ELb1ELb0EEEvPT_PKS2_PfPimiiiif ; -- Begin function _ZN5aiter28grouped_topk_opt_sort_kernelIfDv1_fLi8ELb0ELb1ELb0EEEvPT_PKS2_PfPimiiiif
	.globl	_ZN5aiter28grouped_topk_opt_sort_kernelIfDv1_fLi8ELb0ELb1ELb0EEEvPT_PKS2_PfPimiiiif
	.p2align	8
	.type	_ZN5aiter28grouped_topk_opt_sort_kernelIfDv1_fLi8ELb0ELb1ELb0EEEvPT_PKS2_PfPimiiiif,@function
_ZN5aiter28grouped_topk_opt_sort_kernelIfDv1_fLi8ELb0ELb1ELb0EEEvPT_PKS2_PfPimiiiif: ; @_ZN5aiter28grouped_topk_opt_sort_kernelIfDv1_fLi8ELb0ELb1ELb0EEEvPT_PKS2_PfPimiiiif
; %bb.0:
	s_load_dwordx4 s[16:19], s[4:5], 0x28
	s_load_dwordx4 s[12:15], s[4:5], 0x0
	v_lshlrev_b32_e32 v1, 2, v0
	v_bfe_u32 v15, v0, 1, 1
	v_and_b32_e32 v14, 1, v0
	s_waitcnt lgkmcnt(0)
	s_lshl_b32 s1, s16, 2
	s_mul_i32 s0, s6, s16
	s_add_i32 s7, s1, 0
	s_ashr_i32 s1, s0, 31
	s_lshl_b64 s[0:1], s[0:1], 2
	s_add_u32 s0, s12, s0
	s_addc_u32 s1, s13, s1
	global_load_dword v7, v1, s[0:1]
	global_load_dword v10, v1, s[14:15]
	s_mov_b32 s0, 0x652b82fe
	s_mov_b32 s1, 0xbff71547
	v_mov_b32_e32 v3, 0xff800000
	v_mov_b32_e32 v4, 0x7f800000
	v_bfe_u32 v5, v0, 2, 1
	v_cmp_eq_u32_e32 vcc, v14, v15
	v_cndmask_b32_e32 v16, v3, v4, vcc
	v_cmp_eq_u32_e32 vcc, v15, v5
	s_mov_b32 s2, 0xc2fc0000
	v_cndmask_b32_e32 v17, v3, v4, vcc
	v_cmp_eq_u32_e32 vcc, v14, v5
	v_mov_b32_e32 v11, 0x42800000
	v_cndmask_b32_e32 v18, v3, v4, vcc
	v_mov_b32_e32 v12, 0x1f800000
	v_mov_b32_dpp v6, v3 quad_perm:[1,0,3,2] row_mask:0xf bank_mask:0xf bound_ctrl:1
	v_max_f32_e32 v20, v6, v6
	v_mbcnt_lo_u32_b32 v2, -1, 0
	v_mbcnt_hi_u32_b32 v2, -1, v2
	v_lshlrev_b32_e32 v13, 3, v0
	v_and_b32_e32 v6, 64, v2
	v_and_b32_e32 v19, 4, v0
	s_waitcnt vmcnt(1)
	v_cvt_f64_f32_e32 v[8:9], v7
	v_mul_f64 v[8:9], v[8:9], s[0:1]
	v_cvt_f32_f64_e32 v7, v[8:9]
	v_cmp_gt_f32_e32 vcc, s2, v7
	v_cndmask_b32_e32 v8, 0, v11, vcc
	v_add_f32_e32 v7, v7, v8
	v_exp_f32_e32 v7, v7
	v_cndmask_b32_e32 v9, 1.0, v12, vcc
	v_and_or_b32 v11, v13, 56, v6
	v_cmp_eq_u32_e64 s[0:1], 0, v19
	v_fma_f32 v7, v7, v9, 1.0
	v_rcp_f32_e32 v7, v7
	v_max_f32_e32 v9, 0xff800000, v20
	v_lshlrev_b32_e32 v11, 2, v11
	v_cndmask_b32_e64 v8, v3, v4, s[0:1]
	s_waitcnt vmcnt(0)
	v_add_f32_e32 v7, v10, v7
	v_cmp_o_f32_e32 vcc, v7, v7
	v_cndmask_b32_e32 v7, v3, v7, vcc
	v_cmp_eq_u32_e32 vcc, 0, v15
	s_nop 0
	v_mov_b32_dpp v10, v7 quad_perm:[1,0,3,2] row_mask:0xf bank_mask:0xf bound_ctrl:1
	v_med3_f32 v9, v10, v7, v9
	v_max_f32_e32 v10, v10, v10
	v_max_f32_e32 v10, v10, v7
	v_mov_b32_dpp v12, v9 quad_perm:[2,3,0,1] row_mask:0xf bank_mask:0xf bound_ctrl:1
	v_max_f32_e32 v12, v12, v12
	v_mov_b32_dpp v13, v10 quad_perm:[2,3,0,1] row_mask:0xf bank_mask:0xf bound_ctrl:1
	v_max_f32_e32 v9, v12, v9
	v_max_f32_e32 v12, v13, v13
	v_med3_f32 v9, v13, v10, v9
	v_max_f32_e32 v10, v12, v10
	s_nop 0
	v_mov_b32_dpp v13, v9 row_half_mirror row_mask:0xf bank_mask:0xf bound_ctrl:1
	v_mov_b32_dpp v12, v10 row_half_mirror row_mask:0xf bank_mask:0xf bound_ctrl:1
	v_max_f32_e32 v13, v13, v13
	v_max_f32_e32 v19, v12, v12
	v_max_f32_e32 v9, v13, v9
	v_max_f32_e32 v13, v19, v10
	v_med3_f32 v9, v12, v10, v9
	v_add_f32_e32 v9, v13, v9
	ds_bpermute_b32 v12, v11, v9
	v_cndmask_b32_e32 v9, v3, v4, vcc
	v_cmp_eq_u32_e32 vcc, 0, v14
	v_cndmask_b32_e32 v10, v3, v4, vcc
	v_lshlrev_b32_e32 v11, 2, v6
	s_waitcnt lgkmcnt(0)
	v_mov_b32_dpp v13, v12 quad_perm:[1,0,3,2] row_mask:0xf bank_mask:0xf bound_ctrl:1
	v_med3_f32 v13, v12, v13, v16
	s_nop 1
	v_mov_b32_dpp v19, v13 quad_perm:[2,3,0,1] row_mask:0xf bank_mask:0xf bound_ctrl:1
	v_med3_f32 v13, v13, v19, v17
	s_nop 1
	;; [unrolled: 3-line block ×3, first 2 shown]
	v_mov_b32_dpp v19, v13 row_shl:4 row_mask:0xf bank_mask:0x5 bound_ctrl:1
	s_nop 1
	v_mov_b32_dpp v19, v13 row_shr:4 row_mask:0xf bank_mask:0xa bound_ctrl:1
	v_med3_f32 v8, v13, v19, v8
	v_bfe_i32 v19, v2, 3, 1
	s_nop 0
	v_mov_b32_dpp v13, v8 quad_perm:[2,3,0,1] row_mask:0xf bank_mask:0xf bound_ctrl:1
	v_med3_f32 v8, v8, v13, v9
	s_nop 1
	v_mov_b32_dpp v13, v8 quad_perm:[1,0,3,2] row_mask:0xf bank_mask:0xf bound_ctrl:1
	v_med3_f32 v8, v8, v13, v10
	ds_bpermute_b32 v8, v11, v8 offset:12
	v_add_u32_e32 v13, 0, v1
	ds_write_b32 v13, v7
	s_waitcnt lgkmcnt(1)
	v_cmp_gt_f32_e32 vcc, v12, v8
	v_cndmask_b32_e64 v7, 0, 1, vcc
	v_cmp_eq_f32_e64 s[0:1], v12, v8
	v_cmp_ge_f32_e64 s[2:3], v12, v8
	v_mov_b32_dpp v7, v7 row_shr:1 row_mask:0xf bank_mask:0xf bound_ctrl:1
	v_addc_co_u32_e64 v12, s[8:9], 0, v7, vcc
	v_cndmask_b32_e64 v13, 0, 1, s[0:1]
	s_nop 0
	v_mov_b32_dpp v12, v12 row_shr:2 row_mask:0xf bank_mask:0xf bound_ctrl:1
	v_addc_co_u32_e32 v7, vcc, v12, v7, vcc
	v_mov_b32_dpp v8, v13 row_shr:1 row_mask:0xf bank_mask:0xf bound_ctrl:1
	v_addc_co_u32_e64 v13, s[8:9], 0, v8, s[0:1]
	v_add_u32_dpp v7, v7, v7 row_shr:4 row_mask:0xf bank_mask:0xf bound_ctrl:1
	s_nop 0
	v_mov_b32_dpp v13, v13 row_shr:2 row_mask:0xf bank_mask:0xf bound_ctrl:1
	v_addc_co_u32_e64 v8, vcc, v13, v8, s[0:1]
	v_add_u32_dpp v7, v7, v7 row_shr:8 row_mask:0xf bank_mask:0xf bound_ctrl:1
	s_nop 0
	v_add_u32_dpp v8, v8, v8 row_shr:4 row_mask:0xf bank_mask:0xf bound_ctrl:1
	v_and_b32_dpp v12, v7, v19 row_newbcast:7 row_mask:0xf bank_mask:0xf bound_ctrl:1
	v_sub_u32_e32 v7, v7, v12
	v_add_u32_dpp v8, v8, v8 row_shr:8 row_mask:0xf bank_mask:0xf bound_ctrl:1
	v_readlane_b32 s8, v7, 7
	s_nop 0
	v_and_b32_dpp v13, v8, v19 row_newbcast:7 row_mask:0xf bank_mask:0xf bound_ctrl:1
	v_add_u32_e32 v8, s8, v8
	v_sub_u32_e32 v8, v8, v13
	v_cndmask_b32_e64 v7, v7, v8, s[0:1]
	v_cmp_ge_i32_e32 vcc, s18, v7
	s_and_b64 s[0:1], s[2:3], vcc
	v_cmp_gt_u32_e32 vcc, 8, v0
	s_and_b64 s[2:3], vcc, s[0:1]
	s_and_saveexec_b64 s[0:1], s[2:3]
	s_cbranch_execz .LBB205_2
; %bb.1:
	v_lshl_add_u32 v7, v7, 2, s7
	ds_write_b32 v7, v0 offset:28
.LBB205_2:
	s_or_b64 exec, exec, s[0:1]
	v_lshrrev_b32_e32 v7, 3, v0
	v_and_b32_e32 v7, 0x7c, v7
	v_add_u32_e32 v7, s7, v7
	s_waitcnt lgkmcnt(0)
	s_barrier
	ds_read_b32 v7, v7 offset:32
	v_add_u32_e32 v8, 64, v0
	v_and_b32_e32 v19, 31, v0
	v_lshrrev_b32_e32 v8, 3, v8
	v_and_b32_e32 v8, 0xfc, v8
	s_waitcnt lgkmcnt(0)
	v_lshl_or_b32 v12, v7, 5, v19
	v_add_u32_e32 v8, s7, v8
	v_lshl_add_u32 v7, v12, 2, 0
	ds_read_b32 v8, v8 offset:32
	ds_read_b32 v13, v7
	v_bfe_u32 v22, v0, 3, 1
	v_cmp_eq_u32_e32 vcc, v5, v22
	v_cndmask_b32_e32 v23, v3, v4, vcc
	v_cmp_eq_u32_e32 vcc, v15, v22
	s_waitcnt lgkmcnt(0)
	v_mov_b32_dpp v20, v13 quad_perm:[1,0,3,2] row_mask:0xf bank_mask:0xf bound_ctrl:1
	v_med3_f32 v20, v13, v20, v16
	v_cndmask_b32_e32 v24, v3, v4, vcc
	v_cmp_eq_u32_e32 vcc, v14, v22
	v_mov_b32_dpp v21, v20 quad_perm:[2,3,0,1] row_mask:0xf bank_mask:0xf bound_ctrl:1
	v_med3_f32 v20, v20, v21, v17
	v_cndmask_b32_e32 v25, v3, v4, vcc
	v_bfe_u32 v26, v0, 4, 1
	v_mov_b32_dpp v21, v20 quad_perm:[1,0,3,2] row_mask:0xf bank_mask:0xf bound_ctrl:1
	v_med3_f32 v20, v20, v21, v18
	v_cmp_eq_u32_e32 vcc, v22, v26
	v_cndmask_b32_e32 v27, v3, v4, vcc
	v_mov_b32_dpp v21, v20 row_shl:4 row_mask:0xf bank_mask:0x5 bound_ctrl:1
	v_lshl_or_b32 v7, v8, 5, v19
	v_lshl_add_u32 v8, v7, 2, 0
	v_mov_b32_dpp v21, v20 row_shr:4 row_mask:0xf bank_mask:0xa bound_ctrl:1
	v_med3_f32 v20, v20, v21, v23
	v_cmp_eq_u32_e32 vcc, v5, v26
	ds_read_b32 v8, v8
	v_mov_b32_dpp v21, v20 quad_perm:[2,3,0,1] row_mask:0xf bank_mask:0xf bound_ctrl:1
	v_med3_f32 v20, v20, v21, v24
	v_cndmask_b32_e32 v28, v3, v4, vcc
	v_cmp_eq_u32_e32 vcc, v15, v26
	v_mov_b32_dpp v21, v20 quad_perm:[1,0,3,2] row_mask:0xf bank_mask:0xf bound_ctrl:1
	v_med3_f32 v20, v20, v21, v25
	v_cndmask_b32_e32 v15, v3, v4, vcc
	v_cmp_eq_u32_e32 vcc, v14, v26
	v_mov_b32_dpp v21, v20 row_shl:8 row_mask:0xf bank_mask:0x3 bound_ctrl:1
	v_cndmask_b32_e32 v14, v3, v4, vcc
	v_cmp_gt_u32_e32 vcc, 32, v0
	v_mov_b32_dpp v21, v20 row_shr:8 row_mask:0xf bank_mask:0xc bound_ctrl:1
	v_med3_f32 v20, v20, v21, v27
	v_cmp_lt_u32_e64 s[2:3], 15, v2
	s_lshl_b32 s8, s17, 2
	v_mov_b32_dpp v21, v20 row_shl:4 row_mask:0xf bank_mask:0x5 bound_ctrl:1
	s_add_i32 s12, s7, s8
	s_add_i32 s13, s7, 64
	v_mov_b32_dpp v21, v20 row_shr:4 row_mask:0xf bank_mask:0xa bound_ctrl:1
	v_med3_f32 v20, v20, v21, v28
	s_add_i32 s16, s12, 64
	s_nop 0
	v_mov_b32_dpp v21, v20 quad_perm:[2,3,0,1] row_mask:0xf bank_mask:0xf bound_ctrl:1
	v_med3_f32 v20, v20, v21, v15
	s_nop 1
	v_mov_b32_dpp v21, v20 quad_perm:[1,0,3,2] row_mask:0xf bank_mask:0xf bound_ctrl:1
	v_med3_f32 v20, v20, v21, v14
	s_waitcnt lgkmcnt(0)
	v_mov_b32_dpp v21, v8 quad_perm:[1,0,3,2] row_mask:0xf bank_mask:0xf bound_ctrl:1
	v_med3_f32 v16, v8, v21, v16
	s_nop 1
	v_mov_b32_dpp v21, v16 quad_perm:[2,3,0,1] row_mask:0xf bank_mask:0xf bound_ctrl:1
	v_med3_f32 v16, v16, v21, v17
	s_nop 1
	;; [unrolled: 3-line block ×3, first 2 shown]
	v_mov_b32_dpp v17, v16 row_shl:4 row_mask:0xf bank_mask:0x5 bound_ctrl:1
	s_nop 1
	v_mov_b32_dpp v17, v16 row_shr:4 row_mask:0xf bank_mask:0xa bound_ctrl:1
	v_med3_f32 v16, v16, v17, v23
	s_nop 1
	v_mov_b32_dpp v17, v16 quad_perm:[2,3,0,1] row_mask:0xf bank_mask:0xf bound_ctrl:1
	v_med3_f32 v16, v16, v17, v24
	s_nop 1
	v_mov_b32_dpp v17, v16 quad_perm:[1,0,3,2] row_mask:0xf bank_mask:0xf bound_ctrl:1
	v_med3_f32 v16, v16, v17, v25
	s_nop 1
	v_mov_b32_dpp v17, v16 row_shl:8 row_mask:0xf bank_mask:0x3 bound_ctrl:1
	s_nop 1
	v_mov_b32_dpp v17, v16 row_shr:8 row_mask:0xf bank_mask:0xc bound_ctrl:1
	v_med3_f32 v16, v16, v17, v27
	s_nop 1
	v_mov_b32_dpp v17, v16 row_shl:4 row_mask:0xf bank_mask:0x5 bound_ctrl:1
	s_nop 1
	v_mov_b32_dpp v17, v16 row_shr:4 row_mask:0xf bank_mask:0xa bound_ctrl:1
	v_med3_f32 v16, v16, v17, v28
	s_nop 1
	v_mov_b32_dpp v17, v16 quad_perm:[2,3,0,1] row_mask:0xf bank_mask:0xf bound_ctrl:1
	v_med3_f32 v16, v16, v17, v15
	s_nop 1
	v_mov_b32_dpp v17, v16 quad_perm:[1,0,3,2] row_mask:0xf bank_mask:0xf bound_ctrl:1
	v_med3_f32 v16, v16, v17, v14
	v_lshlrev_b32_e32 v17, 1, v0
	v_bfi_b32 v18, 48, v17, v19
	v_or_b32_e32 v18, v6, v18
	v_lshlrev_b32_e32 v18, 2, v18
	ds_bpermute_b32 v20, v18, v20
	ds_bpermute_b32 v16, v18, v16
	v_xor_b32_e32 v17, v19, v17
	v_and_b32_e32 v17, 48, v17
	s_waitcnt lgkmcnt(0)
	v_cndmask_b32_e32 v16, v16, v20, vcc
	s_nop 1
	v_mov_b32_dpp v18, v16 row_shl:8 row_mask:0xf bank_mask:0x3 bound_ctrl:1
	v_cmp_eq_u32_e32 vcc, 0, v22
	s_nop 0
	v_mov_b32_dpp v18, v16 row_shr:8 row_mask:0xf bank_mask:0xc bound_ctrl:1
	v_med3_f32 v16, v16, v18, v27
	s_nop 1
	v_mov_b32_dpp v18, v16 row_shl:4 row_mask:0xf bank_mask:0x5 bound_ctrl:1
	s_nop 1
	v_mov_b32_dpp v18, v16 row_shr:4 row_mask:0xf bank_mask:0xa bound_ctrl:1
	v_med3_f32 v16, v16, v18, v28
	s_nop 1
	v_mov_b32_dpp v18, v16 quad_perm:[2,3,0,1] row_mask:0xf bank_mask:0xf bound_ctrl:1
	v_med3_f32 v16, v16, v18, v15
	s_nop 1
	v_mov_b32_dpp v18, v16 quad_perm:[1,0,3,2] row_mask:0xf bank_mask:0xf bound_ctrl:1
	v_med3_f32 v16, v16, v18, v14
	v_and_b32_e32 v18, 63, v0
	v_xor_b32_e32 v17, v17, v18
	v_or_b32_e32 v6, v6, v17
	v_lshlrev_b32_e32 v6, 2, v6
	ds_bpermute_b32 v16, v6, v16
	s_waitcnt lgkmcnt(0)
	s_nop 0
	v_mov_b32_dpp v17, v16 row_shl:8 row_mask:0xf bank_mask:0x3 bound_ctrl:1
	s_nop 1
	v_mov_b32_dpp v17, v16 row_shr:8 row_mask:0xf bank_mask:0xc bound_ctrl:1
	v_med3_f32 v16, v16, v17, v27
	s_nop 1
	v_mov_b32_dpp v17, v16 row_shl:4 row_mask:0xf bank_mask:0x5 bound_ctrl:1
	s_nop 1
	v_mov_b32_dpp v17, v16 row_shr:4 row_mask:0xf bank_mask:0xa bound_ctrl:1
	v_med3_f32 v16, v16, v17, v28
	s_nop 1
	v_mov_b32_dpp v17, v16 quad_perm:[2,3,0,1] row_mask:0xf bank_mask:0xf bound_ctrl:1
	v_med3_f32 v15, v16, v17, v15
	s_nop 1
	v_mov_b32_dpp v16, v15 quad_perm:[1,0,3,2] row_mask:0xf bank_mask:0xf bound_ctrl:1
	v_med3_f32 v14, v15, v16, v14
	ds_bpermute_b32 v6, v6, v14
	v_cndmask_b32_e32 v15, v3, v4, vcc
	v_cmp_eq_u32_e32 vcc, 0, v5
	v_cndmask_b32_e32 v3, v3, v4, vcc
	s_waitcnt lgkmcnt(0)
	v_mov_b32_dpp v14, v6 row_shl:8 row_mask:0xf bank_mask:0x3 bound_ctrl:1
	s_nop 1
	v_mov_b32_dpp v14, v6 row_shr:8 row_mask:0xf bank_mask:0xc bound_ctrl:1
	v_med3_f32 v6, v6, v14, v15
	s_nop 1
	v_mov_b32_dpp v14, v6 row_shl:4 row_mask:0xf bank_mask:0x5 bound_ctrl:1
	s_nop 1
	v_mov_b32_dpp v14, v6 row_shr:4 row_mask:0xf bank_mask:0xa bound_ctrl:1
	v_med3_f32 v3, v6, v14, v3
	s_nop 1
	v_mov_b32_dpp v4, v3 quad_perm:[2,3,0,1] row_mask:0xf bank_mask:0xf bound_ctrl:1
	v_med3_f32 v3, v3, v4, v9
	s_nop 1
	v_mov_b32_dpp v4, v3 quad_perm:[1,0,3,2] row_mask:0xf bank_mask:0xf bound_ctrl:1
	v_med3_f32 v3, v3, v4, v10
	ds_bpermute_b32 v3, v11, v3 offset:28
	v_lshlrev_b32_e32 v4, 2, v2
	v_and_b32_e32 v4, 0xc0, v4
	v_add_u32_e32 v5, -4, v4
	v_add_u32_e32 v10, 0xffffffbc, v4
	s_waitcnt lgkmcnt(0)
	v_cmp_gt_f32_e32 vcc, v13, v3
	v_cndmask_b32_e64 v6, 0, 1, vcc
	v_cmp_eq_f32_e64 s[8:9], v13, v3
	s_nop 0
	v_mov_b32_dpp v6, v6 row_shr:1 row_mask:0xf bank_mask:0xf bound_ctrl:1
	v_addc_co_u32_e64 v9, s[0:1], 0, v6, vcc
	s_nop 1
	v_mov_b32_dpp v9, v9 row_shr:2 row_mask:0xf bank_mask:0xf bound_ctrl:1
	v_addc_co_u32_e32 v6, vcc, v9, v6, vcc
	v_cmp_gt_f32_e32 vcc, v8, v3
	s_nop 0
	v_add_u32_dpp v6, v6, v6 row_shr:4 row_mask:0xf bank_mask:0xf bound_ctrl:1
	s_nop 1
	v_add_u32_dpp v6, v6, v6 row_shr:8 row_mask:0xf bank_mask:0xf bound_ctrl:1
	ds_bpermute_b32 v9, v5, v6
	s_waitcnt lgkmcnt(0)
	v_cndmask_b32_e64 v4, 0, v9, s[2:3]
	v_cndmask_b32_e64 v9, 0, 1, vcc
	v_add_u32_e32 v4, v4, v6
	ds_bpermute_b32 v6, v10, v4
	v_mov_b32_dpp v9, v9 row_shr:1 row_mask:0xf bank_mask:0xf bound_ctrl:1
	v_addc_co_u32_e64 v11, s[0:1], 0, v9, vcc
	s_nop 1
	v_mov_b32_dpp v11, v11 row_shr:2 row_mask:0xf bank_mask:0xf bound_ctrl:1
	v_addc_co_u32_e32 v9, vcc, v11, v9, vcc
	v_cmp_lt_u32_e32 vcc, 31, v2
	s_nop 0
	v_add_u32_dpp v9, v9, v9 row_shr:4 row_mask:0xf bank_mask:0xf bound_ctrl:1
	s_waitcnt lgkmcnt(0)
	v_cndmask_b32_e32 v2, 0, v6, vcc
	v_add_u32_e32 v15, v4, v2
	v_add_u32_dpp v9, v9, v9 row_shr:8 row_mask:0xf bank_mask:0xf bound_ctrl:1
	ds_bpermute_b32 v11, v5, v9
	s_waitcnt lgkmcnt(0)
	v_cndmask_b32_e64 v6, 0, v11, s[2:3]
	v_cndmask_b32_e64 v11, 0, 1, s[8:9]
	v_add_u32_e32 v6, v6, v9
	ds_bpermute_b32 v9, v10, v6
	v_mov_b32_dpp v11, v11 row_shr:1 row_mask:0xf bank_mask:0xf bound_ctrl:1
	v_addc_co_u32_e64 v14, s[0:1], 0, v11, s[8:9]
	s_waitcnt lgkmcnt(0)
	v_cndmask_b32_e32 v2, 0, v9, vcc
	v_mov_b32_dpp v14, v14 row_shr:2 row_mask:0xf bank_mask:0xf bound_ctrl:1
	v_addc_co_u32_e64 v11, s[0:1], v14, v11, s[8:9]
	v_readlane_b32 s0, v15, 63
	s_nop 0
	v_add_u32_dpp v11, v11, v11 row_shr:4 row_mask:0xf bank_mask:0xf bound_ctrl:1
	v_add3_u32 v2, v6, s0, v2
	v_cmp_eq_f32_e64 s[0:1], v8, v3
	v_add_u32_dpp v11, v11, v11 row_shr:8 row_mask:0xf bank_mask:0xf bound_ctrl:1
	ds_bpermute_b32 v14, v5, v11
	v_cndmask_b32_e64 v9, 0, 1, s[0:1]
	s_waitcnt lgkmcnt(0)
	v_cndmask_b32_e64 v4, 0, v14, s[2:3]
	v_mov_b32_dpp v9, v9 row_shr:1 row_mask:0xf bank_mask:0xf bound_ctrl:1
	v_add_u32_e32 v4, v4, v11
	v_addc_co_u32_e64 v11, s[10:11], 0, v9, s[0:1]
	ds_bpermute_b32 v6, v10, v4
	s_nop 0
	v_mov_b32_dpp v11, v11 row_shr:2 row_mask:0xf bank_mask:0xf bound_ctrl:1
	v_addc_co_u32_e64 v9, s[10:11], v11, v9, s[0:1]
	v_readlane_b32 s10, v2, 63
	s_nop 0
	v_add_u32_dpp v9, v9, v9 row_shr:4 row_mask:0xf bank_mask:0xf bound_ctrl:1
	s_waitcnt lgkmcnt(0)
	v_cndmask_b32_e32 v6, 0, v6, vcc
	v_add3_u32 v6, v4, s10, v6
	v_add_u32_dpp v9, v9, v9 row_shr:8 row_mask:0xf bank_mask:0xf bound_ctrl:1
	ds_bpermute_b32 v5, v5, v9
	v_readlane_b32 s10, v6, 63
	v_cndmask_b32_e64 v6, v15, v6, s[8:9]
	v_cmp_ge_i32_e64 s[8:9], s17, v6
	s_waitcnt lgkmcnt(0)
	v_cndmask_b32_e64 v4, 0, v5, s[2:3]
	v_add_u32_e32 v4, v4, v9
	ds_bpermute_b32 v5, v10, v4
	v_cmp_ge_f32_e64 s[2:3], v13, v3
	s_and_b64 s[8:9], s[2:3], s[8:9]
	s_and_saveexec_b64 s[2:3], s[8:9]
	s_cbranch_execz .LBB205_4
; %bb.3:
	v_lshl_add_u32 v6, v6, 2, -4
	v_add_u32_e32 v9, s16, v6
	v_add_u32_e32 v6, s13, v6
	ds_write_b32 v6, v12
	ds_write_b32 v9, v13
.LBB205_4:
	s_or_b64 exec, exec, s[2:3]
	s_waitcnt lgkmcnt(0)
	v_cndmask_b32_e32 v5, 0, v5, vcc
	v_add3_u32 v4, v4, s10, v5
	v_cndmask_b32_e64 v2, v2, v4, s[0:1]
	v_cmp_ge_f32_e32 vcc, v8, v3
	v_cmp_ge_i32_e64 s[0:1], s17, v2
	s_and_b64 s[2:3], vcc, s[0:1]
	s_and_saveexec_b64 s[0:1], s[2:3]
	s_cbranch_execz .LBB205_6
; %bb.5:
	v_lshl_add_u32 v2, v2, 2, -4
	v_add_u32_e32 v3, s16, v2
	v_add_u32_e32 v2, s13, v2
	ds_write_b32 v2, v7
	ds_write_b32 v3, v8
.LBB205_6:
	s_or_b64 exec, exec, s[0:1]
	v_cmp_gt_u32_e32 vcc, s17, v0
	s_waitcnt lgkmcnt(0)
	s_barrier
	s_and_saveexec_b64 s[0:1], vcc
	s_cbranch_execz .LBB205_8
; %bb.7:
	v_add_u32_e32 v0, s7, v1
	ds_read_b32 v2, v0 offset:64
	v_mov_b32_e32 v0, s15
	s_load_dwordx2 s[8:9], s[4:5], 0x20
	s_load_dwordx4 s[0:3], s[4:5], 0x10
	s_ashr_i32 s4, s6, 31
	s_waitcnt lgkmcnt(0)
	v_ashrrev_i32_e32 v3, 31, v2
	v_lshlrev_b64 v[4:5], 2, v[2:3]
	v_add_co_u32_e32 v4, vcc, s14, v4
	v_addc_co_u32_e32 v5, vcc, v0, v5, vcc
	global_load_dword v0, v[4:5], off
	v_add_u32_e32 v3, s12, v1
	s_mul_i32 s5, s6, s9
	s_mul_hi_u32 s7, s6, s8
	ds_read_b32 v3, v3 offset:64
	s_mul_i32 s9, s4, s8
	s_add_i32 s5, s7, s5
	s_mul_i32 s4, s6, s8
	s_add_i32 s5, s5, s9
	s_lshl_b64 s[4:5], s[4:5], 2
	s_add_u32 s0, s0, s4
	s_addc_u32 s1, s1, s5
	s_add_u32 s2, s2, s4
	s_addc_u32 s3, s3, s5
	s_waitcnt vmcnt(0) lgkmcnt(0)
	v_sub_f32_e32 v0, v3, v0
	global_store_dword v1, v0, s[0:1]
	global_store_dword v1, v2, s[2:3]
.LBB205_8:
	s_endpgm
	.section	.rodata,"a",@progbits
	.p2align	6, 0x0
	.amdhsa_kernel _ZN5aiter28grouped_topk_opt_sort_kernelIfDv1_fLi8ELb0ELb1ELb0EEEvPT_PKS2_PfPimiiiif
		.amdhsa_group_segment_fixed_size 0
		.amdhsa_private_segment_fixed_size 0
		.amdhsa_kernarg_size 60
		.amdhsa_user_sgpr_count 6
		.amdhsa_user_sgpr_private_segment_buffer 1
		.amdhsa_user_sgpr_dispatch_ptr 0
		.amdhsa_user_sgpr_queue_ptr 0
		.amdhsa_user_sgpr_kernarg_segment_ptr 1
		.amdhsa_user_sgpr_dispatch_id 0
		.amdhsa_user_sgpr_flat_scratch_init 0
		.amdhsa_user_sgpr_kernarg_preload_length 0
		.amdhsa_user_sgpr_kernarg_preload_offset 0
		.amdhsa_user_sgpr_private_segment_size 0
		.amdhsa_uses_dynamic_stack 0
		.amdhsa_system_sgpr_private_segment_wavefront_offset 0
		.amdhsa_system_sgpr_workgroup_id_x 1
		.amdhsa_system_sgpr_workgroup_id_y 0
		.amdhsa_system_sgpr_workgroup_id_z 0
		.amdhsa_system_sgpr_workgroup_info 0
		.amdhsa_system_vgpr_workitem_id 0
		.amdhsa_next_free_vgpr 29
		.amdhsa_next_free_sgpr 20
		.amdhsa_accum_offset 32
		.amdhsa_reserve_vcc 1
		.amdhsa_reserve_flat_scratch 0
		.amdhsa_float_round_mode_32 0
		.amdhsa_float_round_mode_16_64 0
		.amdhsa_float_denorm_mode_32 3
		.amdhsa_float_denorm_mode_16_64 3
		.amdhsa_dx10_clamp 1
		.amdhsa_ieee_mode 1
		.amdhsa_fp16_overflow 0
		.amdhsa_tg_split 0
		.amdhsa_exception_fp_ieee_invalid_op 0
		.amdhsa_exception_fp_denorm_src 0
		.amdhsa_exception_fp_ieee_div_zero 0
		.amdhsa_exception_fp_ieee_overflow 0
		.amdhsa_exception_fp_ieee_underflow 0
		.amdhsa_exception_fp_ieee_inexact 0
		.amdhsa_exception_int_div_zero 0
	.end_amdhsa_kernel
	.section	.text._ZN5aiter28grouped_topk_opt_sort_kernelIfDv1_fLi8ELb0ELb1ELb0EEEvPT_PKS2_PfPimiiiif,"axG",@progbits,_ZN5aiter28grouped_topk_opt_sort_kernelIfDv1_fLi8ELb0ELb1ELb0EEEvPT_PKS2_PfPimiiiif,comdat
.Lfunc_end205:
	.size	_ZN5aiter28grouped_topk_opt_sort_kernelIfDv1_fLi8ELb0ELb1ELb0EEEvPT_PKS2_PfPimiiiif, .Lfunc_end205-_ZN5aiter28grouped_topk_opt_sort_kernelIfDv1_fLi8ELb0ELb1ELb0EEEvPT_PKS2_PfPimiiiif
                                        ; -- End function
	.section	.AMDGPU.csdata,"",@progbits
; Kernel info:
; codeLenInByte = 2756
; NumSgprs: 24
; NumVgprs: 29
; NumAgprs: 0
; TotalNumVgprs: 29
; ScratchSize: 0
; MemoryBound: 0
; FloatMode: 240
; IeeeMode: 1
; LDSByteSize: 0 bytes/workgroup (compile time only)
; SGPRBlocks: 2
; VGPRBlocks: 3
; NumSGPRsForWavesPerEU: 24
; NumVGPRsForWavesPerEU: 29
; AccumOffset: 32
; Occupancy: 8
; WaveLimiterHint : 0
; COMPUTE_PGM_RSRC2:SCRATCH_EN: 0
; COMPUTE_PGM_RSRC2:USER_SGPR: 6
; COMPUTE_PGM_RSRC2:TRAP_HANDLER: 0
; COMPUTE_PGM_RSRC2:TGID_X_EN: 1
; COMPUTE_PGM_RSRC2:TGID_Y_EN: 0
; COMPUTE_PGM_RSRC2:TGID_Z_EN: 0
; COMPUTE_PGM_RSRC2:TIDIG_COMP_CNT: 0
; COMPUTE_PGM_RSRC3_GFX90A:ACCUM_OFFSET: 7
; COMPUTE_PGM_RSRC3_GFX90A:TG_SPLIT: 0
	.section	.text._ZN5aiter28grouped_topk_opt_sort_kernelIN3c104HalfEDv1_fLi8ELb0ELb1ELb0EEEvPT_PKS4_PfPimiiiif,"axG",@progbits,_ZN5aiter28grouped_topk_opt_sort_kernelIN3c104HalfEDv1_fLi8ELb0ELb1ELb0EEEvPT_PKS4_PfPimiiiif,comdat
	.protected	_ZN5aiter28grouped_topk_opt_sort_kernelIN3c104HalfEDv1_fLi8ELb0ELb1ELb0EEEvPT_PKS4_PfPimiiiif ; -- Begin function _ZN5aiter28grouped_topk_opt_sort_kernelIN3c104HalfEDv1_fLi8ELb0ELb1ELb0EEEvPT_PKS4_PfPimiiiif
	.globl	_ZN5aiter28grouped_topk_opt_sort_kernelIN3c104HalfEDv1_fLi8ELb0ELb1ELb0EEEvPT_PKS4_PfPimiiiif
	.p2align	8
	.type	_ZN5aiter28grouped_topk_opt_sort_kernelIN3c104HalfEDv1_fLi8ELb0ELb1ELb0EEEvPT_PKS4_PfPimiiiif,@function
_ZN5aiter28grouped_topk_opt_sort_kernelIN3c104HalfEDv1_fLi8ELb0ELb1ELb0EEEvPT_PKS4_PfPimiiiif: ; @_ZN5aiter28grouped_topk_opt_sort_kernelIN3c104HalfEDv1_fLi8ELb0ELb1ELb0EEEvPT_PKS4_PfPimiiiif
; %bb.0:
	s_load_dwordx4 s[16:19], s[4:5], 0x28
	s_load_dwordx4 s[12:15], s[4:5], 0x0
	v_lshlrev_b32_e32 v3, 1, v0
	v_bfe_u32 v15, v0, 1, 1
	v_and_b32_e32 v14, 1, v0
	s_waitcnt lgkmcnt(0)
	s_lshl_b32 s1, s16, 2
	s_mul_i32 s0, s6, s16
	s_add_i32 s7, s1, 0
	s_ashr_i32 s1, s0, 31
	s_lshl_b64 s[0:1], s[0:1], 1
	s_add_u32 s0, s12, s0
	s_addc_u32 s1, s13, s1
	global_load_ushort v7, v3, s[0:1]
	global_load_ushort v10, v3, s[14:15]
	s_mov_b32 s0, 0x652b82fe
	s_mov_b32 s1, 0xbff71547
	v_mov_b32_e32 v2, 0xff800000
	v_mov_b32_e32 v4, 0x7f800000
	v_bfe_u32 v5, v0, 2, 1
	v_cmp_eq_u32_e32 vcc, v14, v15
	v_cndmask_b32_e32 v16, v2, v4, vcc
	v_cmp_eq_u32_e32 vcc, v15, v5
	s_mov_b32 s2, 0xc2fc0000
	v_cndmask_b32_e32 v17, v2, v4, vcc
	v_cmp_eq_u32_e32 vcc, v14, v5
	v_mov_b32_e32 v11, 0x42800000
	v_cndmask_b32_e32 v18, v2, v4, vcc
	v_mov_b32_e32 v12, 0x1f800000
	v_mov_b32_dpp v6, v2 quad_perm:[1,0,3,2] row_mask:0xf bank_mask:0xf bound_ctrl:1
	v_max_f32_e32 v20, v6, v6
	v_mbcnt_lo_u32_b32 v1, -1, 0
	v_mbcnt_hi_u32_b32 v1, -1, v1
	v_lshlrev_b32_e32 v13, 3, v0
	v_and_b32_e32 v6, 64, v1
	v_and_b32_e32 v19, 4, v0
	s_waitcnt vmcnt(1)
	v_cvt_f32_f16_e32 v7, v7
	v_cvt_f64_f32_e32 v[8:9], v7
	v_mul_f64 v[8:9], v[8:9], s[0:1]
	v_cvt_f32_f64_e32 v7, v[8:9]
	v_cmp_gt_f32_e32 vcc, s2, v7
	v_cndmask_b32_e32 v8, 0, v11, vcc
	v_add_f32_e32 v7, v7, v8
	v_exp_f32_e32 v7, v7
	s_waitcnt vmcnt(0)
	v_cvt_f32_f16_e32 v9, v10
	v_cndmask_b32_e32 v10, 1.0, v12, vcc
	v_and_or_b32 v11, v13, 56, v6
	v_fma_f32 v7, v7, v10, 1.0
	v_rcp_f32_e32 v7, v7
	v_max_f32_e32 v10, 0xff800000, v20
	v_cmp_eq_u32_e64 s[0:1], 0, v19
	v_lshlrev_b32_e32 v11, 2, v11
	v_add_f32_e32 v7, v7, v9
	v_cmp_o_f32_e32 vcc, v7, v7
	v_cndmask_b32_e32 v7, v2, v7, vcc
	v_cndmask_b32_e64 v8, v2, v4, s[0:1]
	v_cmp_eq_u32_e32 vcc, 0, v15
	v_mov_b32_dpp v9, v7 quad_perm:[1,0,3,2] row_mask:0xf bank_mask:0xf bound_ctrl:1
	v_med3_f32 v10, v9, v7, v10
	v_max_f32_e32 v9, v9, v9
	v_max_f32_e32 v9, v9, v7
	v_mov_b32_dpp v12, v10 quad_perm:[2,3,0,1] row_mask:0xf bank_mask:0xf bound_ctrl:1
	v_max_f32_e32 v12, v12, v12
	v_mov_b32_dpp v13, v9 quad_perm:[2,3,0,1] row_mask:0xf bank_mask:0xf bound_ctrl:1
	v_max_f32_e32 v10, v12, v10
	v_max_f32_e32 v12, v13, v13
	v_med3_f32 v10, v13, v9, v10
	v_max_f32_e32 v9, v12, v9
	s_nop 0
	v_mov_b32_dpp v13, v10 row_half_mirror row_mask:0xf bank_mask:0xf bound_ctrl:1
	v_mov_b32_dpp v12, v9 row_half_mirror row_mask:0xf bank_mask:0xf bound_ctrl:1
	v_max_f32_e32 v13, v13, v13
	v_max_f32_e32 v19, v12, v12
	;; [unrolled: 1-line block ×4, first 2 shown]
	v_med3_f32 v9, v12, v9, v10
	v_add_f32_e32 v9, v13, v9
	ds_bpermute_b32 v12, v11, v9
	v_cndmask_b32_e32 v9, v2, v4, vcc
	v_cmp_eq_u32_e32 vcc, 0, v14
	v_cndmask_b32_e32 v10, v2, v4, vcc
	v_lshlrev_b32_e32 v11, 2, v6
	s_waitcnt lgkmcnt(0)
	v_mov_b32_dpp v13, v12 quad_perm:[1,0,3,2] row_mask:0xf bank_mask:0xf bound_ctrl:1
	v_med3_f32 v13, v12, v13, v16
	s_nop 1
	v_mov_b32_dpp v19, v13 quad_perm:[2,3,0,1] row_mask:0xf bank_mask:0xf bound_ctrl:1
	v_med3_f32 v13, v13, v19, v17
	s_nop 1
	;; [unrolled: 3-line block ×3, first 2 shown]
	v_mov_b32_dpp v19, v13 row_shl:4 row_mask:0xf bank_mask:0x5 bound_ctrl:1
	s_nop 1
	v_mov_b32_dpp v19, v13 row_shr:4 row_mask:0xf bank_mask:0xa bound_ctrl:1
	v_med3_f32 v8, v13, v19, v8
	v_bfe_i32 v19, v1, 3, 1
	s_nop 0
	v_mov_b32_dpp v13, v8 quad_perm:[2,3,0,1] row_mask:0xf bank_mask:0xf bound_ctrl:1
	v_med3_f32 v8, v8, v13, v9
	s_nop 1
	v_mov_b32_dpp v13, v8 quad_perm:[1,0,3,2] row_mask:0xf bank_mask:0xf bound_ctrl:1
	v_med3_f32 v8, v8, v13, v10
	ds_bpermute_b32 v8, v11, v8 offset:12
	v_lshl_add_u32 v13, v0, 2, 0
	ds_write_b32 v13, v7
	s_waitcnt lgkmcnt(1)
	v_cmp_gt_f32_e32 vcc, v12, v8
	v_cndmask_b32_e64 v7, 0, 1, vcc
	v_cmp_eq_f32_e64 s[0:1], v12, v8
	v_cmp_ge_f32_e64 s[2:3], v12, v8
	v_mov_b32_dpp v7, v7 row_shr:1 row_mask:0xf bank_mask:0xf bound_ctrl:1
	v_addc_co_u32_e64 v12, s[8:9], 0, v7, vcc
	v_cndmask_b32_e64 v13, 0, 1, s[0:1]
	s_nop 0
	v_mov_b32_dpp v12, v12 row_shr:2 row_mask:0xf bank_mask:0xf bound_ctrl:1
	v_addc_co_u32_e32 v7, vcc, v12, v7, vcc
	v_mov_b32_dpp v8, v13 row_shr:1 row_mask:0xf bank_mask:0xf bound_ctrl:1
	v_addc_co_u32_e64 v13, s[8:9], 0, v8, s[0:1]
	v_add_u32_dpp v7, v7, v7 row_shr:4 row_mask:0xf bank_mask:0xf bound_ctrl:1
	s_nop 0
	v_mov_b32_dpp v13, v13 row_shr:2 row_mask:0xf bank_mask:0xf bound_ctrl:1
	v_addc_co_u32_e64 v8, vcc, v13, v8, s[0:1]
	v_add_u32_dpp v7, v7, v7 row_shr:8 row_mask:0xf bank_mask:0xf bound_ctrl:1
	s_nop 0
	v_add_u32_dpp v8, v8, v8 row_shr:4 row_mask:0xf bank_mask:0xf bound_ctrl:1
	v_and_b32_dpp v12, v7, v19 row_newbcast:7 row_mask:0xf bank_mask:0xf bound_ctrl:1
	v_sub_u32_e32 v7, v7, v12
	v_add_u32_dpp v8, v8, v8 row_shr:8 row_mask:0xf bank_mask:0xf bound_ctrl:1
	v_readlane_b32 s8, v7, 7
	s_nop 0
	v_and_b32_dpp v13, v8, v19 row_newbcast:7 row_mask:0xf bank_mask:0xf bound_ctrl:1
	v_add_u32_e32 v8, s8, v8
	v_sub_u32_e32 v8, v8, v13
	v_cndmask_b32_e64 v7, v7, v8, s[0:1]
	v_cmp_ge_i32_e32 vcc, s18, v7
	s_and_b64 s[0:1], s[2:3], vcc
	v_cmp_gt_u32_e32 vcc, 8, v0
	s_and_b64 s[2:3], vcc, s[0:1]
	s_and_saveexec_b64 s[0:1], s[2:3]
	s_cbranch_execz .LBB206_2
; %bb.1:
	v_lshl_add_u32 v7, v7, 2, s7
	ds_write_b32 v7, v0 offset:28
.LBB206_2:
	s_or_b64 exec, exec, s[0:1]
	v_lshrrev_b32_e32 v7, 3, v0
	v_and_b32_e32 v7, 0x7c, v7
	v_add_u32_e32 v7, s7, v7
	s_waitcnt lgkmcnt(0)
	s_barrier
	ds_read_b32 v7, v7 offset:32
	v_add_u32_e32 v8, 64, v0
	v_and_b32_e32 v19, 31, v0
	v_lshrrev_b32_e32 v8, 3, v8
	v_and_b32_e32 v8, 0xfc, v8
	s_waitcnt lgkmcnt(0)
	v_lshl_or_b32 v12, v7, 5, v19
	v_add_u32_e32 v8, s7, v8
	v_lshl_add_u32 v7, v12, 2, 0
	ds_read_b32 v8, v8 offset:32
	ds_read_b32 v13, v7
	v_bfe_u32 v22, v0, 3, 1
	v_cmp_eq_u32_e32 vcc, v5, v22
	v_cndmask_b32_e32 v23, v2, v4, vcc
	v_cmp_eq_u32_e32 vcc, v15, v22
	s_waitcnt lgkmcnt(0)
	v_mov_b32_dpp v20, v13 quad_perm:[1,0,3,2] row_mask:0xf bank_mask:0xf bound_ctrl:1
	v_med3_f32 v20, v13, v20, v16
	v_cndmask_b32_e32 v24, v2, v4, vcc
	v_cmp_eq_u32_e32 vcc, v14, v22
	v_mov_b32_dpp v21, v20 quad_perm:[2,3,0,1] row_mask:0xf bank_mask:0xf bound_ctrl:1
	v_med3_f32 v20, v20, v21, v17
	v_cndmask_b32_e32 v25, v2, v4, vcc
	v_bfe_u32 v26, v0, 4, 1
	v_mov_b32_dpp v21, v20 quad_perm:[1,0,3,2] row_mask:0xf bank_mask:0xf bound_ctrl:1
	v_med3_f32 v20, v20, v21, v18
	v_cmp_eq_u32_e32 vcc, v22, v26
	v_cndmask_b32_e32 v27, v2, v4, vcc
	v_mov_b32_dpp v21, v20 row_shl:4 row_mask:0xf bank_mask:0x5 bound_ctrl:1
	v_lshl_or_b32 v7, v8, 5, v19
	v_lshl_add_u32 v8, v7, 2, 0
	v_mov_b32_dpp v21, v20 row_shr:4 row_mask:0xf bank_mask:0xa bound_ctrl:1
	v_med3_f32 v20, v20, v21, v23
	v_cmp_eq_u32_e32 vcc, v5, v26
	ds_read_b32 v8, v8
	v_mov_b32_dpp v21, v20 quad_perm:[2,3,0,1] row_mask:0xf bank_mask:0xf bound_ctrl:1
	v_med3_f32 v20, v20, v21, v24
	v_cndmask_b32_e32 v28, v2, v4, vcc
	v_cmp_eq_u32_e32 vcc, v15, v26
	v_mov_b32_dpp v21, v20 quad_perm:[1,0,3,2] row_mask:0xf bank_mask:0xf bound_ctrl:1
	v_med3_f32 v20, v20, v21, v25
	v_cndmask_b32_e32 v15, v2, v4, vcc
	v_cmp_eq_u32_e32 vcc, v14, v26
	v_mov_b32_dpp v21, v20 row_shl:8 row_mask:0xf bank_mask:0x3 bound_ctrl:1
	v_cndmask_b32_e32 v14, v2, v4, vcc
	v_cmp_gt_u32_e32 vcc, 32, v0
	v_mov_b32_dpp v21, v20 row_shr:8 row_mask:0xf bank_mask:0xc bound_ctrl:1
	v_med3_f32 v20, v20, v21, v27
	v_cmp_lt_u32_e64 s[2:3], 15, v1
	s_lshl_b32 s8, s17, 2
	v_mov_b32_dpp v21, v20 row_shl:4 row_mask:0xf bank_mask:0x5 bound_ctrl:1
	s_add_i32 s12, s7, s8
	s_add_i32 s13, s7, 64
	v_mov_b32_dpp v21, v20 row_shr:4 row_mask:0xf bank_mask:0xa bound_ctrl:1
	v_med3_f32 v20, v20, v21, v28
	s_add_i32 s16, s12, 64
	s_nop 0
	v_mov_b32_dpp v21, v20 quad_perm:[2,3,0,1] row_mask:0xf bank_mask:0xf bound_ctrl:1
	v_med3_f32 v20, v20, v21, v15
	s_nop 1
	v_mov_b32_dpp v21, v20 quad_perm:[1,0,3,2] row_mask:0xf bank_mask:0xf bound_ctrl:1
	v_med3_f32 v20, v20, v21, v14
	s_waitcnt lgkmcnt(0)
	v_mov_b32_dpp v21, v8 quad_perm:[1,0,3,2] row_mask:0xf bank_mask:0xf bound_ctrl:1
	v_med3_f32 v16, v8, v21, v16
	s_nop 1
	v_mov_b32_dpp v21, v16 quad_perm:[2,3,0,1] row_mask:0xf bank_mask:0xf bound_ctrl:1
	v_med3_f32 v16, v16, v21, v17
	s_nop 1
	;; [unrolled: 3-line block ×3, first 2 shown]
	v_mov_b32_dpp v17, v16 row_shl:4 row_mask:0xf bank_mask:0x5 bound_ctrl:1
	s_nop 1
	v_mov_b32_dpp v17, v16 row_shr:4 row_mask:0xf bank_mask:0xa bound_ctrl:1
	v_med3_f32 v16, v16, v17, v23
	s_nop 1
	v_mov_b32_dpp v17, v16 quad_perm:[2,3,0,1] row_mask:0xf bank_mask:0xf bound_ctrl:1
	v_med3_f32 v16, v16, v17, v24
	s_nop 1
	v_mov_b32_dpp v17, v16 quad_perm:[1,0,3,2] row_mask:0xf bank_mask:0xf bound_ctrl:1
	v_med3_f32 v16, v16, v17, v25
	s_nop 1
	v_mov_b32_dpp v17, v16 row_shl:8 row_mask:0xf bank_mask:0x3 bound_ctrl:1
	s_nop 1
	v_mov_b32_dpp v17, v16 row_shr:8 row_mask:0xf bank_mask:0xc bound_ctrl:1
	v_med3_f32 v16, v16, v17, v27
	s_nop 1
	v_mov_b32_dpp v17, v16 row_shl:4 row_mask:0xf bank_mask:0x5 bound_ctrl:1
	s_nop 1
	v_mov_b32_dpp v17, v16 row_shr:4 row_mask:0xf bank_mask:0xa bound_ctrl:1
	v_med3_f32 v16, v16, v17, v28
	s_nop 1
	v_mov_b32_dpp v17, v16 quad_perm:[2,3,0,1] row_mask:0xf bank_mask:0xf bound_ctrl:1
	v_med3_f32 v16, v16, v17, v15
	s_nop 1
	v_mov_b32_dpp v17, v16 quad_perm:[1,0,3,2] row_mask:0xf bank_mask:0xf bound_ctrl:1
	v_med3_f32 v16, v16, v17, v14
	v_bfi_b32 v17, 48, v3, v19
	v_or_b32_e32 v17, v6, v17
	v_lshlrev_b32_e32 v17, 2, v17
	ds_bpermute_b32 v18, v17, v20
	ds_bpermute_b32 v16, v17, v16
	v_xor_b32_e32 v3, v19, v3
	v_and_b32_e32 v3, 48, v3
	s_waitcnt lgkmcnt(0)
	v_cndmask_b32_e32 v16, v16, v18, vcc
	s_nop 1
	v_mov_b32_dpp v17, v16 row_shl:8 row_mask:0xf bank_mask:0x3 bound_ctrl:1
	v_cmp_eq_u32_e32 vcc, 0, v22
	s_nop 0
	v_mov_b32_dpp v17, v16 row_shr:8 row_mask:0xf bank_mask:0xc bound_ctrl:1
	v_med3_f32 v16, v16, v17, v27
	s_nop 1
	v_mov_b32_dpp v17, v16 row_shl:4 row_mask:0xf bank_mask:0x5 bound_ctrl:1
	s_nop 1
	v_mov_b32_dpp v17, v16 row_shr:4 row_mask:0xf bank_mask:0xa bound_ctrl:1
	v_med3_f32 v16, v16, v17, v28
	s_nop 1
	v_mov_b32_dpp v17, v16 quad_perm:[2,3,0,1] row_mask:0xf bank_mask:0xf bound_ctrl:1
	v_med3_f32 v16, v16, v17, v15
	s_nop 1
	v_mov_b32_dpp v17, v16 quad_perm:[1,0,3,2] row_mask:0xf bank_mask:0xf bound_ctrl:1
	v_med3_f32 v16, v16, v17, v14
	v_and_b32_e32 v17, 63, v0
	v_xor_b32_e32 v3, v3, v17
	v_or_b32_e32 v3, v6, v3
	v_lshlrev_b32_e32 v3, 2, v3
	ds_bpermute_b32 v6, v3, v16
	s_waitcnt lgkmcnt(0)
	s_nop 0
	v_mov_b32_dpp v16, v6 row_shl:8 row_mask:0xf bank_mask:0x3 bound_ctrl:1
	s_nop 1
	v_mov_b32_dpp v16, v6 row_shr:8 row_mask:0xf bank_mask:0xc bound_ctrl:1
	v_med3_f32 v6, v6, v16, v27
	s_nop 1
	v_mov_b32_dpp v16, v6 row_shl:4 row_mask:0xf bank_mask:0x5 bound_ctrl:1
	s_nop 1
	v_mov_b32_dpp v16, v6 row_shr:4 row_mask:0xf bank_mask:0xa bound_ctrl:1
	v_med3_f32 v6, v6, v16, v28
	s_nop 1
	v_mov_b32_dpp v16, v6 quad_perm:[2,3,0,1] row_mask:0xf bank_mask:0xf bound_ctrl:1
	v_med3_f32 v6, v6, v16, v15
	s_nop 1
	v_mov_b32_dpp v15, v6 quad_perm:[1,0,3,2] row_mask:0xf bank_mask:0xf bound_ctrl:1
	v_med3_f32 v6, v6, v15, v14
	ds_bpermute_b32 v3, v3, v6
	v_cndmask_b32_e32 v14, v2, v4, vcc
	v_cmp_eq_u32_e32 vcc, 0, v5
	v_cndmask_b32_e32 v2, v2, v4, vcc
	s_waitcnt lgkmcnt(0)
	v_mov_b32_dpp v6, v3 row_shl:8 row_mask:0xf bank_mask:0x3 bound_ctrl:1
	s_nop 1
	v_mov_b32_dpp v6, v3 row_shr:8 row_mask:0xf bank_mask:0xc bound_ctrl:1
	v_med3_f32 v3, v3, v6, v14
	s_nop 1
	v_mov_b32_dpp v6, v3 row_shl:4 row_mask:0xf bank_mask:0x5 bound_ctrl:1
	s_nop 1
	v_mov_b32_dpp v6, v3 row_shr:4 row_mask:0xf bank_mask:0xa bound_ctrl:1
	v_med3_f32 v2, v3, v6, v2
	s_nop 1
	v_mov_b32_dpp v3, v2 quad_perm:[2,3,0,1] row_mask:0xf bank_mask:0xf bound_ctrl:1
	v_med3_f32 v2, v2, v3, v9
	s_nop 1
	v_mov_b32_dpp v3, v2 quad_perm:[1,0,3,2] row_mask:0xf bank_mask:0xf bound_ctrl:1
	v_med3_f32 v2, v2, v3, v10
	ds_bpermute_b32 v2, v11, v2 offset:28
	v_lshlrev_b32_e32 v3, 2, v1
	v_and_b32_e32 v3, 0xc0, v3
	v_add_u32_e32 v4, -4, v3
	v_add_u32_e32 v9, 0xffffffbc, v3
	s_waitcnt lgkmcnt(0)
	v_cmp_gt_f32_e32 vcc, v13, v2
	v_cndmask_b32_e64 v5, 0, 1, vcc
	v_cmp_eq_f32_e64 s[8:9], v13, v2
	s_nop 0
	v_mov_b32_dpp v5, v5 row_shr:1 row_mask:0xf bank_mask:0xf bound_ctrl:1
	v_addc_co_u32_e64 v6, s[0:1], 0, v5, vcc
	s_nop 1
	v_mov_b32_dpp v6, v6 row_shr:2 row_mask:0xf bank_mask:0xf bound_ctrl:1
	v_addc_co_u32_e32 v5, vcc, v6, v5, vcc
	v_cmp_gt_f32_e32 vcc, v8, v2
	s_nop 0
	v_add_u32_dpp v5, v5, v5 row_shr:4 row_mask:0xf bank_mask:0xf bound_ctrl:1
	s_nop 1
	v_add_u32_dpp v5, v5, v5 row_shr:8 row_mask:0xf bank_mask:0xf bound_ctrl:1
	ds_bpermute_b32 v6, v4, v5
	s_waitcnt lgkmcnt(0)
	v_cndmask_b32_e64 v3, 0, v6, s[2:3]
	v_cndmask_b32_e64 v6, 0, 1, vcc
	v_add_u32_e32 v3, v3, v5
	ds_bpermute_b32 v5, v9, v3
	v_mov_b32_dpp v6, v6 row_shr:1 row_mask:0xf bank_mask:0xf bound_ctrl:1
	v_addc_co_u32_e64 v10, s[0:1], 0, v6, vcc
	s_nop 1
	v_mov_b32_dpp v10, v10 row_shr:2 row_mask:0xf bank_mask:0xf bound_ctrl:1
	v_addc_co_u32_e32 v6, vcc, v10, v6, vcc
	v_cmp_lt_u32_e32 vcc, 31, v1
	s_nop 0
	v_add_u32_dpp v6, v6, v6 row_shr:4 row_mask:0xf bank_mask:0xf bound_ctrl:1
	s_waitcnt lgkmcnt(0)
	v_cndmask_b32_e32 v1, 0, v5, vcc
	v_add_u32_e32 v14, v3, v1
	v_add_u32_dpp v6, v6, v6 row_shr:8 row_mask:0xf bank_mask:0xf bound_ctrl:1
	ds_bpermute_b32 v10, v4, v6
	s_waitcnt lgkmcnt(0)
	v_cndmask_b32_e64 v5, 0, v10, s[2:3]
	v_cndmask_b32_e64 v10, 0, 1, s[8:9]
	v_add_u32_e32 v5, v5, v6
	ds_bpermute_b32 v6, v9, v5
	v_mov_b32_dpp v10, v10 row_shr:1 row_mask:0xf bank_mask:0xf bound_ctrl:1
	v_addc_co_u32_e64 v11, s[0:1], 0, v10, s[8:9]
	s_waitcnt lgkmcnt(0)
	v_cndmask_b32_e32 v1, 0, v6, vcc
	v_mov_b32_dpp v11, v11 row_shr:2 row_mask:0xf bank_mask:0xf bound_ctrl:1
	v_addc_co_u32_e64 v10, s[0:1], v11, v10, s[8:9]
	v_readlane_b32 s0, v14, 63
	s_nop 0
	v_add_u32_dpp v10, v10, v10 row_shr:4 row_mask:0xf bank_mask:0xf bound_ctrl:1
	v_add3_u32 v1, v5, s0, v1
	v_cmp_eq_f32_e64 s[0:1], v8, v2
	v_add_u32_dpp v10, v10, v10 row_shr:8 row_mask:0xf bank_mask:0xf bound_ctrl:1
	ds_bpermute_b32 v11, v4, v10
	v_cndmask_b32_e64 v6, 0, 1, s[0:1]
	s_waitcnt lgkmcnt(0)
	v_cndmask_b32_e64 v3, 0, v11, s[2:3]
	v_mov_b32_dpp v6, v6 row_shr:1 row_mask:0xf bank_mask:0xf bound_ctrl:1
	v_add_u32_e32 v3, v3, v10
	v_addc_co_u32_e64 v10, s[10:11], 0, v6, s[0:1]
	ds_bpermute_b32 v5, v9, v3
	s_nop 0
	v_mov_b32_dpp v10, v10 row_shr:2 row_mask:0xf bank_mask:0xf bound_ctrl:1
	v_addc_co_u32_e64 v6, s[10:11], v10, v6, s[0:1]
	v_readlane_b32 s10, v1, 63
	s_nop 0
	v_add_u32_dpp v6, v6, v6 row_shr:4 row_mask:0xf bank_mask:0xf bound_ctrl:1
	s_waitcnt lgkmcnt(0)
	v_cndmask_b32_e32 v5, 0, v5, vcc
	v_add3_u32 v5, v3, s10, v5
	v_add_u32_dpp v6, v6, v6 row_shr:8 row_mask:0xf bank_mask:0xf bound_ctrl:1
	ds_bpermute_b32 v4, v4, v6
	v_readlane_b32 s10, v5, 63
	v_cndmask_b32_e64 v5, v14, v5, s[8:9]
	v_cmp_ge_i32_e64 s[8:9], s17, v5
	s_waitcnt lgkmcnt(0)
	v_cndmask_b32_e64 v3, 0, v4, s[2:3]
	v_add_u32_e32 v3, v3, v6
	ds_bpermute_b32 v4, v9, v3
	v_cmp_ge_f32_e64 s[2:3], v13, v2
	s_and_b64 s[8:9], s[2:3], s[8:9]
	s_and_saveexec_b64 s[2:3], s[8:9]
	s_cbranch_execz .LBB206_4
; %bb.3:
	v_lshl_add_u32 v5, v5, 2, -4
	v_add_u32_e32 v6, s16, v5
	v_add_u32_e32 v5, s13, v5
	ds_write_b32 v5, v12
	ds_write_b32 v6, v13
.LBB206_4:
	s_or_b64 exec, exec, s[2:3]
	s_waitcnt lgkmcnt(0)
	v_cndmask_b32_e32 v4, 0, v4, vcc
	v_add3_u32 v3, v3, s10, v4
	v_cndmask_b32_e64 v1, v1, v3, s[0:1]
	v_cmp_ge_f32_e32 vcc, v8, v2
	v_cmp_ge_i32_e64 s[0:1], s17, v1
	s_and_b64 s[2:3], vcc, s[0:1]
	s_and_saveexec_b64 s[0:1], s[2:3]
	s_cbranch_execz .LBB206_6
; %bb.5:
	v_lshl_add_u32 v1, v1, 2, -4
	v_add_u32_e32 v2, s16, v1
	v_add_u32_e32 v1, s13, v1
	ds_write_b32 v1, v7
	ds_write_b32 v2, v8
.LBB206_6:
	s_or_b64 exec, exec, s[0:1]
	v_cmp_gt_u32_e32 vcc, s17, v0
	s_waitcnt lgkmcnt(0)
	s_barrier
	s_and_saveexec_b64 s[0:1], vcc
	s_cbranch_execz .LBB206_8
; %bb.7:
	v_lshlrev_b32_e32 v4, 2, v0
	v_add_u32_e32 v0, s7, v4
	ds_read_b32 v0, v0 offset:64
	v_mov_b32_e32 v5, s15
	s_load_dwordx2 s[8:9], s[4:5], 0x20
	s_load_dwordx4 s[0:3], s[4:5], 0x10
	s_ashr_i32 s4, s6, 31
	s_waitcnt lgkmcnt(0)
	v_ashrrev_i32_e32 v1, 31, v0
	v_lshlrev_b64 v[2:3], 1, v[0:1]
	v_add_co_u32_e32 v2, vcc, s14, v2
	v_addc_co_u32_e32 v3, vcc, v5, v3, vcc
	global_load_ushort v1, v[2:3], off
	v_add_u32_e32 v2, s12, v4
	s_mul_i32 s5, s6, s9
	s_mul_hi_u32 s7, s6, s8
	ds_read_b32 v2, v2 offset:64
	s_mul_i32 s9, s4, s8
	s_add_i32 s5, s7, s5
	s_mul_i32 s4, s6, s8
	s_add_i32 s5, s5, s9
	s_lshl_b64 s[4:5], s[4:5], 2
	s_add_u32 s0, s0, s4
	s_addc_u32 s1, s1, s5
	s_add_u32 s2, s2, s4
	s_addc_u32 s3, s3, s5
	s_waitcnt vmcnt(0)
	v_cvt_f32_f16_e32 v1, v1
	s_waitcnt lgkmcnt(0)
	v_sub_f32_e32 v1, v2, v1
	global_store_dword v4, v1, s[0:1]
	global_store_dword v4, v0, s[2:3]
.LBB206_8:
	s_endpgm
	.section	.rodata,"a",@progbits
	.p2align	6, 0x0
	.amdhsa_kernel _ZN5aiter28grouped_topk_opt_sort_kernelIN3c104HalfEDv1_fLi8ELb0ELb1ELb0EEEvPT_PKS4_PfPimiiiif
		.amdhsa_group_segment_fixed_size 0
		.amdhsa_private_segment_fixed_size 0
		.amdhsa_kernarg_size 60
		.amdhsa_user_sgpr_count 6
		.amdhsa_user_sgpr_private_segment_buffer 1
		.amdhsa_user_sgpr_dispatch_ptr 0
		.amdhsa_user_sgpr_queue_ptr 0
		.amdhsa_user_sgpr_kernarg_segment_ptr 1
		.amdhsa_user_sgpr_dispatch_id 0
		.amdhsa_user_sgpr_flat_scratch_init 0
		.amdhsa_user_sgpr_kernarg_preload_length 0
		.amdhsa_user_sgpr_kernarg_preload_offset 0
		.amdhsa_user_sgpr_private_segment_size 0
		.amdhsa_uses_dynamic_stack 0
		.amdhsa_system_sgpr_private_segment_wavefront_offset 0
		.amdhsa_system_sgpr_workgroup_id_x 1
		.amdhsa_system_sgpr_workgroup_id_y 0
		.amdhsa_system_sgpr_workgroup_id_z 0
		.amdhsa_system_sgpr_workgroup_info 0
		.amdhsa_system_vgpr_workitem_id 0
		.amdhsa_next_free_vgpr 29
		.amdhsa_next_free_sgpr 20
		.amdhsa_accum_offset 32
		.amdhsa_reserve_vcc 1
		.amdhsa_reserve_flat_scratch 0
		.amdhsa_float_round_mode_32 0
		.amdhsa_float_round_mode_16_64 0
		.amdhsa_float_denorm_mode_32 3
		.amdhsa_float_denorm_mode_16_64 3
		.amdhsa_dx10_clamp 1
		.amdhsa_ieee_mode 1
		.amdhsa_fp16_overflow 0
		.amdhsa_tg_split 0
		.amdhsa_exception_fp_ieee_invalid_op 0
		.amdhsa_exception_fp_denorm_src 0
		.amdhsa_exception_fp_ieee_div_zero 0
		.amdhsa_exception_fp_ieee_overflow 0
		.amdhsa_exception_fp_ieee_underflow 0
		.amdhsa_exception_fp_ieee_inexact 0
		.amdhsa_exception_int_div_zero 0
	.end_amdhsa_kernel
	.section	.text._ZN5aiter28grouped_topk_opt_sort_kernelIN3c104HalfEDv1_fLi8ELb0ELb1ELb0EEEvPT_PKS4_PfPimiiiif,"axG",@progbits,_ZN5aiter28grouped_topk_opt_sort_kernelIN3c104HalfEDv1_fLi8ELb0ELb1ELb0EEEvPT_PKS4_PfPimiiiif,comdat
.Lfunc_end206:
	.size	_ZN5aiter28grouped_topk_opt_sort_kernelIN3c104HalfEDv1_fLi8ELb0ELb1ELb0EEEvPT_PKS4_PfPimiiiif, .Lfunc_end206-_ZN5aiter28grouped_topk_opt_sort_kernelIN3c104HalfEDv1_fLi8ELb0ELb1ELb0EEEvPT_PKS4_PfPimiiiif
                                        ; -- End function
	.section	.AMDGPU.csdata,"",@progbits
; Kernel info:
; codeLenInByte = 2772
; NumSgprs: 24
; NumVgprs: 29
; NumAgprs: 0
; TotalNumVgprs: 29
; ScratchSize: 0
; MemoryBound: 0
; FloatMode: 240
; IeeeMode: 1
; LDSByteSize: 0 bytes/workgroup (compile time only)
; SGPRBlocks: 2
; VGPRBlocks: 3
; NumSGPRsForWavesPerEU: 24
; NumVGPRsForWavesPerEU: 29
; AccumOffset: 32
; Occupancy: 8
; WaveLimiterHint : 0
; COMPUTE_PGM_RSRC2:SCRATCH_EN: 0
; COMPUTE_PGM_RSRC2:USER_SGPR: 6
; COMPUTE_PGM_RSRC2:TRAP_HANDLER: 0
; COMPUTE_PGM_RSRC2:TGID_X_EN: 1
; COMPUTE_PGM_RSRC2:TGID_Y_EN: 0
; COMPUTE_PGM_RSRC2:TGID_Z_EN: 0
; COMPUTE_PGM_RSRC2:TIDIG_COMP_CNT: 0
; COMPUTE_PGM_RSRC3_GFX90A:ACCUM_OFFSET: 7
; COMPUTE_PGM_RSRC3_GFX90A:TG_SPLIT: 0
	.section	.text._ZN5aiter28grouped_topk_opt_sort_kernelIN3c108BFloat16EDv1_fLi8ELb0ELb1ELb0EEEvPT_PKS4_PfPimiiiif,"axG",@progbits,_ZN5aiter28grouped_topk_opt_sort_kernelIN3c108BFloat16EDv1_fLi8ELb0ELb1ELb0EEEvPT_PKS4_PfPimiiiif,comdat
	.protected	_ZN5aiter28grouped_topk_opt_sort_kernelIN3c108BFloat16EDv1_fLi8ELb0ELb1ELb0EEEvPT_PKS4_PfPimiiiif ; -- Begin function _ZN5aiter28grouped_topk_opt_sort_kernelIN3c108BFloat16EDv1_fLi8ELb0ELb1ELb0EEEvPT_PKS4_PfPimiiiif
	.globl	_ZN5aiter28grouped_topk_opt_sort_kernelIN3c108BFloat16EDv1_fLi8ELb0ELb1ELb0EEEvPT_PKS4_PfPimiiiif
	.p2align	8
	.type	_ZN5aiter28grouped_topk_opt_sort_kernelIN3c108BFloat16EDv1_fLi8ELb0ELb1ELb0EEEvPT_PKS4_PfPimiiiif,@function
_ZN5aiter28grouped_topk_opt_sort_kernelIN3c108BFloat16EDv1_fLi8ELb0ELb1ELb0EEEvPT_PKS4_PfPimiiiif: ; @_ZN5aiter28grouped_topk_opt_sort_kernelIN3c108BFloat16EDv1_fLi8ELb0ELb1ELb0EEEvPT_PKS4_PfPimiiiif
; %bb.0:
	s_load_dwordx4 s[16:19], s[4:5], 0x28
	s_load_dwordx4 s[12:15], s[4:5], 0x0
	v_lshlrev_b32_e32 v3, 1, v0
	v_bfe_u32 v15, v0, 1, 1
	v_and_b32_e32 v14, 1, v0
	s_waitcnt lgkmcnt(0)
	s_lshl_b32 s1, s16, 2
	s_mul_i32 s0, s6, s16
	s_add_i32 s7, s1, 0
	s_ashr_i32 s1, s0, 31
	s_lshl_b64 s[0:1], s[0:1], 1
	s_add_u32 s0, s12, s0
	s_addc_u32 s1, s13, s1
	global_load_ushort v7, v3, s[0:1]
	global_load_ushort v10, v3, s[14:15]
	s_mov_b32 s0, 0x652b82fe
	s_mov_b32 s1, 0xbff71547
	v_mov_b32_e32 v2, 0xff800000
	v_mov_b32_e32 v4, 0x7f800000
	v_bfe_u32 v5, v0, 2, 1
	v_cmp_eq_u32_e32 vcc, v14, v15
	v_cndmask_b32_e32 v16, v2, v4, vcc
	v_cmp_eq_u32_e32 vcc, v15, v5
	s_mov_b32 s2, 0xc2fc0000
	v_cndmask_b32_e32 v17, v2, v4, vcc
	v_cmp_eq_u32_e32 vcc, v14, v5
	v_mov_b32_e32 v11, 0x42800000
	v_cndmask_b32_e32 v18, v2, v4, vcc
	v_mov_b32_e32 v12, 0x1f800000
	v_mov_b32_dpp v6, v2 quad_perm:[1,0,3,2] row_mask:0xf bank_mask:0xf bound_ctrl:1
	v_max_f32_e32 v20, v6, v6
	v_mbcnt_lo_u32_b32 v1, -1, 0
	v_mbcnt_hi_u32_b32 v1, -1, v1
	v_lshlrev_b32_e32 v13, 3, v0
	v_and_b32_e32 v6, 64, v1
	v_and_b32_e32 v19, 4, v0
	s_waitcnt vmcnt(1)
	v_cvt_f64_u32_e32 v[8:9], v7
	v_mul_f64 v[8:9], v[8:9], s[0:1]
	v_cvt_f32_f64_e32 v7, v[8:9]
	v_cmp_gt_f32_e32 vcc, s2, v7
	v_cndmask_b32_e32 v8, 0, v11, vcc
	v_add_f32_e32 v7, v7, v8
	v_exp_f32_e32 v7, v7
	s_waitcnt vmcnt(0)
	v_cvt_f32_u32_e32 v9, v10
	v_cndmask_b32_e32 v10, 1.0, v12, vcc
	v_and_or_b32 v11, v13, 56, v6
	v_fma_f32 v7, v7, v10, 1.0
	v_rcp_f32_e32 v7, v7
	v_max_f32_e32 v10, 0xff800000, v20
	v_cmp_eq_u32_e64 s[0:1], 0, v19
	v_lshlrev_b32_e32 v11, 2, v11
	v_add_f32_e32 v7, v7, v9
	v_cmp_o_f32_e32 vcc, v7, v7
	v_cndmask_b32_e32 v7, v2, v7, vcc
	v_cndmask_b32_e64 v8, v2, v4, s[0:1]
	v_cmp_eq_u32_e32 vcc, 0, v15
	v_mov_b32_dpp v9, v7 quad_perm:[1,0,3,2] row_mask:0xf bank_mask:0xf bound_ctrl:1
	v_med3_f32 v10, v9, v7, v10
	v_max_f32_e32 v9, v9, v9
	v_max_f32_e32 v9, v9, v7
	v_mov_b32_dpp v12, v10 quad_perm:[2,3,0,1] row_mask:0xf bank_mask:0xf bound_ctrl:1
	v_max_f32_e32 v12, v12, v12
	v_mov_b32_dpp v13, v9 quad_perm:[2,3,0,1] row_mask:0xf bank_mask:0xf bound_ctrl:1
	v_max_f32_e32 v10, v12, v10
	v_max_f32_e32 v12, v13, v13
	v_med3_f32 v10, v13, v9, v10
	v_max_f32_e32 v9, v12, v9
	s_nop 0
	v_mov_b32_dpp v13, v10 row_half_mirror row_mask:0xf bank_mask:0xf bound_ctrl:1
	v_mov_b32_dpp v12, v9 row_half_mirror row_mask:0xf bank_mask:0xf bound_ctrl:1
	v_max_f32_e32 v13, v13, v13
	v_max_f32_e32 v19, v12, v12
	;; [unrolled: 1-line block ×4, first 2 shown]
	v_med3_f32 v9, v12, v9, v10
	v_add_f32_e32 v9, v13, v9
	ds_bpermute_b32 v12, v11, v9
	v_cndmask_b32_e32 v9, v2, v4, vcc
	v_cmp_eq_u32_e32 vcc, 0, v14
	v_cndmask_b32_e32 v10, v2, v4, vcc
	v_lshlrev_b32_e32 v11, 2, v6
	s_waitcnt lgkmcnt(0)
	v_mov_b32_dpp v13, v12 quad_perm:[1,0,3,2] row_mask:0xf bank_mask:0xf bound_ctrl:1
	v_med3_f32 v13, v12, v13, v16
	s_nop 1
	v_mov_b32_dpp v19, v13 quad_perm:[2,3,0,1] row_mask:0xf bank_mask:0xf bound_ctrl:1
	v_med3_f32 v13, v13, v19, v17
	s_nop 1
	;; [unrolled: 3-line block ×3, first 2 shown]
	v_mov_b32_dpp v19, v13 row_shl:4 row_mask:0xf bank_mask:0x5 bound_ctrl:1
	s_nop 1
	v_mov_b32_dpp v19, v13 row_shr:4 row_mask:0xf bank_mask:0xa bound_ctrl:1
	v_med3_f32 v8, v13, v19, v8
	v_bfe_i32 v19, v1, 3, 1
	s_nop 0
	v_mov_b32_dpp v13, v8 quad_perm:[2,3,0,1] row_mask:0xf bank_mask:0xf bound_ctrl:1
	v_med3_f32 v8, v8, v13, v9
	s_nop 1
	v_mov_b32_dpp v13, v8 quad_perm:[1,0,3,2] row_mask:0xf bank_mask:0xf bound_ctrl:1
	v_med3_f32 v8, v8, v13, v10
	ds_bpermute_b32 v8, v11, v8 offset:12
	v_lshl_add_u32 v13, v0, 2, 0
	ds_write_b32 v13, v7
	s_waitcnt lgkmcnt(1)
	v_cmp_gt_f32_e32 vcc, v12, v8
	v_cndmask_b32_e64 v7, 0, 1, vcc
	v_cmp_eq_f32_e64 s[0:1], v12, v8
	v_cmp_ge_f32_e64 s[2:3], v12, v8
	v_mov_b32_dpp v7, v7 row_shr:1 row_mask:0xf bank_mask:0xf bound_ctrl:1
	v_addc_co_u32_e64 v12, s[8:9], 0, v7, vcc
	v_cndmask_b32_e64 v13, 0, 1, s[0:1]
	s_nop 0
	v_mov_b32_dpp v12, v12 row_shr:2 row_mask:0xf bank_mask:0xf bound_ctrl:1
	v_addc_co_u32_e32 v7, vcc, v12, v7, vcc
	v_mov_b32_dpp v8, v13 row_shr:1 row_mask:0xf bank_mask:0xf bound_ctrl:1
	v_addc_co_u32_e64 v13, s[8:9], 0, v8, s[0:1]
	v_add_u32_dpp v7, v7, v7 row_shr:4 row_mask:0xf bank_mask:0xf bound_ctrl:1
	s_nop 0
	v_mov_b32_dpp v13, v13 row_shr:2 row_mask:0xf bank_mask:0xf bound_ctrl:1
	v_addc_co_u32_e64 v8, vcc, v13, v8, s[0:1]
	v_add_u32_dpp v7, v7, v7 row_shr:8 row_mask:0xf bank_mask:0xf bound_ctrl:1
	s_nop 0
	v_add_u32_dpp v8, v8, v8 row_shr:4 row_mask:0xf bank_mask:0xf bound_ctrl:1
	v_and_b32_dpp v12, v7, v19 row_newbcast:7 row_mask:0xf bank_mask:0xf bound_ctrl:1
	v_sub_u32_e32 v7, v7, v12
	v_add_u32_dpp v8, v8, v8 row_shr:8 row_mask:0xf bank_mask:0xf bound_ctrl:1
	v_readlane_b32 s8, v7, 7
	s_nop 0
	v_and_b32_dpp v13, v8, v19 row_newbcast:7 row_mask:0xf bank_mask:0xf bound_ctrl:1
	v_add_u32_e32 v8, s8, v8
	v_sub_u32_e32 v8, v8, v13
	v_cndmask_b32_e64 v7, v7, v8, s[0:1]
	v_cmp_ge_i32_e32 vcc, s18, v7
	s_and_b64 s[0:1], s[2:3], vcc
	v_cmp_gt_u32_e32 vcc, 8, v0
	s_and_b64 s[2:3], vcc, s[0:1]
	s_and_saveexec_b64 s[0:1], s[2:3]
	s_cbranch_execz .LBB207_2
; %bb.1:
	v_lshl_add_u32 v7, v7, 2, s7
	ds_write_b32 v7, v0 offset:28
.LBB207_2:
	s_or_b64 exec, exec, s[0:1]
	v_lshrrev_b32_e32 v7, 3, v0
	v_and_b32_e32 v7, 0x7c, v7
	v_add_u32_e32 v7, s7, v7
	s_waitcnt lgkmcnt(0)
	s_barrier
	ds_read_b32 v7, v7 offset:32
	v_add_u32_e32 v8, 64, v0
	v_and_b32_e32 v19, 31, v0
	v_lshrrev_b32_e32 v8, 3, v8
	v_and_b32_e32 v8, 0xfc, v8
	s_waitcnt lgkmcnt(0)
	v_lshl_or_b32 v12, v7, 5, v19
	v_add_u32_e32 v8, s7, v8
	v_lshl_add_u32 v7, v12, 2, 0
	ds_read_b32 v8, v8 offset:32
	ds_read_b32 v13, v7
	v_bfe_u32 v22, v0, 3, 1
	v_cmp_eq_u32_e32 vcc, v5, v22
	v_cndmask_b32_e32 v23, v2, v4, vcc
	v_cmp_eq_u32_e32 vcc, v15, v22
	s_waitcnt lgkmcnt(0)
	v_mov_b32_dpp v20, v13 quad_perm:[1,0,3,2] row_mask:0xf bank_mask:0xf bound_ctrl:1
	v_med3_f32 v20, v13, v20, v16
	v_cndmask_b32_e32 v24, v2, v4, vcc
	v_cmp_eq_u32_e32 vcc, v14, v22
	v_mov_b32_dpp v21, v20 quad_perm:[2,3,0,1] row_mask:0xf bank_mask:0xf bound_ctrl:1
	v_med3_f32 v20, v20, v21, v17
	v_cndmask_b32_e32 v25, v2, v4, vcc
	v_bfe_u32 v26, v0, 4, 1
	v_mov_b32_dpp v21, v20 quad_perm:[1,0,3,2] row_mask:0xf bank_mask:0xf bound_ctrl:1
	v_med3_f32 v20, v20, v21, v18
	v_cmp_eq_u32_e32 vcc, v22, v26
	v_cndmask_b32_e32 v27, v2, v4, vcc
	v_mov_b32_dpp v21, v20 row_shl:4 row_mask:0xf bank_mask:0x5 bound_ctrl:1
	v_lshl_or_b32 v7, v8, 5, v19
	v_lshl_add_u32 v8, v7, 2, 0
	v_mov_b32_dpp v21, v20 row_shr:4 row_mask:0xf bank_mask:0xa bound_ctrl:1
	v_med3_f32 v20, v20, v21, v23
	v_cmp_eq_u32_e32 vcc, v5, v26
	ds_read_b32 v8, v8
	v_mov_b32_dpp v21, v20 quad_perm:[2,3,0,1] row_mask:0xf bank_mask:0xf bound_ctrl:1
	v_med3_f32 v20, v20, v21, v24
	v_cndmask_b32_e32 v28, v2, v4, vcc
	v_cmp_eq_u32_e32 vcc, v15, v26
	v_mov_b32_dpp v21, v20 quad_perm:[1,0,3,2] row_mask:0xf bank_mask:0xf bound_ctrl:1
	v_med3_f32 v20, v20, v21, v25
	v_cndmask_b32_e32 v15, v2, v4, vcc
	v_cmp_eq_u32_e32 vcc, v14, v26
	v_mov_b32_dpp v21, v20 row_shl:8 row_mask:0xf bank_mask:0x3 bound_ctrl:1
	v_cndmask_b32_e32 v14, v2, v4, vcc
	v_cmp_gt_u32_e32 vcc, 32, v0
	v_mov_b32_dpp v21, v20 row_shr:8 row_mask:0xf bank_mask:0xc bound_ctrl:1
	v_med3_f32 v20, v20, v21, v27
	v_cmp_lt_u32_e64 s[2:3], 15, v1
	s_lshl_b32 s8, s17, 2
	v_mov_b32_dpp v21, v20 row_shl:4 row_mask:0xf bank_mask:0x5 bound_ctrl:1
	s_add_i32 s12, s7, s8
	s_add_i32 s13, s7, 64
	v_mov_b32_dpp v21, v20 row_shr:4 row_mask:0xf bank_mask:0xa bound_ctrl:1
	v_med3_f32 v20, v20, v21, v28
	s_add_i32 s16, s12, 64
	s_nop 0
	v_mov_b32_dpp v21, v20 quad_perm:[2,3,0,1] row_mask:0xf bank_mask:0xf bound_ctrl:1
	v_med3_f32 v20, v20, v21, v15
	s_nop 1
	v_mov_b32_dpp v21, v20 quad_perm:[1,0,3,2] row_mask:0xf bank_mask:0xf bound_ctrl:1
	v_med3_f32 v20, v20, v21, v14
	s_waitcnt lgkmcnt(0)
	v_mov_b32_dpp v21, v8 quad_perm:[1,0,3,2] row_mask:0xf bank_mask:0xf bound_ctrl:1
	v_med3_f32 v16, v8, v21, v16
	s_nop 1
	v_mov_b32_dpp v21, v16 quad_perm:[2,3,0,1] row_mask:0xf bank_mask:0xf bound_ctrl:1
	v_med3_f32 v16, v16, v21, v17
	s_nop 1
	;; [unrolled: 3-line block ×3, first 2 shown]
	v_mov_b32_dpp v17, v16 row_shl:4 row_mask:0xf bank_mask:0x5 bound_ctrl:1
	s_nop 1
	v_mov_b32_dpp v17, v16 row_shr:4 row_mask:0xf bank_mask:0xa bound_ctrl:1
	v_med3_f32 v16, v16, v17, v23
	s_nop 1
	v_mov_b32_dpp v17, v16 quad_perm:[2,3,0,1] row_mask:0xf bank_mask:0xf bound_ctrl:1
	v_med3_f32 v16, v16, v17, v24
	s_nop 1
	v_mov_b32_dpp v17, v16 quad_perm:[1,0,3,2] row_mask:0xf bank_mask:0xf bound_ctrl:1
	v_med3_f32 v16, v16, v17, v25
	s_nop 1
	v_mov_b32_dpp v17, v16 row_shl:8 row_mask:0xf bank_mask:0x3 bound_ctrl:1
	s_nop 1
	v_mov_b32_dpp v17, v16 row_shr:8 row_mask:0xf bank_mask:0xc bound_ctrl:1
	v_med3_f32 v16, v16, v17, v27
	s_nop 1
	v_mov_b32_dpp v17, v16 row_shl:4 row_mask:0xf bank_mask:0x5 bound_ctrl:1
	s_nop 1
	v_mov_b32_dpp v17, v16 row_shr:4 row_mask:0xf bank_mask:0xa bound_ctrl:1
	v_med3_f32 v16, v16, v17, v28
	s_nop 1
	v_mov_b32_dpp v17, v16 quad_perm:[2,3,0,1] row_mask:0xf bank_mask:0xf bound_ctrl:1
	v_med3_f32 v16, v16, v17, v15
	s_nop 1
	v_mov_b32_dpp v17, v16 quad_perm:[1,0,3,2] row_mask:0xf bank_mask:0xf bound_ctrl:1
	v_med3_f32 v16, v16, v17, v14
	v_bfi_b32 v17, 48, v3, v19
	v_or_b32_e32 v17, v6, v17
	v_lshlrev_b32_e32 v17, 2, v17
	ds_bpermute_b32 v18, v17, v20
	ds_bpermute_b32 v16, v17, v16
	v_xor_b32_e32 v3, v19, v3
	v_and_b32_e32 v3, 48, v3
	s_waitcnt lgkmcnt(0)
	v_cndmask_b32_e32 v16, v16, v18, vcc
	s_nop 1
	v_mov_b32_dpp v17, v16 row_shl:8 row_mask:0xf bank_mask:0x3 bound_ctrl:1
	v_cmp_eq_u32_e32 vcc, 0, v22
	s_nop 0
	v_mov_b32_dpp v17, v16 row_shr:8 row_mask:0xf bank_mask:0xc bound_ctrl:1
	v_med3_f32 v16, v16, v17, v27
	s_nop 1
	v_mov_b32_dpp v17, v16 row_shl:4 row_mask:0xf bank_mask:0x5 bound_ctrl:1
	s_nop 1
	v_mov_b32_dpp v17, v16 row_shr:4 row_mask:0xf bank_mask:0xa bound_ctrl:1
	v_med3_f32 v16, v16, v17, v28
	s_nop 1
	v_mov_b32_dpp v17, v16 quad_perm:[2,3,0,1] row_mask:0xf bank_mask:0xf bound_ctrl:1
	v_med3_f32 v16, v16, v17, v15
	s_nop 1
	v_mov_b32_dpp v17, v16 quad_perm:[1,0,3,2] row_mask:0xf bank_mask:0xf bound_ctrl:1
	v_med3_f32 v16, v16, v17, v14
	v_and_b32_e32 v17, 63, v0
	v_xor_b32_e32 v3, v3, v17
	v_or_b32_e32 v3, v6, v3
	v_lshlrev_b32_e32 v3, 2, v3
	ds_bpermute_b32 v6, v3, v16
	s_waitcnt lgkmcnt(0)
	s_nop 0
	v_mov_b32_dpp v16, v6 row_shl:8 row_mask:0xf bank_mask:0x3 bound_ctrl:1
	s_nop 1
	v_mov_b32_dpp v16, v6 row_shr:8 row_mask:0xf bank_mask:0xc bound_ctrl:1
	v_med3_f32 v6, v6, v16, v27
	s_nop 1
	v_mov_b32_dpp v16, v6 row_shl:4 row_mask:0xf bank_mask:0x5 bound_ctrl:1
	s_nop 1
	v_mov_b32_dpp v16, v6 row_shr:4 row_mask:0xf bank_mask:0xa bound_ctrl:1
	v_med3_f32 v6, v6, v16, v28
	s_nop 1
	v_mov_b32_dpp v16, v6 quad_perm:[2,3,0,1] row_mask:0xf bank_mask:0xf bound_ctrl:1
	v_med3_f32 v6, v6, v16, v15
	s_nop 1
	v_mov_b32_dpp v15, v6 quad_perm:[1,0,3,2] row_mask:0xf bank_mask:0xf bound_ctrl:1
	v_med3_f32 v6, v6, v15, v14
	ds_bpermute_b32 v3, v3, v6
	v_cndmask_b32_e32 v14, v2, v4, vcc
	v_cmp_eq_u32_e32 vcc, 0, v5
	v_cndmask_b32_e32 v2, v2, v4, vcc
	s_waitcnt lgkmcnt(0)
	v_mov_b32_dpp v6, v3 row_shl:8 row_mask:0xf bank_mask:0x3 bound_ctrl:1
	s_nop 1
	v_mov_b32_dpp v6, v3 row_shr:8 row_mask:0xf bank_mask:0xc bound_ctrl:1
	v_med3_f32 v3, v3, v6, v14
	s_nop 1
	v_mov_b32_dpp v6, v3 row_shl:4 row_mask:0xf bank_mask:0x5 bound_ctrl:1
	s_nop 1
	v_mov_b32_dpp v6, v3 row_shr:4 row_mask:0xf bank_mask:0xa bound_ctrl:1
	v_med3_f32 v2, v3, v6, v2
	s_nop 1
	v_mov_b32_dpp v3, v2 quad_perm:[2,3,0,1] row_mask:0xf bank_mask:0xf bound_ctrl:1
	v_med3_f32 v2, v2, v3, v9
	s_nop 1
	v_mov_b32_dpp v3, v2 quad_perm:[1,0,3,2] row_mask:0xf bank_mask:0xf bound_ctrl:1
	v_med3_f32 v2, v2, v3, v10
	ds_bpermute_b32 v2, v11, v2 offset:28
	v_lshlrev_b32_e32 v3, 2, v1
	v_and_b32_e32 v3, 0xc0, v3
	v_add_u32_e32 v4, -4, v3
	v_add_u32_e32 v9, 0xffffffbc, v3
	s_waitcnt lgkmcnt(0)
	v_cmp_gt_f32_e32 vcc, v13, v2
	v_cndmask_b32_e64 v5, 0, 1, vcc
	v_cmp_eq_f32_e64 s[8:9], v13, v2
	s_nop 0
	v_mov_b32_dpp v5, v5 row_shr:1 row_mask:0xf bank_mask:0xf bound_ctrl:1
	v_addc_co_u32_e64 v6, s[0:1], 0, v5, vcc
	s_nop 1
	v_mov_b32_dpp v6, v6 row_shr:2 row_mask:0xf bank_mask:0xf bound_ctrl:1
	v_addc_co_u32_e32 v5, vcc, v6, v5, vcc
	v_cmp_gt_f32_e32 vcc, v8, v2
	s_nop 0
	v_add_u32_dpp v5, v5, v5 row_shr:4 row_mask:0xf bank_mask:0xf bound_ctrl:1
	s_nop 1
	v_add_u32_dpp v5, v5, v5 row_shr:8 row_mask:0xf bank_mask:0xf bound_ctrl:1
	ds_bpermute_b32 v6, v4, v5
	s_waitcnt lgkmcnt(0)
	v_cndmask_b32_e64 v3, 0, v6, s[2:3]
	v_cndmask_b32_e64 v6, 0, 1, vcc
	v_add_u32_e32 v3, v3, v5
	ds_bpermute_b32 v5, v9, v3
	v_mov_b32_dpp v6, v6 row_shr:1 row_mask:0xf bank_mask:0xf bound_ctrl:1
	v_addc_co_u32_e64 v10, s[0:1], 0, v6, vcc
	s_nop 1
	v_mov_b32_dpp v10, v10 row_shr:2 row_mask:0xf bank_mask:0xf bound_ctrl:1
	v_addc_co_u32_e32 v6, vcc, v10, v6, vcc
	v_cmp_lt_u32_e32 vcc, 31, v1
	s_nop 0
	v_add_u32_dpp v6, v6, v6 row_shr:4 row_mask:0xf bank_mask:0xf bound_ctrl:1
	s_waitcnt lgkmcnt(0)
	v_cndmask_b32_e32 v1, 0, v5, vcc
	v_add_u32_e32 v14, v3, v1
	v_add_u32_dpp v6, v6, v6 row_shr:8 row_mask:0xf bank_mask:0xf bound_ctrl:1
	ds_bpermute_b32 v10, v4, v6
	s_waitcnt lgkmcnt(0)
	v_cndmask_b32_e64 v5, 0, v10, s[2:3]
	v_cndmask_b32_e64 v10, 0, 1, s[8:9]
	v_add_u32_e32 v5, v5, v6
	ds_bpermute_b32 v6, v9, v5
	v_mov_b32_dpp v10, v10 row_shr:1 row_mask:0xf bank_mask:0xf bound_ctrl:1
	v_addc_co_u32_e64 v11, s[0:1], 0, v10, s[8:9]
	s_waitcnt lgkmcnt(0)
	v_cndmask_b32_e32 v1, 0, v6, vcc
	v_mov_b32_dpp v11, v11 row_shr:2 row_mask:0xf bank_mask:0xf bound_ctrl:1
	v_addc_co_u32_e64 v10, s[0:1], v11, v10, s[8:9]
	v_readlane_b32 s0, v14, 63
	s_nop 0
	v_add_u32_dpp v10, v10, v10 row_shr:4 row_mask:0xf bank_mask:0xf bound_ctrl:1
	v_add3_u32 v1, v5, s0, v1
	v_cmp_eq_f32_e64 s[0:1], v8, v2
	v_add_u32_dpp v10, v10, v10 row_shr:8 row_mask:0xf bank_mask:0xf bound_ctrl:1
	ds_bpermute_b32 v11, v4, v10
	v_cndmask_b32_e64 v6, 0, 1, s[0:1]
	s_waitcnt lgkmcnt(0)
	v_cndmask_b32_e64 v3, 0, v11, s[2:3]
	v_mov_b32_dpp v6, v6 row_shr:1 row_mask:0xf bank_mask:0xf bound_ctrl:1
	v_add_u32_e32 v3, v3, v10
	v_addc_co_u32_e64 v10, s[10:11], 0, v6, s[0:1]
	ds_bpermute_b32 v5, v9, v3
	s_nop 0
	v_mov_b32_dpp v10, v10 row_shr:2 row_mask:0xf bank_mask:0xf bound_ctrl:1
	v_addc_co_u32_e64 v6, s[10:11], v10, v6, s[0:1]
	v_readlane_b32 s10, v1, 63
	s_nop 0
	v_add_u32_dpp v6, v6, v6 row_shr:4 row_mask:0xf bank_mask:0xf bound_ctrl:1
	s_waitcnt lgkmcnt(0)
	v_cndmask_b32_e32 v5, 0, v5, vcc
	v_add3_u32 v5, v3, s10, v5
	v_add_u32_dpp v6, v6, v6 row_shr:8 row_mask:0xf bank_mask:0xf bound_ctrl:1
	ds_bpermute_b32 v4, v4, v6
	v_readlane_b32 s10, v5, 63
	v_cndmask_b32_e64 v5, v14, v5, s[8:9]
	v_cmp_ge_i32_e64 s[8:9], s17, v5
	s_waitcnt lgkmcnt(0)
	v_cndmask_b32_e64 v3, 0, v4, s[2:3]
	v_add_u32_e32 v3, v3, v6
	ds_bpermute_b32 v4, v9, v3
	v_cmp_ge_f32_e64 s[2:3], v13, v2
	s_and_b64 s[8:9], s[2:3], s[8:9]
	s_and_saveexec_b64 s[2:3], s[8:9]
	s_cbranch_execz .LBB207_4
; %bb.3:
	v_lshl_add_u32 v5, v5, 2, -4
	v_add_u32_e32 v6, s16, v5
	v_add_u32_e32 v5, s13, v5
	ds_write_b32 v5, v12
	ds_write_b32 v6, v13
.LBB207_4:
	s_or_b64 exec, exec, s[2:3]
	s_waitcnt lgkmcnt(0)
	v_cndmask_b32_e32 v4, 0, v4, vcc
	v_add3_u32 v3, v3, s10, v4
	v_cndmask_b32_e64 v1, v1, v3, s[0:1]
	v_cmp_ge_f32_e32 vcc, v8, v2
	v_cmp_ge_i32_e64 s[0:1], s17, v1
	s_and_b64 s[2:3], vcc, s[0:1]
	s_and_saveexec_b64 s[0:1], s[2:3]
	s_cbranch_execz .LBB207_6
; %bb.5:
	v_lshl_add_u32 v1, v1, 2, -4
	v_add_u32_e32 v2, s16, v1
	v_add_u32_e32 v1, s13, v1
	ds_write_b32 v1, v7
	ds_write_b32 v2, v8
.LBB207_6:
	s_or_b64 exec, exec, s[0:1]
	v_cmp_gt_u32_e32 vcc, s17, v0
	s_waitcnt lgkmcnt(0)
	s_barrier
	s_and_saveexec_b64 s[0:1], vcc
	s_cbranch_execz .LBB207_8
; %bb.7:
	v_lshlrev_b32_e32 v4, 2, v0
	v_add_u32_e32 v0, s7, v4
	ds_read_b32 v0, v0 offset:64
	v_mov_b32_e32 v5, s15
	s_load_dwordx2 s[8:9], s[4:5], 0x20
	s_load_dwordx4 s[0:3], s[4:5], 0x10
	s_ashr_i32 s4, s6, 31
	s_waitcnt lgkmcnt(0)
	v_ashrrev_i32_e32 v1, 31, v0
	v_lshlrev_b64 v[2:3], 1, v[0:1]
	v_add_co_u32_e32 v2, vcc, s14, v2
	v_addc_co_u32_e32 v3, vcc, v5, v3, vcc
	global_load_ushort v1, v[2:3], off
	v_add_u32_e32 v2, s12, v4
	s_mul_i32 s5, s6, s9
	s_mul_hi_u32 s7, s6, s8
	ds_read_b32 v2, v2 offset:64
	s_mul_i32 s9, s4, s8
	s_add_i32 s5, s7, s5
	s_mul_i32 s4, s6, s8
	s_add_i32 s5, s5, s9
	s_lshl_b64 s[4:5], s[4:5], 2
	s_add_u32 s0, s0, s4
	s_addc_u32 s1, s1, s5
	s_add_u32 s2, s2, s4
	s_addc_u32 s3, s3, s5
	s_waitcnt vmcnt(0)
	v_lshrrev_b16_e32 v3, 8, v1
	v_and_b32_e32 v1, 0xff, v1
	v_lshlrev_b32_e32 v1, 16, v1
	v_lshl_or_b32 v1, v3, 24, v1
	s_waitcnt lgkmcnt(0)
	v_sub_f32_e32 v1, v2, v1
	global_store_dword v4, v1, s[0:1]
	global_store_dword v4, v0, s[2:3]
.LBB207_8:
	s_endpgm
	.section	.rodata,"a",@progbits
	.p2align	6, 0x0
	.amdhsa_kernel _ZN5aiter28grouped_topk_opt_sort_kernelIN3c108BFloat16EDv1_fLi8ELb0ELb1ELb0EEEvPT_PKS4_PfPimiiiif
		.amdhsa_group_segment_fixed_size 0
		.amdhsa_private_segment_fixed_size 0
		.amdhsa_kernarg_size 60
		.amdhsa_user_sgpr_count 6
		.amdhsa_user_sgpr_private_segment_buffer 1
		.amdhsa_user_sgpr_dispatch_ptr 0
		.amdhsa_user_sgpr_queue_ptr 0
		.amdhsa_user_sgpr_kernarg_segment_ptr 1
		.amdhsa_user_sgpr_dispatch_id 0
		.amdhsa_user_sgpr_flat_scratch_init 0
		.amdhsa_user_sgpr_kernarg_preload_length 0
		.amdhsa_user_sgpr_kernarg_preload_offset 0
		.amdhsa_user_sgpr_private_segment_size 0
		.amdhsa_uses_dynamic_stack 0
		.amdhsa_system_sgpr_private_segment_wavefront_offset 0
		.amdhsa_system_sgpr_workgroup_id_x 1
		.amdhsa_system_sgpr_workgroup_id_y 0
		.amdhsa_system_sgpr_workgroup_id_z 0
		.amdhsa_system_sgpr_workgroup_info 0
		.amdhsa_system_vgpr_workitem_id 0
		.amdhsa_next_free_vgpr 29
		.amdhsa_next_free_sgpr 20
		.amdhsa_accum_offset 32
		.amdhsa_reserve_vcc 1
		.amdhsa_reserve_flat_scratch 0
		.amdhsa_float_round_mode_32 0
		.amdhsa_float_round_mode_16_64 0
		.amdhsa_float_denorm_mode_32 3
		.amdhsa_float_denorm_mode_16_64 3
		.amdhsa_dx10_clamp 1
		.amdhsa_ieee_mode 1
		.amdhsa_fp16_overflow 0
		.amdhsa_tg_split 0
		.amdhsa_exception_fp_ieee_invalid_op 0
		.amdhsa_exception_fp_denorm_src 0
		.amdhsa_exception_fp_ieee_div_zero 0
		.amdhsa_exception_fp_ieee_overflow 0
		.amdhsa_exception_fp_ieee_underflow 0
		.amdhsa_exception_fp_ieee_inexact 0
		.amdhsa_exception_int_div_zero 0
	.end_amdhsa_kernel
	.section	.text._ZN5aiter28grouped_topk_opt_sort_kernelIN3c108BFloat16EDv1_fLi8ELb0ELb1ELb0EEEvPT_PKS4_PfPimiiiif,"axG",@progbits,_ZN5aiter28grouped_topk_opt_sort_kernelIN3c108BFloat16EDv1_fLi8ELb0ELb1ELb0EEEvPT_PKS4_PfPimiiiif,comdat
.Lfunc_end207:
	.size	_ZN5aiter28grouped_topk_opt_sort_kernelIN3c108BFloat16EDv1_fLi8ELb0ELb1ELb0EEEvPT_PKS4_PfPimiiiif, .Lfunc_end207-_ZN5aiter28grouped_topk_opt_sort_kernelIN3c108BFloat16EDv1_fLi8ELb0ELb1ELb0EEEvPT_PKS4_PfPimiiiif
                                        ; -- End function
	.section	.AMDGPU.csdata,"",@progbits
; Kernel info:
; codeLenInByte = 2788
; NumSgprs: 24
; NumVgprs: 29
; NumAgprs: 0
; TotalNumVgprs: 29
; ScratchSize: 0
; MemoryBound: 0
; FloatMode: 240
; IeeeMode: 1
; LDSByteSize: 0 bytes/workgroup (compile time only)
; SGPRBlocks: 2
; VGPRBlocks: 3
; NumSGPRsForWavesPerEU: 24
; NumVGPRsForWavesPerEU: 29
; AccumOffset: 32
; Occupancy: 8
; WaveLimiterHint : 0
; COMPUTE_PGM_RSRC2:SCRATCH_EN: 0
; COMPUTE_PGM_RSRC2:USER_SGPR: 6
; COMPUTE_PGM_RSRC2:TRAP_HANDLER: 0
; COMPUTE_PGM_RSRC2:TGID_X_EN: 1
; COMPUTE_PGM_RSRC2:TGID_Y_EN: 0
; COMPUTE_PGM_RSRC2:TGID_Z_EN: 0
; COMPUTE_PGM_RSRC2:TIDIG_COMP_CNT: 0
; COMPUTE_PGM_RSRC3_GFX90A:ACCUM_OFFSET: 7
; COMPUTE_PGM_RSRC3_GFX90A:TG_SPLIT: 0
	.section	.text._ZN5aiter19grouped_topk_kernelIfDv1_fLi8ELb0ELb1ELb0EEEvPT_PKS2_PfPimiiiif,"axG",@progbits,_ZN5aiter19grouped_topk_kernelIfDv1_fLi8ELb0ELb1ELb0EEEvPT_PKS2_PfPimiiiif,comdat
	.protected	_ZN5aiter19grouped_topk_kernelIfDv1_fLi8ELb0ELb1ELb0EEEvPT_PKS2_PfPimiiiif ; -- Begin function _ZN5aiter19grouped_topk_kernelIfDv1_fLi8ELb0ELb1ELb0EEEvPT_PKS2_PfPimiiiif
	.globl	_ZN5aiter19grouped_topk_kernelIfDv1_fLi8ELb0ELb1ELb0EEEvPT_PKS2_PfPimiiiif
	.p2align	8
	.type	_ZN5aiter19grouped_topk_kernelIfDv1_fLi8ELb0ELb1ELb0EEEvPT_PKS2_PfPimiiiif,@function
_ZN5aiter19grouped_topk_kernelIfDv1_fLi8ELb0ELb1ELb0EEEvPT_PKS2_PfPimiiiif: ; @_ZN5aiter19grouped_topk_kernelIfDv1_fLi8ELb0ELb1ELb0EEEvPT_PKS2_PfPimiiiif
; %bb.0:
	s_load_dwordx4 s[12:15], s[4:5], 0x28
	s_load_dwordx4 s[16:19], s[4:5], 0x8
	s_load_dwordx2 s[10:11], s[4:5], 0x18
	v_lshl_add_u32 v1, v0, 2, 0
	s_waitcnt lgkmcnt(0)
	v_cmp_gt_i32_e64 s[0:1], s12, v0
	s_and_saveexec_b64 s[2:3], s[0:1]
	s_cbranch_execz .LBB208_3
; %bb.1:
	s_load_dwordx2 s[8:9], s[4:5], 0x0
	s_load_dword s15, s[4:5], 0x4c
	s_mul_i32 s20, s6, s12
	s_ashr_i32 s21, s20, 31
	s_lshl_b64 s[20:21], s[20:21], 2
	s_waitcnt lgkmcnt(0)
	s_add_u32 s7, s8, s20
	s_addc_u32 s21, s9, s21
	s_and_b32 s15, s15, 0xffff
	v_lshl_add_u32 v4, v0, 2, 0
	s_lshl_b32 s20, s15, 2
	s_mov_b64 s[8:9], 0
	v_mov_b32_e32 v5, s21
	v_mov_b32_e32 v6, s17
	s_mov_b32 s21, 0xbfb8aa3b
	s_mov_b32 s22, 0x42ce8ed0
	;; [unrolled: 1-line block ×3, first 2 shown]
	v_mov_b32_e32 v7, 0x7f800000
	v_mov_b32_e32 v2, v0
.LBB208_2:                              ; =>This Inner Loop Header: Depth=1
	v_ashrrev_i32_e32 v3, 31, v2
	v_lshlrev_b64 v[8:9], 2, v[2:3]
	v_add_co_u32_e32 v10, vcc, s7, v8
	v_addc_co_u32_e32 v11, vcc, v5, v9, vcc
	global_load_dword v3, v[10:11], off
	v_add_co_u32_e32 v8, vcc, s16, v8
	v_addc_co_u32_e32 v9, vcc, v6, v9, vcc
	global_load_dword v8, v[8:9], off
	v_add_u32_e32 v2, s15, v2
	v_cmp_le_i32_e32 vcc, s12, v2
	s_or_b64 s[8:9], vcc, s[8:9]
	s_waitcnt vmcnt(1)
	v_mul_f32_e32 v9, 0xbfb8aa3b, v3
	v_fma_f32 v10, v3, s21, -v9
	v_rndne_f32_e32 v11, v9
	v_fmac_f32_e32 v10, 0xb2a5705f, v3
	v_sub_f32_e32 v9, v9, v11
	v_add_f32_e32 v9, v9, v10
	v_cvt_i32_f32_e32 v11, v11
	v_exp_f32_e32 v9, v9
	v_cmp_nlt_f32_e32 vcc, s22, v3
	v_ldexp_f32 v9, v9, v11
	v_cndmask_b32_e32 v9, 0, v9, vcc
	v_cmp_ngt_f32_e32 vcc, s23, v3
	v_cndmask_b32_e32 v3, v7, v9, vcc
	v_add_f32_e32 v3, 1.0, v3
	v_div_scale_f32 v9, s[24:25], v3, v3, 1.0
	v_rcp_f32_e32 v10, v9
	v_div_scale_f32 v11, vcc, 1.0, v3, 1.0
	v_fma_f32 v12, -v9, v10, 1.0
	v_fmac_f32_e32 v10, v12, v10
	v_mul_f32_e32 v12, v11, v10
	v_fma_f32 v13, -v9, v12, v11
	v_fmac_f32_e32 v12, v13, v10
	v_fma_f32 v9, -v9, v12, v11
	v_div_fmas_f32 v9, v9, v10, v12
	v_div_fixup_f32 v3, v9, v3, 1.0
	s_waitcnt vmcnt(0)
	v_add_f32_e32 v3, v8, v3
	ds_write_b32 v4, v3
	v_add_u32_e32 v4, s20, v4
	s_andn2_b64 exec, exec, s[8:9]
	s_cbranch_execnz .LBB208_2
.LBB208_3:
	s_or_b64 exec, exec, s[2:3]
	s_ashr_i32 s2, s12, 31
	s_lshr_b32 s2, s2, 29
	s_add_i32 s2, s12, s2
	s_ashr_i32 s15, s2, 3
	s_lshl_b32 s2, s12, 2
	s_add_i32 s7, s2, 0
	v_cmp_gt_u32_e32 vcc, 64, v0
	s_waitcnt lgkmcnt(0)
	s_barrier
	s_and_saveexec_b64 s[20:21], vcc
	s_cbranch_execz .LBB208_12
; %bb.4:
	s_load_dword s8, s[4:5], 0x4c
	v_lshrrev_b32_e32 v3, 3, v0
	v_and_b32_e32 v2, 7, v0
	v_mul_lo_u32 v4, s15, v3
	v_lshlrev_b32_e32 v4, 2, v4
	s_waitcnt lgkmcnt(0)
	s_bfe_u32 s28, s8, 0xd0003
	v_lshlrev_b32_e32 v5, 2, v2
	s_mul_i32 s8, s15, s28
	v_cmp_gt_i32_e32 vcc, s15, v2
	v_cmp_eq_u32_e64 s[2:3], 0, v2
	v_add3_u32 v4, v4, v5, 0
	s_lshl_b32 s29, s8, 2
	s_mov_b64 s[22:23], 0
	s_branch .LBB208_6
.LBB208_5:                              ;   in Loop: Header=BB208_6 Depth=1
	s_or_b64 exec, exec, s[24:25]
	v_add_u32_e32 v3, s28, v3
	v_cmp_lt_u32_e64 s[8:9], 7, v3
	s_or_b64 s[22:23], s[8:9], s[22:23]
	v_add_u32_e32 v4, s29, v4
	s_andn2_b64 exec, exec, s[22:23]
	s_cbranch_execz .LBB208_12
.LBB208_6:                              ; =>This Loop Header: Depth=1
                                        ;     Child Loop BB208_8 Depth 2
	v_mov_b32_e32 v5, 0xff800000
	v_mov_b32_e32 v6, 0xff800000
	s_and_saveexec_b64 s[24:25], vcc
	s_cbranch_execz .LBB208_10
; %bb.7:                                ;   in Loop: Header=BB208_6 Depth=1
	s_mov_b64 s[26:27], 0
	v_mov_b32_e32 v5, 0xff800000
	v_mov_b32_e32 v7, v4
	;; [unrolled: 1-line block ×4, first 2 shown]
.LBB208_8:                              ;   Parent Loop BB208_6 Depth=1
                                        ; =>  This Inner Loop Header: Depth=2
	ds_read_b32 v9, v7
	v_add_u32_e32 v8, 8, v8
	v_max_f32_e32 v6, v6, v6
	v_cmp_le_i32_e64 s[8:9], s15, v8
	v_max_f32_e32 v10, v5, v5
	s_waitcnt lgkmcnt(0)
	v_max_f32_e32 v11, v9, v9
	s_or_b64 s[26:27], s[8:9], s[26:27]
	v_max_f32_e32 v6, v11, v6
	v_cmp_gt_f32_e64 s[8:9], v9, v5
	v_add_u32_e32 v7, 32, v7
	v_cndmask_b32_e64 v6, v6, v5, s[8:9]
	v_max_f32_e32 v5, v11, v10
	s_andn2_b64 exec, exec, s[26:27]
	s_cbranch_execnz .LBB208_8
; %bb.9:                                ;   in Loop: Header=BB208_6 Depth=1
	s_or_b64 exec, exec, s[26:27]
.LBB208_10:                             ;   in Loop: Header=BB208_6 Depth=1
	s_or_b64 exec, exec, s[24:25]
	v_mov_b32_dpp v7, v5 quad_perm:[1,0,3,2] row_mask:0xf bank_mask:0xf bound_ctrl:1
	v_mov_b32_dpp v8, v6 quad_perm:[1,0,3,2] row_mask:0xf bank_mask:0xf bound_ctrl:1
	v_max_f32_e32 v9, v7, v7
	v_max_f32_e32 v6, v6, v6
	;; [unrolled: 1-line block ×3, first 2 shown]
	v_cmp_lt_f32_e64 s[8:9], v5, v7
	v_cndmask_b32_e64 v6, v6, v5, s[8:9]
	v_max_f32_e32 v5, v5, v5
	v_max_f32_e32 v5, v9, v5
	;; [unrolled: 1-line block ×5, first 2 shown]
	s_nop 0
	v_mov_b32_dpp v7, v5 quad_perm:[2,3,0,1] row_mask:0xf bank_mask:0xf bound_ctrl:1
	v_max_f32_e32 v9, v7, v7
	v_mov_b32_dpp v8, v6 quad_perm:[2,3,0,1] row_mask:0xf bank_mask:0xf bound_ctrl:1
	v_max_f32_e32 v6, v9, v6
	v_cmp_lt_f32_e64 s[8:9], v5, v7
	v_cndmask_b32_e64 v6, v6, v5, s[8:9]
	v_max_f32_e32 v7, v8, v8
	v_max_f32_e32 v5, v9, v5
	;; [unrolled: 1-line block ×3, first 2 shown]
	s_nop 0
	v_mov_b32_dpp v7, v5 row_half_mirror row_mask:0xf bank_mask:0xf bound_ctrl:1
	v_mov_b32_dpp v6, v8 row_half_mirror row_mask:0xf bank_mask:0xf bound_ctrl:1
	s_and_saveexec_b64 s[24:25], s[2:3]
	s_cbranch_execz .LBB208_5
; %bb.11:                               ;   in Loop: Header=BB208_6 Depth=1
	v_max_f32_e32 v8, v8, v8
	v_max_f32_e32 v10, v7, v7
	;; [unrolled: 1-line block ×3, first 2 shown]
	v_cmp_lt_f32_e64 s[8:9], v5, v7
	v_cndmask_b32_e64 v7, v8, v5, s[8:9]
	v_max_f32_e32 v7, v7, v7
	v_max_f32_e32 v6, v6, v6
	;; [unrolled: 1-line block ×5, first 2 shown]
	v_lshl_add_u32 v9, v3, 2, s7
	v_add_f32_e32 v5, v5, v6
	ds_write_b32 v9, v5
	s_branch .LBB208_5
.LBB208_12:
	s_or_b64 exec, exec, s[20:21]
	s_cmp_lt_i32 s14, 1
	s_waitcnt lgkmcnt(0)
	s_barrier
	s_cbranch_scc1 .LBB208_15
; %bb.13:
	v_mov_b32_e32 v2, s7
	s_mov_b32 s2, 0xff800000
	v_mov_b32_e32 v3, 0xff800000
.LBB208_14:                             ; =>This Inner Loop Header: Depth=1
	ds_read2_b32 v[4:5], v2 offset1:1
	ds_read2_b32 v[6:7], v2 offset0:2 offset1:3
	ds_read2_b32 v[8:9], v2 offset0:4 offset1:5
	;; [unrolled: 1-line block ×3, first 2 shown]
	s_waitcnt lgkmcnt(3)
	v_cmp_nlg_f32_e32 vcc, s2, v4
	v_cndmask_b32_e64 v12, 0, 1, vcc
	v_cmp_lg_f32_e32 vcc, s2, v4
	v_cndmask_b32_e32 v4, v3, v4, vcc
	v_readfirstlane_b32 s3, v12
	v_cmp_gt_f32_e32 vcc, v5, v4
	s_lshl_b32 s3, s3, 3
	v_cndmask_b32_e32 v4, v4, v5, vcc
	s_and_b64 s[8:9], vcc, exec
	s_waitcnt lgkmcnt(2)
	v_cmp_gt_f32_e32 vcc, v6, v4
	v_cndmask_b32_e32 v4, v4, v6, vcc
	s_cselect_b32 s3, 1, s3
	s_and_b64 s[8:9], vcc, exec
	v_cmp_gt_f32_e32 vcc, v7, v4
	v_cndmask_b32_e32 v4, v4, v7, vcc
	s_cselect_b32 s3, 2, s3
	s_and_b64 s[8:9], vcc, exec
	s_waitcnt lgkmcnt(1)
	v_cmp_gt_f32_e32 vcc, v8, v4
	v_cndmask_b32_e32 v4, v4, v8, vcc
	s_cselect_b32 s3, 3, s3
	s_and_b64 s[8:9], vcc, exec
	v_cmp_gt_f32_e32 vcc, v9, v4
	v_cndmask_b32_e32 v4, v4, v9, vcc
	s_cselect_b32 s3, 4, s3
	s_and_b64 s[8:9], vcc, exec
	s_waitcnt lgkmcnt(0)
	v_cmp_gt_f32_e32 vcc, v10, v4
	v_cndmask_b32_e32 v4, v4, v10, vcc
	s_cselect_b32 s3, 5, s3
	s_and_b64 s[8:9], vcc, exec
	v_cmp_ngt_f32_e32 vcc, v11, v4
	s_cselect_b32 s3, 6, s3
	s_and_b64 s[8:9], vcc, exec
	s_cselect_b32 s3, s3, 7
	s_lshl_b32 s3, s3, 2
	s_add_i32 s3, s7, s3
	s_add_i32 s14, s14, -1
	v_mov_b32_e32 v4, s3
	s_cmp_lg_u32 s14, 0
	ds_write_b32 v4, v3
	s_cbranch_scc1 .LBB208_14
.LBB208_15:
	s_and_saveexec_b64 s[2:3], s[0:1]
	s_cbranch_execz .LBB208_20
; %bb.16:
	s_abs_i32 s20, s15
	v_cvt_f32_u32_e32 v3, s20
	s_load_dword s14, s[4:5], 0x4c
	s_ashr_i32 s21, s15, 31
	s_sub_i32 s15, 0, s20
	v_rcp_iflag_f32_e32 v4, v3
	v_lshl_add_u32 v2, v0, 2, 0
	s_waitcnt lgkmcnt(0)
	s_and_b32 s23, s14, 0xffff
	s_mov_b64 s[8:9], 0
	v_mul_f32_e32 v4, 0x4f7ffffe, v4
	v_cvt_u32_f32_e32 v4, v4
	s_mov_b32 s22, 0xff800000
	v_mov_b32_e32 v3, 0xff800000
	s_lshl_b32 s24, s23, 2
	v_mul_lo_u32 v5, s15, v4
	v_mul_hi_u32 v5, v4, v5
	v_add_u32_e32 v4, v4, v5
	v_mov_b32_e32 v5, v0
	s_branch .LBB208_18
.LBB208_17:                             ;   in Loop: Header=BB208_18 Depth=1
	s_or_b64 exec, exec, s[14:15]
	v_add_u32_e32 v5, s23, v5
	v_cmp_le_i32_e32 vcc, s12, v5
	s_or_b64 s[8:9], vcc, s[8:9]
	v_add_u32_e32 v2, s24, v2
	s_andn2_b64 exec, exec, s[8:9]
	s_cbranch_execz .LBB208_20
.LBB208_18:                             ; =>This Inner Loop Header: Depth=1
	v_sub_u32_e32 v7, 0, v5
	v_max_i32_e32 v7, v5, v7
	v_mul_hi_u32 v8, v7, v4
	v_mul_lo_u32 v9, v8, s20
	v_sub_u32_e32 v7, v7, v9
	v_add_u32_e32 v9, 1, v8
	v_cmp_le_u32_e32 vcc, s20, v7
	v_cndmask_b32_e32 v8, v8, v9, vcc
	v_subrev_u32_e32 v9, s20, v7
	v_cndmask_b32_e32 v7, v7, v9, vcc
	v_ashrrev_i32_e32 v6, 31, v5
	v_add_u32_e32 v9, 1, v8
	v_cmp_le_u32_e32 vcc, s20, v7
	v_xor_b32_e32 v6, s21, v6
	v_cndmask_b32_e32 v7, v8, v9, vcc
	v_xor_b32_e32 v7, v7, v6
	v_sub_u32_e32 v6, v7, v6
	v_lshl_add_u32 v6, v6, 2, s7
	ds_read_b32 v6, v6
	s_waitcnt lgkmcnt(0)
	v_cmp_neq_f32_e32 vcc, s22, v6
	s_and_saveexec_b64 s[14:15], vcc
	s_cbranch_execz .LBB208_17
; %bb.19:                               ;   in Loop: Header=BB208_18 Depth=1
	ds_write_b32 v2, v3
	s_branch .LBB208_17
.LBB208_20:
	s_or_b64 exec, exec, s[2:3]
	s_cmp_lt_i32 s13, 1
	s_waitcnt lgkmcnt(0)
	s_barrier
	s_cbranch_scc1 .LBB208_27
; %bb.21:
	s_add_u32 s2, s4, 64
	s_addc_u32 s3, s5, 0
	s_mov_b32 s7, 0
	v_mov_b32_e32 v4, 0xff800000
                                        ; implicit-def: $vgpr3
                                        ; implicit-def: $vgpr2
	s_branch .LBB208_23
.LBB208_22:                             ;   in Loop: Header=BB208_23 Depth=1
	s_or_b64 exec, exec, s[8:9]
	v_mov_b32_dpp v8, v6 quad_perm:[1,0,3,2] row_mask:0xf bank_mask:0xf
	v_cmp_lt_f32_e32 vcc, v6, v8
	v_cndmask_b32_e32 v6, v6, v8, vcc
	v_mov_b32_dpp v7, v5 quad_perm:[1,0,3,2] row_mask:0xf bank_mask:0xf
	v_cndmask_b32_e32 v5, v5, v7, vcc
	v_mov_b32_dpp v8, v6 quad_perm:[2,3,0,1] row_mask:0xf bank_mask:0xf
	v_cmp_gt_f32_e32 vcc, v8, v6
	v_cndmask_b32_e32 v6, v6, v8, vcc
	v_mov_b32_dpp v7, v5 quad_perm:[2,3,0,1] row_mask:0xf bank_mask:0xf
	v_cndmask_b32_e32 v5, v5, v7, vcc
	v_mov_b32_dpp v8, v6 row_half_mirror row_mask:0xf bank_mask:0xf
	v_cmp_gt_f32_e32 vcc, v8, v6
	v_cndmask_b32_e32 v6, v6, v8, vcc
	v_mov_b32_dpp v7, v5 row_half_mirror row_mask:0xf bank_mask:0xf
	v_cndmask_b32_e32 v5, v5, v7, vcc
	v_mov_b32_dpp v8, v6 row_mirror row_mask:0xf bank_mask:0xf
	v_cmp_gt_f32_e32 vcc, v8, v6
	v_cndmask_b32_e32 v6, v6, v8, vcc
	v_mov_b32_dpp v7, v5 row_mirror row_mask:0xf bank_mask:0xf
	v_cndmask_b32_e32 v5, v5, v7, vcc
	v_mov_b32_dpp v8, v6 row_bcast:15 row_mask:0xf bank_mask:0xf
	v_cmp_gt_f32_e32 vcc, v8, v6
	v_mov_b32_dpp v7, v5 row_bcast:15 row_mask:0xf bank_mask:0xf
	v_cndmask_b32_e32 v6, v6, v8, vcc
	v_cndmask_b32_e32 v5, v5, v7, vcc
	s_nop 0
	v_mov_b32_dpp v8, v6 row_bcast:31 row_mask:0xf bank_mask:0xf
	v_mov_b32_dpp v7, v5 row_bcast:31 row_mask:0xf bank_mask:0xf
	v_cmp_gt_f32_e32 vcc, v8, v6
	v_cndmask_b32_e32 v5, v5, v7, vcc
	v_readlane_b32 s8, v5, 63
	s_ashr_i32 s9, s8, 31
	s_lshl_b64 s[14:15], s[8:9], 2
	s_add_u32 s14, s16, s14
	s_addc_u32 s15, s17, s15
	s_load_dword s9, s[14:15], 0x0
	v_cndmask_b32_e32 v5, v6, v8, vcc
	v_readlane_b32 s14, v5, 63
	v_cmp_eq_u32_e32 vcc, s7, v0
	s_add_i32 s7, s7, 1
	s_waitcnt lgkmcnt(0)
	v_mov_b32_e32 v5, s9
	s_lshl_b32 s9, s8, 2
	s_add_i32 s9, s9, 0
	v_mov_b32_e32 v6, s9
	v_sub_f32_e32 v5, s14, v5
	ds_write_b32 v6, v4
	v_mov_b32_e32 v6, s8
	v_cndmask_b32_e32 v2, v2, v6, vcc
	s_cmp_eq_u32 s7, s13
	v_cndmask_b32_e32 v3, v3, v5, vcc
	s_cbranch_scc1 .LBB208_28
.LBB208_23:                             ; =>This Loop Header: Depth=1
                                        ;     Child Loop BB208_25 Depth 2
	v_mov_b32_e32 v5, s7
	v_mov_b32_e32 v6, 0xff800000
	s_and_saveexec_b64 s[8:9], s[0:1]
	s_cbranch_execz .LBB208_22
; %bb.24:                               ;   in Loop: Header=BB208_23 Depth=1
	s_load_dword s20, s[2:3], 0xc
	s_mov_b64 s[14:15], 0
	v_mov_b32_e32 v5, s7
	v_mov_b32_e32 v6, 0xff800000
	v_mov_b32_e32 v7, v1
	s_waitcnt lgkmcnt(0)
	s_and_b32 s20, s20, 0xffff
	s_lshl_b32 s21, s20, 2
	v_mov_b32_e32 v8, v0
.LBB208_25:                             ;   Parent Loop BB208_23 Depth=1
                                        ; =>  This Inner Loop Header: Depth=2
	ds_read_b32 v9, v7
	v_add_u32_e32 v7, s21, v7
	s_waitcnt lgkmcnt(0)
	v_cmp_gt_f32_e32 vcc, v9, v6
	v_cndmask_b32_e32 v5, v5, v8, vcc
	v_add_u32_e32 v8, s20, v8
	v_cndmask_b32_e32 v6, v6, v9, vcc
	v_cmp_le_i32_e32 vcc, s12, v8
	s_or_b64 s[14:15], vcc, s[14:15]
	s_andn2_b64 exec, exec, s[14:15]
	s_cbranch_execnz .LBB208_25
; %bb.26:                               ;   in Loop: Header=BB208_23 Depth=1
	s_or_b64 exec, exec, s[14:15]
	s_branch .LBB208_22
.LBB208_27:
                                        ; implicit-def: $vgpr3
                                        ; implicit-def: $vgpr2
.LBB208_28:
	v_cmp_gt_i32_e32 vcc, s13, v0
	s_and_saveexec_b64 s[0:1], vcc
	s_cbranch_execz .LBB208_31
; %bb.29:
	s_load_dword s2, s[4:5], 0x38
	s_load_dwordx2 s[0:1], s[4:5], 0x20
	s_ashr_i32 s3, s6, 31
	s_load_dword s4, s[4:5], 0x4c
	v_mov_b32_e32 v4, s19
	s_waitcnt lgkmcnt(0)
	v_mul_f32_e32 v1, s2, v3
	s_mul_i32 s1, s6, s1
	s_mul_hi_u32 s2, s6, s0
	s_add_i32 s1, s2, s1
	s_mul_i32 s3, s3, s0
	s_add_i32 s5, s1, s3
	s_mul_i32 s2, s6, s0
	s_and_b32 s3, s4, 0xffff
	s_mov_b64 s[0:1], 0
	v_mov_b32_e32 v3, s5
	v_mov_b32_e32 v5, s11
.LBB208_30:                             ; =>This Inner Loop Header: Depth=1
	v_ashrrev_i32_e32 v7, 31, v0
	v_add_co_u32_e32 v6, vcc, s2, v0
	v_addc_co_u32_e32 v7, vcc, v3, v7, vcc
	v_add_u32_e32 v0, s3, v0
	v_cmp_le_i32_e32 vcc, s13, v0
	v_lshlrev_b64 v[6:7], 2, v[6:7]
	s_or_b64 s[0:1], vcc, s[0:1]
	v_add_co_u32_e32 v8, vcc, s18, v6
	v_addc_co_u32_e32 v9, vcc, v4, v7, vcc
	v_add_co_u32_e32 v6, vcc, s10, v6
	v_addc_co_u32_e32 v7, vcc, v5, v7, vcc
	global_store_dword v[8:9], v1, off
	global_store_dword v[6:7], v2, off
	s_andn2_b64 exec, exec, s[0:1]
	s_cbranch_execnz .LBB208_30
.LBB208_31:
	s_endpgm
	.section	.rodata,"a",@progbits
	.p2align	6, 0x0
	.amdhsa_kernel _ZN5aiter19grouped_topk_kernelIfDv1_fLi8ELb0ELb1ELb0EEEvPT_PKS2_PfPimiiiif
		.amdhsa_group_segment_fixed_size 0
		.amdhsa_private_segment_fixed_size 0
		.amdhsa_kernarg_size 320
		.amdhsa_user_sgpr_count 6
		.amdhsa_user_sgpr_private_segment_buffer 1
		.amdhsa_user_sgpr_dispatch_ptr 0
		.amdhsa_user_sgpr_queue_ptr 0
		.amdhsa_user_sgpr_kernarg_segment_ptr 1
		.amdhsa_user_sgpr_dispatch_id 0
		.amdhsa_user_sgpr_flat_scratch_init 0
		.amdhsa_user_sgpr_kernarg_preload_length 0
		.amdhsa_user_sgpr_kernarg_preload_offset 0
		.amdhsa_user_sgpr_private_segment_size 0
		.amdhsa_uses_dynamic_stack 0
		.amdhsa_system_sgpr_private_segment_wavefront_offset 0
		.amdhsa_system_sgpr_workgroup_id_x 1
		.amdhsa_system_sgpr_workgroup_id_y 0
		.amdhsa_system_sgpr_workgroup_id_z 0
		.amdhsa_system_sgpr_workgroup_info 0
		.amdhsa_system_vgpr_workitem_id 0
		.amdhsa_next_free_vgpr 14
		.amdhsa_next_free_sgpr 30
		.amdhsa_accum_offset 16
		.amdhsa_reserve_vcc 1
		.amdhsa_reserve_flat_scratch 0
		.amdhsa_float_round_mode_32 0
		.amdhsa_float_round_mode_16_64 0
		.amdhsa_float_denorm_mode_32 3
		.amdhsa_float_denorm_mode_16_64 3
		.amdhsa_dx10_clamp 1
		.amdhsa_ieee_mode 1
		.amdhsa_fp16_overflow 0
		.amdhsa_tg_split 0
		.amdhsa_exception_fp_ieee_invalid_op 0
		.amdhsa_exception_fp_denorm_src 0
		.amdhsa_exception_fp_ieee_div_zero 0
		.amdhsa_exception_fp_ieee_overflow 0
		.amdhsa_exception_fp_ieee_underflow 0
		.amdhsa_exception_fp_ieee_inexact 0
		.amdhsa_exception_int_div_zero 0
	.end_amdhsa_kernel
	.section	.text._ZN5aiter19grouped_topk_kernelIfDv1_fLi8ELb0ELb1ELb0EEEvPT_PKS2_PfPimiiiif,"axG",@progbits,_ZN5aiter19grouped_topk_kernelIfDv1_fLi8ELb0ELb1ELb0EEEvPT_PKS2_PfPimiiiif,comdat
.Lfunc_end208:
	.size	_ZN5aiter19grouped_topk_kernelIfDv1_fLi8ELb0ELb1ELb0EEEvPT_PKS2_PfPimiiiif, .Lfunc_end208-_ZN5aiter19grouped_topk_kernelIfDv1_fLi8ELb0ELb1ELb0EEEvPT_PKS2_PfPimiiiif
                                        ; -- End function
	.section	.AMDGPU.csdata,"",@progbits
; Kernel info:
; codeLenInByte = 2048
; NumSgprs: 34
; NumVgprs: 14
; NumAgprs: 0
; TotalNumVgprs: 14
; ScratchSize: 0
; MemoryBound: 0
; FloatMode: 240
; IeeeMode: 1
; LDSByteSize: 0 bytes/workgroup (compile time only)
; SGPRBlocks: 4
; VGPRBlocks: 1
; NumSGPRsForWavesPerEU: 34
; NumVGPRsForWavesPerEU: 14
; AccumOffset: 16
; Occupancy: 8
; WaveLimiterHint : 0
; COMPUTE_PGM_RSRC2:SCRATCH_EN: 0
; COMPUTE_PGM_RSRC2:USER_SGPR: 6
; COMPUTE_PGM_RSRC2:TRAP_HANDLER: 0
; COMPUTE_PGM_RSRC2:TGID_X_EN: 1
; COMPUTE_PGM_RSRC2:TGID_Y_EN: 0
; COMPUTE_PGM_RSRC2:TGID_Z_EN: 0
; COMPUTE_PGM_RSRC2:TIDIG_COMP_CNT: 0
; COMPUTE_PGM_RSRC3_GFX90A:ACCUM_OFFSET: 3
; COMPUTE_PGM_RSRC3_GFX90A:TG_SPLIT: 0
	.section	.text._ZN5aiter19grouped_topk_kernelIN3c104HalfEDv1_fLi8ELb0ELb1ELb0EEEvPT_PKS4_PfPimiiiif,"axG",@progbits,_ZN5aiter19grouped_topk_kernelIN3c104HalfEDv1_fLi8ELb0ELb1ELb0EEEvPT_PKS4_PfPimiiiif,comdat
	.protected	_ZN5aiter19grouped_topk_kernelIN3c104HalfEDv1_fLi8ELb0ELb1ELb0EEEvPT_PKS4_PfPimiiiif ; -- Begin function _ZN5aiter19grouped_topk_kernelIN3c104HalfEDv1_fLi8ELb0ELb1ELb0EEEvPT_PKS4_PfPimiiiif
	.globl	_ZN5aiter19grouped_topk_kernelIN3c104HalfEDv1_fLi8ELb0ELb1ELb0EEEvPT_PKS4_PfPimiiiif
	.p2align	8
	.type	_ZN5aiter19grouped_topk_kernelIN3c104HalfEDv1_fLi8ELb0ELb1ELb0EEEvPT_PKS4_PfPimiiiif,@function
_ZN5aiter19grouped_topk_kernelIN3c104HalfEDv1_fLi8ELb0ELb1ELb0EEEvPT_PKS4_PfPimiiiif: ; @_ZN5aiter19grouped_topk_kernelIN3c104HalfEDv1_fLi8ELb0ELb1ELb0EEEvPT_PKS4_PfPimiiiif
; %bb.0:
	s_load_dwordx4 s[12:15], s[4:5], 0x28
	s_load_dwordx4 s[16:19], s[4:5], 0x8
	s_load_dwordx2 s[10:11], s[4:5], 0x18
	v_lshl_add_u32 v1, v0, 2, 0
	s_waitcnt lgkmcnt(0)
	v_cmp_gt_i32_e64 s[0:1], s12, v0
	s_and_saveexec_b64 s[2:3], s[0:1]
	s_cbranch_execz .LBB209_3
; %bb.1:
	s_load_dwordx2 s[8:9], s[4:5], 0x0
	s_load_dword s15, s[4:5], 0x4c
	s_mul_i32 s20, s6, s12
	s_ashr_i32 s21, s20, 31
	s_lshl_b64 s[20:21], s[20:21], 1
	s_waitcnt lgkmcnt(0)
	s_add_u32 s7, s8, s20
	s_addc_u32 s21, s9, s21
	s_and_b32 s15, s15, 0xffff
	v_lshl_add_u32 v4, v0, 2, 0
	s_lshl_b32 s20, s15, 2
	s_mov_b64 s[8:9], 0
	v_mov_b32_e32 v5, s21
	v_mov_b32_e32 v6, s17
	s_mov_b32 s21, 0x3fb8aa3b
	s_mov_b32 s22, 0x32a5705f
	;; [unrolled: 1-line block ×4, first 2 shown]
	v_mov_b32_e32 v7, 0x7f800000
	v_mov_b32_e32 v2, v0
.LBB209_2:                              ; =>This Inner Loop Header: Depth=1
	v_ashrrev_i32_e32 v3, 31, v2
	v_lshlrev_b64 v[8:9], 1, v[2:3]
	v_add_co_u32_e32 v10, vcc, s7, v8
	v_addc_co_u32_e32 v11, vcc, v5, v9, vcc
	v_add_co_u32_e32 v8, vcc, s16, v8
	v_addc_co_u32_e32 v9, vcc, v6, v9, vcc
	global_load_ushort v3, v[10:11], off
	global_load_ushort v12, v[8:9], off
	v_add_u32_e32 v2, s15, v2
	v_cmp_le_i32_e32 vcc, s12, v2
	s_or_b64 s[8:9], vcc, s[8:9]
	s_waitcnt vmcnt(1)
	v_cvt_f32_f16_e64 v8, -v3
	s_waitcnt vmcnt(0)
	v_cvt_f32_f16_e32 v9, v12
	v_mul_f32_e32 v10, 0x3fb8aa3b, v8
	v_fma_mix_f32 v11, -v3, s21, -v10 op_sel_hi:[1,0,0]
	v_rndne_f32_e32 v12, v10
	v_fma_mix_f32 v3, -v3, s22, v11 op_sel_hi:[1,0,0]
	v_sub_f32_e32 v10, v10, v12
	v_add_f32_e32 v3, v10, v3
	v_cvt_i32_f32_e32 v11, v12
	v_exp_f32_e32 v3, v3
	v_cmp_ngt_f32_e32 vcc, s23, v8
	v_ldexp_f32 v3, v3, v11
	v_cndmask_b32_e32 v3, 0, v3, vcc
	v_cmp_nlt_f32_e32 vcc, s24, v8
	v_cndmask_b32_e32 v3, v7, v3, vcc
	v_add_f32_e32 v3, 1.0, v3
	v_div_scale_f32 v8, s[26:27], v3, v3, 1.0
	v_rcp_f32_e32 v10, v8
	v_div_scale_f32 v11, vcc, 1.0, v3, 1.0
	v_fma_f32 v12, -v8, v10, 1.0
	v_fmac_f32_e32 v10, v12, v10
	v_mul_f32_e32 v12, v11, v10
	v_fma_f32 v13, -v8, v12, v11
	v_fmac_f32_e32 v12, v13, v10
	v_fma_f32 v8, -v8, v12, v11
	v_div_fmas_f32 v8, v8, v10, v12
	v_div_fixup_f32 v3, v8, v3, 1.0
	v_add_f32_e32 v3, v3, v9
	ds_write_b32 v4, v3
	v_add_u32_e32 v4, s20, v4
	s_andn2_b64 exec, exec, s[8:9]
	s_cbranch_execnz .LBB209_2
.LBB209_3:
	s_or_b64 exec, exec, s[2:3]
	s_ashr_i32 s2, s12, 31
	s_lshr_b32 s2, s2, 29
	s_add_i32 s2, s12, s2
	s_ashr_i32 s15, s2, 3
	s_lshl_b32 s2, s12, 2
	s_add_i32 s7, s2, 0
	v_cmp_gt_u32_e32 vcc, 64, v0
	s_waitcnt lgkmcnt(0)
	s_barrier
	s_and_saveexec_b64 s[20:21], vcc
	s_cbranch_execz .LBB209_12
; %bb.4:
	s_load_dword s8, s[4:5], 0x4c
	v_lshrrev_b32_e32 v3, 3, v0
	v_and_b32_e32 v2, 7, v0
	v_mul_lo_u32 v4, s15, v3
	v_lshlrev_b32_e32 v4, 2, v4
	s_waitcnt lgkmcnt(0)
	s_bfe_u32 s28, s8, 0xd0003
	v_lshlrev_b32_e32 v5, 2, v2
	s_mul_i32 s8, s15, s28
	v_cmp_gt_i32_e32 vcc, s15, v2
	v_cmp_eq_u32_e64 s[2:3], 0, v2
	v_add3_u32 v4, v4, v5, 0
	s_lshl_b32 s29, s8, 2
	s_mov_b64 s[22:23], 0
	s_branch .LBB209_6
.LBB209_5:                              ;   in Loop: Header=BB209_6 Depth=1
	s_or_b64 exec, exec, s[24:25]
	v_add_u32_e32 v3, s28, v3
	v_cmp_lt_u32_e64 s[8:9], 7, v3
	s_or_b64 s[22:23], s[8:9], s[22:23]
	v_add_u32_e32 v4, s29, v4
	s_andn2_b64 exec, exec, s[22:23]
	s_cbranch_execz .LBB209_12
.LBB209_6:                              ; =>This Loop Header: Depth=1
                                        ;     Child Loop BB209_8 Depth 2
	v_mov_b32_e32 v5, 0xff800000
	v_mov_b32_e32 v6, 0xff800000
	s_and_saveexec_b64 s[24:25], vcc
	s_cbranch_execz .LBB209_10
; %bb.7:                                ;   in Loop: Header=BB209_6 Depth=1
	s_mov_b64 s[26:27], 0
	v_mov_b32_e32 v5, 0xff800000
	v_mov_b32_e32 v7, v4
	;; [unrolled: 1-line block ×4, first 2 shown]
.LBB209_8:                              ;   Parent Loop BB209_6 Depth=1
                                        ; =>  This Inner Loop Header: Depth=2
	ds_read_b32 v9, v7
	v_add_u32_e32 v8, 8, v8
	v_max_f32_e32 v6, v6, v6
	v_cmp_le_i32_e64 s[8:9], s15, v8
	v_max_f32_e32 v10, v5, v5
	s_waitcnt lgkmcnt(0)
	v_max_f32_e32 v11, v9, v9
	s_or_b64 s[26:27], s[8:9], s[26:27]
	v_max_f32_e32 v6, v11, v6
	v_cmp_gt_f32_e64 s[8:9], v9, v5
	v_add_u32_e32 v7, 32, v7
	v_cndmask_b32_e64 v6, v6, v5, s[8:9]
	v_max_f32_e32 v5, v11, v10
	s_andn2_b64 exec, exec, s[26:27]
	s_cbranch_execnz .LBB209_8
; %bb.9:                                ;   in Loop: Header=BB209_6 Depth=1
	s_or_b64 exec, exec, s[26:27]
.LBB209_10:                             ;   in Loop: Header=BB209_6 Depth=1
	s_or_b64 exec, exec, s[24:25]
	v_mov_b32_dpp v7, v5 quad_perm:[1,0,3,2] row_mask:0xf bank_mask:0xf bound_ctrl:1
	v_mov_b32_dpp v8, v6 quad_perm:[1,0,3,2] row_mask:0xf bank_mask:0xf bound_ctrl:1
	v_max_f32_e32 v9, v7, v7
	v_max_f32_e32 v6, v6, v6
	;; [unrolled: 1-line block ×3, first 2 shown]
	v_cmp_lt_f32_e64 s[8:9], v5, v7
	v_cndmask_b32_e64 v6, v6, v5, s[8:9]
	v_max_f32_e32 v5, v5, v5
	v_max_f32_e32 v5, v9, v5
	;; [unrolled: 1-line block ×5, first 2 shown]
	s_nop 0
	v_mov_b32_dpp v7, v5 quad_perm:[2,3,0,1] row_mask:0xf bank_mask:0xf bound_ctrl:1
	v_max_f32_e32 v9, v7, v7
	v_mov_b32_dpp v8, v6 quad_perm:[2,3,0,1] row_mask:0xf bank_mask:0xf bound_ctrl:1
	v_max_f32_e32 v6, v9, v6
	v_cmp_lt_f32_e64 s[8:9], v5, v7
	v_cndmask_b32_e64 v6, v6, v5, s[8:9]
	v_max_f32_e32 v7, v8, v8
	v_max_f32_e32 v5, v9, v5
	;; [unrolled: 1-line block ×3, first 2 shown]
	s_nop 0
	v_mov_b32_dpp v7, v5 row_half_mirror row_mask:0xf bank_mask:0xf bound_ctrl:1
	v_mov_b32_dpp v6, v8 row_half_mirror row_mask:0xf bank_mask:0xf bound_ctrl:1
	s_and_saveexec_b64 s[24:25], s[2:3]
	s_cbranch_execz .LBB209_5
; %bb.11:                               ;   in Loop: Header=BB209_6 Depth=1
	v_max_f32_e32 v8, v8, v8
	v_max_f32_e32 v10, v7, v7
	v_max_f32_e32 v8, v10, v8
	v_cmp_lt_f32_e64 s[8:9], v5, v7
	v_cndmask_b32_e64 v7, v8, v5, s[8:9]
	v_max_f32_e32 v7, v7, v7
	v_max_f32_e32 v6, v6, v6
	;; [unrolled: 1-line block ×5, first 2 shown]
	v_lshl_add_u32 v9, v3, 2, s7
	v_add_f32_e32 v5, v5, v6
	ds_write_b32 v9, v5
	s_branch .LBB209_5
.LBB209_12:
	s_or_b64 exec, exec, s[20:21]
	s_cmp_lt_i32 s14, 1
	s_waitcnt lgkmcnt(0)
	s_barrier
	s_cbranch_scc1 .LBB209_15
; %bb.13:
	v_mov_b32_e32 v2, s7
	s_mov_b32 s2, 0xff800000
	v_mov_b32_e32 v3, 0xff800000
.LBB209_14:                             ; =>This Inner Loop Header: Depth=1
	ds_read2_b32 v[4:5], v2 offset1:1
	ds_read2_b32 v[6:7], v2 offset0:2 offset1:3
	ds_read2_b32 v[8:9], v2 offset0:4 offset1:5
	;; [unrolled: 1-line block ×3, first 2 shown]
	s_waitcnt lgkmcnt(3)
	v_cmp_nlg_f32_e32 vcc, s2, v4
	v_cndmask_b32_e64 v12, 0, 1, vcc
	v_cmp_lg_f32_e32 vcc, s2, v4
	v_cndmask_b32_e32 v4, v3, v4, vcc
	v_readfirstlane_b32 s3, v12
	v_cmp_gt_f32_e32 vcc, v5, v4
	s_lshl_b32 s3, s3, 3
	v_cndmask_b32_e32 v4, v4, v5, vcc
	s_and_b64 s[8:9], vcc, exec
	s_waitcnt lgkmcnt(2)
	v_cmp_gt_f32_e32 vcc, v6, v4
	v_cndmask_b32_e32 v4, v4, v6, vcc
	s_cselect_b32 s3, 1, s3
	s_and_b64 s[8:9], vcc, exec
	v_cmp_gt_f32_e32 vcc, v7, v4
	v_cndmask_b32_e32 v4, v4, v7, vcc
	s_cselect_b32 s3, 2, s3
	s_and_b64 s[8:9], vcc, exec
	s_waitcnt lgkmcnt(1)
	v_cmp_gt_f32_e32 vcc, v8, v4
	v_cndmask_b32_e32 v4, v4, v8, vcc
	s_cselect_b32 s3, 3, s3
	s_and_b64 s[8:9], vcc, exec
	v_cmp_gt_f32_e32 vcc, v9, v4
	v_cndmask_b32_e32 v4, v4, v9, vcc
	s_cselect_b32 s3, 4, s3
	s_and_b64 s[8:9], vcc, exec
	s_waitcnt lgkmcnt(0)
	v_cmp_gt_f32_e32 vcc, v10, v4
	v_cndmask_b32_e32 v4, v4, v10, vcc
	s_cselect_b32 s3, 5, s3
	s_and_b64 s[8:9], vcc, exec
	v_cmp_ngt_f32_e32 vcc, v11, v4
	s_cselect_b32 s3, 6, s3
	s_and_b64 s[8:9], vcc, exec
	s_cselect_b32 s3, s3, 7
	s_lshl_b32 s3, s3, 2
	s_add_i32 s3, s7, s3
	s_add_i32 s14, s14, -1
	v_mov_b32_e32 v4, s3
	s_cmp_lg_u32 s14, 0
	ds_write_b32 v4, v3
	s_cbranch_scc1 .LBB209_14
.LBB209_15:
	s_and_saveexec_b64 s[2:3], s[0:1]
	s_cbranch_execz .LBB209_20
; %bb.16:
	s_abs_i32 s20, s15
	v_cvt_f32_u32_e32 v3, s20
	s_load_dword s14, s[4:5], 0x4c
	s_ashr_i32 s21, s15, 31
	s_sub_i32 s15, 0, s20
	v_rcp_iflag_f32_e32 v4, v3
	v_lshl_add_u32 v2, v0, 2, 0
	s_waitcnt lgkmcnt(0)
	s_and_b32 s23, s14, 0xffff
	s_mov_b64 s[8:9], 0
	v_mul_f32_e32 v4, 0x4f7ffffe, v4
	v_cvt_u32_f32_e32 v4, v4
	s_mov_b32 s22, 0xff800000
	v_mov_b32_e32 v3, 0xff800000
	s_lshl_b32 s24, s23, 2
	v_mul_lo_u32 v5, s15, v4
	v_mul_hi_u32 v5, v4, v5
	v_add_u32_e32 v4, v4, v5
	v_mov_b32_e32 v5, v0
	s_branch .LBB209_18
.LBB209_17:                             ;   in Loop: Header=BB209_18 Depth=1
	s_or_b64 exec, exec, s[14:15]
	v_add_u32_e32 v5, s23, v5
	v_cmp_le_i32_e32 vcc, s12, v5
	s_or_b64 s[8:9], vcc, s[8:9]
	v_add_u32_e32 v2, s24, v2
	s_andn2_b64 exec, exec, s[8:9]
	s_cbranch_execz .LBB209_20
.LBB209_18:                             ; =>This Inner Loop Header: Depth=1
	v_sub_u32_e32 v7, 0, v5
	v_max_i32_e32 v7, v5, v7
	v_mul_hi_u32 v8, v7, v4
	v_mul_lo_u32 v9, v8, s20
	v_sub_u32_e32 v7, v7, v9
	v_add_u32_e32 v9, 1, v8
	v_cmp_le_u32_e32 vcc, s20, v7
	v_cndmask_b32_e32 v8, v8, v9, vcc
	v_subrev_u32_e32 v9, s20, v7
	v_cndmask_b32_e32 v7, v7, v9, vcc
	v_ashrrev_i32_e32 v6, 31, v5
	v_add_u32_e32 v9, 1, v8
	v_cmp_le_u32_e32 vcc, s20, v7
	v_xor_b32_e32 v6, s21, v6
	v_cndmask_b32_e32 v7, v8, v9, vcc
	v_xor_b32_e32 v7, v7, v6
	v_sub_u32_e32 v6, v7, v6
	v_lshl_add_u32 v6, v6, 2, s7
	ds_read_b32 v6, v6
	s_waitcnt lgkmcnt(0)
	v_cmp_neq_f32_e32 vcc, s22, v6
	s_and_saveexec_b64 s[14:15], vcc
	s_cbranch_execz .LBB209_17
; %bb.19:                               ;   in Loop: Header=BB209_18 Depth=1
	ds_write_b32 v2, v3
	s_branch .LBB209_17
.LBB209_20:
	s_or_b64 exec, exec, s[2:3]
	s_cmp_lt_i32 s13, 1
	s_waitcnt lgkmcnt(0)
	s_barrier
	s_cbranch_scc1 .LBB209_27
; %bb.21:
	s_add_u32 s2, s4, 64
	s_addc_u32 s3, s5, 0
	s_mov_b32 s7, 0
	v_mov_b32_e32 v4, 0
	v_mov_b32_e32 v5, 0xff800000
                                        ; implicit-def: $vgpr3
                                        ; implicit-def: $vgpr2
	s_branch .LBB209_23
.LBB209_22:                             ;   in Loop: Header=BB209_23 Depth=1
	s_or_b64 exec, exec, s[8:9]
	v_mov_b32_dpp v9, v7 quad_perm:[1,0,3,2] row_mask:0xf bank_mask:0xf
	v_cmp_lt_f32_e32 vcc, v7, v9
	v_cndmask_b32_e32 v7, v7, v9, vcc
	v_mov_b32_dpp v8, v6 quad_perm:[1,0,3,2] row_mask:0xf bank_mask:0xf
	v_cndmask_b32_e32 v6, v6, v8, vcc
	v_mov_b32_dpp v9, v7 quad_perm:[2,3,0,1] row_mask:0xf bank_mask:0xf
	v_cmp_gt_f32_e32 vcc, v9, v7
	v_cndmask_b32_e32 v7, v7, v9, vcc
	v_mov_b32_dpp v8, v6 quad_perm:[2,3,0,1] row_mask:0xf bank_mask:0xf
	v_cndmask_b32_e32 v6, v6, v8, vcc
	v_mov_b32_dpp v9, v7 row_half_mirror row_mask:0xf bank_mask:0xf
	v_cmp_gt_f32_e32 vcc, v9, v7
	v_cndmask_b32_e32 v7, v7, v9, vcc
	v_mov_b32_dpp v8, v6 row_half_mirror row_mask:0xf bank_mask:0xf
	v_cndmask_b32_e32 v6, v6, v8, vcc
	v_mov_b32_dpp v9, v7 row_mirror row_mask:0xf bank_mask:0xf
	v_cmp_gt_f32_e32 vcc, v9, v7
	v_cndmask_b32_e32 v7, v7, v9, vcc
	v_mov_b32_dpp v8, v6 row_mirror row_mask:0xf bank_mask:0xf
	v_cndmask_b32_e32 v6, v6, v8, vcc
	v_mov_b32_dpp v9, v7 row_bcast:15 row_mask:0xf bank_mask:0xf
	v_cmp_gt_f32_e32 vcc, v9, v7
	v_mov_b32_dpp v8, v6 row_bcast:15 row_mask:0xf bank_mask:0xf
	v_cndmask_b32_e32 v7, v7, v9, vcc
	v_cndmask_b32_e32 v6, v6, v8, vcc
	s_nop 0
	v_mov_b32_dpp v9, v7 row_bcast:31 row_mask:0xf bank_mask:0xf
	v_mov_b32_dpp v8, v6 row_bcast:31 row_mask:0xf bank_mask:0xf
	v_cmp_gt_f32_e32 vcc, v9, v7
	v_cndmask_b32_e32 v6, v6, v8, vcc
	v_readlane_b32 s8, v6, 63
	s_ashr_i32 s9, s8, 31
	s_lshl_b64 s[14:15], s[8:9], 1
	s_add_u32 s14, s16, s14
	s_addc_u32 s15, s17, s15
	global_load_ushort v6, v4, s[14:15]
	v_cndmask_b32_e32 v7, v7, v9, vcc
	v_readlane_b32 s9, v7, 63
	v_mov_b32_e32 v7, s8
	s_lshl_b32 s8, s8, 2
	v_cmp_eq_u32_e32 vcc, s7, v0
	s_add_i32 s7, s7, 1
	s_add_i32 s8, s8, 0
	v_cndmask_b32_e32 v2, v2, v7, vcc
	v_mov_b32_e32 v7, s8
	s_cmp_eq_u32 s7, s13
	ds_write_b32 v7, v5
	s_waitcnt vmcnt(0)
	v_cvt_f32_f16_e32 v6, v6
	v_sub_f32_e32 v6, s9, v6
	v_cndmask_b32_e32 v3, v3, v6, vcc
	s_cbranch_scc1 .LBB209_28
.LBB209_23:                             ; =>This Loop Header: Depth=1
                                        ;     Child Loop BB209_25 Depth 2
	v_mov_b32_e32 v6, s7
	v_mov_b32_e32 v7, 0xff800000
	s_and_saveexec_b64 s[8:9], s[0:1]
	s_cbranch_execz .LBB209_22
; %bb.24:                               ;   in Loop: Header=BB209_23 Depth=1
	s_load_dword s20, s[2:3], 0xc
	s_mov_b64 s[14:15], 0
	v_mov_b32_e32 v6, s7
	v_mov_b32_e32 v7, 0xff800000
	;; [unrolled: 1-line block ×3, first 2 shown]
	s_waitcnt lgkmcnt(0)
	s_and_b32 s20, s20, 0xffff
	s_lshl_b32 s21, s20, 2
	v_mov_b32_e32 v9, v0
.LBB209_25:                             ;   Parent Loop BB209_23 Depth=1
                                        ; =>  This Inner Loop Header: Depth=2
	ds_read_b32 v10, v8
	v_add_u32_e32 v8, s21, v8
	s_waitcnt lgkmcnt(0)
	v_cmp_gt_f32_e32 vcc, v10, v7
	v_cndmask_b32_e32 v6, v6, v9, vcc
	v_add_u32_e32 v9, s20, v9
	v_cndmask_b32_e32 v7, v7, v10, vcc
	v_cmp_le_i32_e32 vcc, s12, v9
	s_or_b64 s[14:15], vcc, s[14:15]
	s_andn2_b64 exec, exec, s[14:15]
	s_cbranch_execnz .LBB209_25
; %bb.26:                               ;   in Loop: Header=BB209_23 Depth=1
	s_or_b64 exec, exec, s[14:15]
	s_branch .LBB209_22
.LBB209_27:
                                        ; implicit-def: $vgpr3
                                        ; implicit-def: $vgpr2
.LBB209_28:
	v_cmp_gt_i32_e32 vcc, s13, v0
	s_and_saveexec_b64 s[0:1], vcc
	s_cbranch_execz .LBB209_31
; %bb.29:
	s_load_dword s2, s[4:5], 0x38
	s_load_dwordx2 s[0:1], s[4:5], 0x20
	s_ashr_i32 s3, s6, 31
	s_load_dword s4, s[4:5], 0x4c
	v_mov_b32_e32 v4, s19
	s_waitcnt lgkmcnt(0)
	v_mul_f32_e32 v1, s2, v3
	s_mul_i32 s1, s6, s1
	s_mul_hi_u32 s2, s6, s0
	s_add_i32 s1, s2, s1
	s_mul_i32 s3, s3, s0
	s_add_i32 s5, s1, s3
	s_mul_i32 s2, s6, s0
	s_and_b32 s3, s4, 0xffff
	s_mov_b64 s[0:1], 0
	v_mov_b32_e32 v3, s5
	v_mov_b32_e32 v5, s11
.LBB209_30:                             ; =>This Inner Loop Header: Depth=1
	v_ashrrev_i32_e32 v7, 31, v0
	v_add_co_u32_e32 v6, vcc, s2, v0
	v_addc_co_u32_e32 v7, vcc, v3, v7, vcc
	v_add_u32_e32 v0, s3, v0
	v_cmp_le_i32_e32 vcc, s13, v0
	v_lshlrev_b64 v[6:7], 2, v[6:7]
	s_or_b64 s[0:1], vcc, s[0:1]
	v_add_co_u32_e32 v8, vcc, s18, v6
	v_addc_co_u32_e32 v9, vcc, v4, v7, vcc
	v_add_co_u32_e32 v6, vcc, s10, v6
	v_addc_co_u32_e32 v7, vcc, v5, v7, vcc
	global_store_dword v[8:9], v1, off
	global_store_dword v[6:7], v2, off
	s_andn2_b64 exec, exec, s[0:1]
	s_cbranch_execnz .LBB209_30
.LBB209_31:
	s_endpgm
	.section	.rodata,"a",@progbits
	.p2align	6, 0x0
	.amdhsa_kernel _ZN5aiter19grouped_topk_kernelIN3c104HalfEDv1_fLi8ELb0ELb1ELb0EEEvPT_PKS4_PfPimiiiif
		.amdhsa_group_segment_fixed_size 0
		.amdhsa_private_segment_fixed_size 0
		.amdhsa_kernarg_size 320
		.amdhsa_user_sgpr_count 6
		.amdhsa_user_sgpr_private_segment_buffer 1
		.amdhsa_user_sgpr_dispatch_ptr 0
		.amdhsa_user_sgpr_queue_ptr 0
		.amdhsa_user_sgpr_kernarg_segment_ptr 1
		.amdhsa_user_sgpr_dispatch_id 0
		.amdhsa_user_sgpr_flat_scratch_init 0
		.amdhsa_user_sgpr_kernarg_preload_length 0
		.amdhsa_user_sgpr_kernarg_preload_offset 0
		.amdhsa_user_sgpr_private_segment_size 0
		.amdhsa_uses_dynamic_stack 0
		.amdhsa_system_sgpr_private_segment_wavefront_offset 0
		.amdhsa_system_sgpr_workgroup_id_x 1
		.amdhsa_system_sgpr_workgroup_id_y 0
		.amdhsa_system_sgpr_workgroup_id_z 0
		.amdhsa_system_sgpr_workgroup_info 0
		.amdhsa_system_vgpr_workitem_id 0
		.amdhsa_next_free_vgpr 14
		.amdhsa_next_free_sgpr 30
		.amdhsa_accum_offset 16
		.amdhsa_reserve_vcc 1
		.amdhsa_reserve_flat_scratch 0
		.amdhsa_float_round_mode_32 0
		.amdhsa_float_round_mode_16_64 0
		.amdhsa_float_denorm_mode_32 3
		.amdhsa_float_denorm_mode_16_64 3
		.amdhsa_dx10_clamp 1
		.amdhsa_ieee_mode 1
		.amdhsa_fp16_overflow 0
		.amdhsa_tg_split 0
		.amdhsa_exception_fp_ieee_invalid_op 0
		.amdhsa_exception_fp_denorm_src 0
		.amdhsa_exception_fp_ieee_div_zero 0
		.amdhsa_exception_fp_ieee_overflow 0
		.amdhsa_exception_fp_ieee_underflow 0
		.amdhsa_exception_fp_ieee_inexact 0
		.amdhsa_exception_int_div_zero 0
	.end_amdhsa_kernel
	.section	.text._ZN5aiter19grouped_topk_kernelIN3c104HalfEDv1_fLi8ELb0ELb1ELb0EEEvPT_PKS4_PfPimiiiif,"axG",@progbits,_ZN5aiter19grouped_topk_kernelIN3c104HalfEDv1_fLi8ELb0ELb1ELb0EEEvPT_PKS4_PfPimiiiif,comdat
.Lfunc_end209:
	.size	_ZN5aiter19grouped_topk_kernelIN3c104HalfEDv1_fLi8ELb0ELb1ELb0EEEvPT_PKS4_PfPimiiiif, .Lfunc_end209-_ZN5aiter19grouped_topk_kernelIN3c104HalfEDv1_fLi8ELb0ELb1ELb0EEEvPT_PKS4_PfPimiiiif
                                        ; -- End function
	.section	.AMDGPU.csdata,"",@progbits
; Kernel info:
; codeLenInByte = 2072
; NumSgprs: 34
; NumVgprs: 14
; NumAgprs: 0
; TotalNumVgprs: 14
; ScratchSize: 0
; MemoryBound: 0
; FloatMode: 240
; IeeeMode: 1
; LDSByteSize: 0 bytes/workgroup (compile time only)
; SGPRBlocks: 4
; VGPRBlocks: 1
; NumSGPRsForWavesPerEU: 34
; NumVGPRsForWavesPerEU: 14
; AccumOffset: 16
; Occupancy: 8
; WaveLimiterHint : 0
; COMPUTE_PGM_RSRC2:SCRATCH_EN: 0
; COMPUTE_PGM_RSRC2:USER_SGPR: 6
; COMPUTE_PGM_RSRC2:TRAP_HANDLER: 0
; COMPUTE_PGM_RSRC2:TGID_X_EN: 1
; COMPUTE_PGM_RSRC2:TGID_Y_EN: 0
; COMPUTE_PGM_RSRC2:TGID_Z_EN: 0
; COMPUTE_PGM_RSRC2:TIDIG_COMP_CNT: 0
; COMPUTE_PGM_RSRC3_GFX90A:ACCUM_OFFSET: 3
; COMPUTE_PGM_RSRC3_GFX90A:TG_SPLIT: 0
	.section	.text._ZN5aiter19grouped_topk_kernelIN3c108BFloat16EDv1_fLi8ELb0ELb1ELb0EEEvPT_PKS4_PfPimiiiif,"axG",@progbits,_ZN5aiter19grouped_topk_kernelIN3c108BFloat16EDv1_fLi8ELb0ELb1ELb0EEEvPT_PKS4_PfPimiiiif,comdat
	.protected	_ZN5aiter19grouped_topk_kernelIN3c108BFloat16EDv1_fLi8ELb0ELb1ELb0EEEvPT_PKS4_PfPimiiiif ; -- Begin function _ZN5aiter19grouped_topk_kernelIN3c108BFloat16EDv1_fLi8ELb0ELb1ELb0EEEvPT_PKS4_PfPimiiiif
	.globl	_ZN5aiter19grouped_topk_kernelIN3c108BFloat16EDv1_fLi8ELb0ELb1ELb0EEEvPT_PKS4_PfPimiiiif
	.p2align	8
	.type	_ZN5aiter19grouped_topk_kernelIN3c108BFloat16EDv1_fLi8ELb0ELb1ELb0EEEvPT_PKS4_PfPimiiiif,@function
_ZN5aiter19grouped_topk_kernelIN3c108BFloat16EDv1_fLi8ELb0ELb1ELb0EEEvPT_PKS4_PfPimiiiif: ; @_ZN5aiter19grouped_topk_kernelIN3c108BFloat16EDv1_fLi8ELb0ELb1ELb0EEEvPT_PKS4_PfPimiiiif
; %bb.0:
	s_load_dwordx4 s[12:15], s[4:5], 0x28
	s_load_dwordx4 s[16:19], s[4:5], 0x8
	s_load_dwordx2 s[10:11], s[4:5], 0x18
	v_lshl_add_u32 v1, v0, 2, 0
	s_waitcnt lgkmcnt(0)
	v_cmp_gt_i32_e64 s[0:1], s12, v0
	s_and_saveexec_b64 s[2:3], s[0:1]
	s_cbranch_execz .LBB210_3
; %bb.1:
	s_load_dwordx2 s[8:9], s[4:5], 0x0
	s_load_dword s15, s[4:5], 0x4c
	s_mul_i32 s20, s6, s12
	s_ashr_i32 s21, s20, 31
	s_lshl_b64 s[20:21], s[20:21], 1
	s_waitcnt lgkmcnt(0)
	s_add_u32 s7, s8, s20
	s_addc_u32 s21, s9, s21
	s_and_b32 s15, s15, 0xffff
	v_lshl_add_u32 v4, v0, 2, 0
	s_lshl_b32 s20, s15, 2
	s_mov_b64 s[8:9], 0
	v_mov_b32_e32 v5, s21
	v_mov_b32_e32 v6, s17
	s_mov_b32 s21, 0xbfb8aa3b
	s_mov_b32 s22, 0x42ce8ed0
	;; [unrolled: 1-line block ×3, first 2 shown]
	v_mov_b32_e32 v7, 0x7f800000
	v_mov_b32_e32 v2, v0
.LBB210_2:                              ; =>This Inner Loop Header: Depth=1
	v_ashrrev_i32_e32 v3, 31, v2
	v_lshlrev_b64 v[8:9], 1, v[2:3]
	v_add_co_u32_e32 v10, vcc, s7, v8
	v_addc_co_u32_e32 v11, vcc, v5, v9, vcc
	v_add_co_u32_e32 v8, vcc, s16, v8
	v_addc_co_u32_e32 v9, vcc, v6, v9, vcc
	global_load_ushort v3, v[10:11], off
	global_load_ushort v12, v[8:9], off
	v_add_u32_e32 v2, s15, v2
	v_cmp_le_i32_e32 vcc, s12, v2
	s_or_b64 s[8:9], vcc, s[8:9]
	s_waitcnt vmcnt(1)
	v_cvt_f32_u32_e32 v3, v3
	s_waitcnt vmcnt(0)
	v_cvt_f32_u32_e32 v8, v12
	v_mul_f32_e32 v9, 0xbfb8aa3b, v3
	v_fma_f32 v10, v3, s21, -v9
	v_rndne_f32_e32 v11, v9
	v_fmac_f32_e32 v10, 0xb2a5705f, v3
	v_sub_f32_e32 v9, v9, v11
	v_add_f32_e32 v9, v9, v10
	v_cvt_i32_f32_e32 v11, v11
	v_exp_f32_e32 v9, v9
	v_cmp_nlt_f32_e32 vcc, s22, v3
	v_ldexp_f32 v9, v9, v11
	v_cndmask_b32_e32 v9, 0, v9, vcc
	v_cmp_ngt_f32_e32 vcc, s23, v3
	v_cndmask_b32_e32 v3, v7, v9, vcc
	v_add_f32_e32 v3, 1.0, v3
	v_div_scale_f32 v9, s[24:25], v3, v3, 1.0
	v_rcp_f32_e32 v10, v9
	v_div_scale_f32 v11, vcc, 1.0, v3, 1.0
	v_fma_f32 v12, -v9, v10, 1.0
	v_fmac_f32_e32 v10, v12, v10
	v_mul_f32_e32 v12, v11, v10
	v_fma_f32 v13, -v9, v12, v11
	v_fmac_f32_e32 v12, v13, v10
	v_fma_f32 v9, -v9, v12, v11
	v_div_fmas_f32 v9, v9, v10, v12
	v_div_fixup_f32 v3, v9, v3, 1.0
	v_add_f32_e32 v3, v3, v8
	ds_write_b32 v4, v3
	v_add_u32_e32 v4, s20, v4
	s_andn2_b64 exec, exec, s[8:9]
	s_cbranch_execnz .LBB210_2
.LBB210_3:
	s_or_b64 exec, exec, s[2:3]
	s_ashr_i32 s2, s12, 31
	s_lshr_b32 s2, s2, 29
	s_add_i32 s2, s12, s2
	s_ashr_i32 s15, s2, 3
	s_lshl_b32 s2, s12, 2
	s_add_i32 s7, s2, 0
	v_cmp_gt_u32_e32 vcc, 64, v0
	s_waitcnt lgkmcnt(0)
	s_barrier
	s_and_saveexec_b64 s[20:21], vcc
	s_cbranch_execz .LBB210_12
; %bb.4:
	s_load_dword s8, s[4:5], 0x4c
	v_lshrrev_b32_e32 v3, 3, v0
	v_and_b32_e32 v2, 7, v0
	v_mul_lo_u32 v4, s15, v3
	v_lshlrev_b32_e32 v4, 2, v4
	s_waitcnt lgkmcnt(0)
	s_bfe_u32 s28, s8, 0xd0003
	v_lshlrev_b32_e32 v5, 2, v2
	s_mul_i32 s8, s15, s28
	v_cmp_gt_i32_e32 vcc, s15, v2
	v_cmp_eq_u32_e64 s[2:3], 0, v2
	v_add3_u32 v4, v4, v5, 0
	s_lshl_b32 s29, s8, 2
	s_mov_b64 s[22:23], 0
	s_branch .LBB210_6
.LBB210_5:                              ;   in Loop: Header=BB210_6 Depth=1
	s_or_b64 exec, exec, s[24:25]
	v_add_u32_e32 v3, s28, v3
	v_cmp_lt_u32_e64 s[8:9], 7, v3
	s_or_b64 s[22:23], s[8:9], s[22:23]
	v_add_u32_e32 v4, s29, v4
	s_andn2_b64 exec, exec, s[22:23]
	s_cbranch_execz .LBB210_12
.LBB210_6:                              ; =>This Loop Header: Depth=1
                                        ;     Child Loop BB210_8 Depth 2
	v_mov_b32_e32 v5, 0xff800000
	v_mov_b32_e32 v6, 0xff800000
	s_and_saveexec_b64 s[24:25], vcc
	s_cbranch_execz .LBB210_10
; %bb.7:                                ;   in Loop: Header=BB210_6 Depth=1
	s_mov_b64 s[26:27], 0
	v_mov_b32_e32 v5, 0xff800000
	v_mov_b32_e32 v7, v4
	;; [unrolled: 1-line block ×4, first 2 shown]
.LBB210_8:                              ;   Parent Loop BB210_6 Depth=1
                                        ; =>  This Inner Loop Header: Depth=2
	ds_read_b32 v9, v7
	v_add_u32_e32 v8, 8, v8
	v_max_f32_e32 v6, v6, v6
	v_cmp_le_i32_e64 s[8:9], s15, v8
	v_max_f32_e32 v10, v5, v5
	s_waitcnt lgkmcnt(0)
	v_max_f32_e32 v11, v9, v9
	s_or_b64 s[26:27], s[8:9], s[26:27]
	v_max_f32_e32 v6, v11, v6
	v_cmp_gt_f32_e64 s[8:9], v9, v5
	v_add_u32_e32 v7, 32, v7
	v_cndmask_b32_e64 v6, v6, v5, s[8:9]
	v_max_f32_e32 v5, v11, v10
	s_andn2_b64 exec, exec, s[26:27]
	s_cbranch_execnz .LBB210_8
; %bb.9:                                ;   in Loop: Header=BB210_6 Depth=1
	s_or_b64 exec, exec, s[26:27]
.LBB210_10:                             ;   in Loop: Header=BB210_6 Depth=1
	s_or_b64 exec, exec, s[24:25]
	v_mov_b32_dpp v7, v5 quad_perm:[1,0,3,2] row_mask:0xf bank_mask:0xf bound_ctrl:1
	v_mov_b32_dpp v8, v6 quad_perm:[1,0,3,2] row_mask:0xf bank_mask:0xf bound_ctrl:1
	v_max_f32_e32 v9, v7, v7
	v_max_f32_e32 v6, v6, v6
	;; [unrolled: 1-line block ×3, first 2 shown]
	v_cmp_lt_f32_e64 s[8:9], v5, v7
	v_cndmask_b32_e64 v6, v6, v5, s[8:9]
	v_max_f32_e32 v5, v5, v5
	v_max_f32_e32 v5, v9, v5
	v_max_f32_e32 v6, v6, v6
	v_max_f32_e32 v7, v8, v8
	v_max_f32_e32 v6, v6, v7
	s_nop 0
	v_mov_b32_dpp v7, v5 quad_perm:[2,3,0,1] row_mask:0xf bank_mask:0xf bound_ctrl:1
	v_max_f32_e32 v9, v7, v7
	v_mov_b32_dpp v8, v6 quad_perm:[2,3,0,1] row_mask:0xf bank_mask:0xf bound_ctrl:1
	v_max_f32_e32 v6, v9, v6
	v_cmp_lt_f32_e64 s[8:9], v5, v7
	v_cndmask_b32_e64 v6, v6, v5, s[8:9]
	v_max_f32_e32 v7, v8, v8
	v_max_f32_e32 v5, v9, v5
	;; [unrolled: 1-line block ×3, first 2 shown]
	s_nop 0
	v_mov_b32_dpp v7, v5 row_half_mirror row_mask:0xf bank_mask:0xf bound_ctrl:1
	v_mov_b32_dpp v6, v8 row_half_mirror row_mask:0xf bank_mask:0xf bound_ctrl:1
	s_and_saveexec_b64 s[24:25], s[2:3]
	s_cbranch_execz .LBB210_5
; %bb.11:                               ;   in Loop: Header=BB210_6 Depth=1
	v_max_f32_e32 v8, v8, v8
	v_max_f32_e32 v10, v7, v7
	;; [unrolled: 1-line block ×3, first 2 shown]
	v_cmp_lt_f32_e64 s[8:9], v5, v7
	v_cndmask_b32_e64 v7, v8, v5, s[8:9]
	v_max_f32_e32 v7, v7, v7
	v_max_f32_e32 v6, v6, v6
	;; [unrolled: 1-line block ×5, first 2 shown]
	v_lshl_add_u32 v9, v3, 2, s7
	v_add_f32_e32 v5, v5, v6
	ds_write_b32 v9, v5
	s_branch .LBB210_5
.LBB210_12:
	s_or_b64 exec, exec, s[20:21]
	s_cmp_lt_i32 s14, 1
	s_waitcnt lgkmcnt(0)
	s_barrier
	s_cbranch_scc1 .LBB210_15
; %bb.13:
	v_mov_b32_e32 v2, s7
	s_mov_b32 s2, 0xff800000
	v_mov_b32_e32 v3, 0xff800000
.LBB210_14:                             ; =>This Inner Loop Header: Depth=1
	ds_read2_b32 v[4:5], v2 offset1:1
	ds_read2_b32 v[6:7], v2 offset0:2 offset1:3
	ds_read2_b32 v[8:9], v2 offset0:4 offset1:5
	;; [unrolled: 1-line block ×3, first 2 shown]
	s_waitcnt lgkmcnt(3)
	v_cmp_nlg_f32_e32 vcc, s2, v4
	v_cndmask_b32_e64 v12, 0, 1, vcc
	v_cmp_lg_f32_e32 vcc, s2, v4
	v_cndmask_b32_e32 v4, v3, v4, vcc
	v_readfirstlane_b32 s3, v12
	v_cmp_gt_f32_e32 vcc, v5, v4
	s_lshl_b32 s3, s3, 3
	v_cndmask_b32_e32 v4, v4, v5, vcc
	s_and_b64 s[8:9], vcc, exec
	s_waitcnt lgkmcnt(2)
	v_cmp_gt_f32_e32 vcc, v6, v4
	v_cndmask_b32_e32 v4, v4, v6, vcc
	s_cselect_b32 s3, 1, s3
	s_and_b64 s[8:9], vcc, exec
	v_cmp_gt_f32_e32 vcc, v7, v4
	v_cndmask_b32_e32 v4, v4, v7, vcc
	s_cselect_b32 s3, 2, s3
	s_and_b64 s[8:9], vcc, exec
	s_waitcnt lgkmcnt(1)
	v_cmp_gt_f32_e32 vcc, v8, v4
	v_cndmask_b32_e32 v4, v4, v8, vcc
	s_cselect_b32 s3, 3, s3
	s_and_b64 s[8:9], vcc, exec
	v_cmp_gt_f32_e32 vcc, v9, v4
	v_cndmask_b32_e32 v4, v4, v9, vcc
	s_cselect_b32 s3, 4, s3
	s_and_b64 s[8:9], vcc, exec
	s_waitcnt lgkmcnt(0)
	v_cmp_gt_f32_e32 vcc, v10, v4
	v_cndmask_b32_e32 v4, v4, v10, vcc
	s_cselect_b32 s3, 5, s3
	s_and_b64 s[8:9], vcc, exec
	v_cmp_ngt_f32_e32 vcc, v11, v4
	s_cselect_b32 s3, 6, s3
	s_and_b64 s[8:9], vcc, exec
	s_cselect_b32 s3, s3, 7
	s_lshl_b32 s3, s3, 2
	s_add_i32 s3, s7, s3
	s_add_i32 s14, s14, -1
	v_mov_b32_e32 v4, s3
	s_cmp_lg_u32 s14, 0
	ds_write_b32 v4, v3
	s_cbranch_scc1 .LBB210_14
.LBB210_15:
	s_and_saveexec_b64 s[2:3], s[0:1]
	s_cbranch_execz .LBB210_20
; %bb.16:
	s_abs_i32 s20, s15
	v_cvt_f32_u32_e32 v3, s20
	s_load_dword s14, s[4:5], 0x4c
	s_ashr_i32 s21, s15, 31
	s_sub_i32 s15, 0, s20
	v_rcp_iflag_f32_e32 v4, v3
	v_lshl_add_u32 v2, v0, 2, 0
	s_waitcnt lgkmcnt(0)
	s_and_b32 s23, s14, 0xffff
	s_mov_b64 s[8:9], 0
	v_mul_f32_e32 v4, 0x4f7ffffe, v4
	v_cvt_u32_f32_e32 v4, v4
	s_mov_b32 s22, 0xff800000
	v_mov_b32_e32 v3, 0xff800000
	s_lshl_b32 s24, s23, 2
	v_mul_lo_u32 v5, s15, v4
	v_mul_hi_u32 v5, v4, v5
	v_add_u32_e32 v4, v4, v5
	v_mov_b32_e32 v5, v0
	s_branch .LBB210_18
.LBB210_17:                             ;   in Loop: Header=BB210_18 Depth=1
	s_or_b64 exec, exec, s[14:15]
	v_add_u32_e32 v5, s23, v5
	v_cmp_le_i32_e32 vcc, s12, v5
	s_or_b64 s[8:9], vcc, s[8:9]
	v_add_u32_e32 v2, s24, v2
	s_andn2_b64 exec, exec, s[8:9]
	s_cbranch_execz .LBB210_20
.LBB210_18:                             ; =>This Inner Loop Header: Depth=1
	v_sub_u32_e32 v7, 0, v5
	v_max_i32_e32 v7, v5, v7
	v_mul_hi_u32 v8, v7, v4
	v_mul_lo_u32 v9, v8, s20
	v_sub_u32_e32 v7, v7, v9
	v_add_u32_e32 v9, 1, v8
	v_cmp_le_u32_e32 vcc, s20, v7
	v_cndmask_b32_e32 v8, v8, v9, vcc
	v_subrev_u32_e32 v9, s20, v7
	v_cndmask_b32_e32 v7, v7, v9, vcc
	v_ashrrev_i32_e32 v6, 31, v5
	v_add_u32_e32 v9, 1, v8
	v_cmp_le_u32_e32 vcc, s20, v7
	v_xor_b32_e32 v6, s21, v6
	v_cndmask_b32_e32 v7, v8, v9, vcc
	v_xor_b32_e32 v7, v7, v6
	v_sub_u32_e32 v6, v7, v6
	v_lshl_add_u32 v6, v6, 2, s7
	ds_read_b32 v6, v6
	s_waitcnt lgkmcnt(0)
	v_cmp_neq_f32_e32 vcc, s22, v6
	s_and_saveexec_b64 s[14:15], vcc
	s_cbranch_execz .LBB210_17
; %bb.19:                               ;   in Loop: Header=BB210_18 Depth=1
	ds_write_b32 v2, v3
	s_branch .LBB210_17
.LBB210_20:
	s_or_b64 exec, exec, s[2:3]
	s_cmp_lt_i32 s13, 1
	s_waitcnt lgkmcnt(0)
	s_barrier
	s_cbranch_scc1 .LBB210_27
; %bb.21:
	s_add_u32 s2, s4, 64
	s_addc_u32 s3, s5, 0
	s_mov_b32 s7, 0
	v_mov_b32_e32 v4, 0
	v_mov_b32_e32 v5, 0xff800000
                                        ; implicit-def: $vgpr3
                                        ; implicit-def: $vgpr2
	s_branch .LBB210_23
.LBB210_22:                             ;   in Loop: Header=BB210_23 Depth=1
	s_or_b64 exec, exec, s[8:9]
	v_mov_b32_dpp v9, v7 quad_perm:[1,0,3,2] row_mask:0xf bank_mask:0xf
	v_cmp_lt_f32_e32 vcc, v7, v9
	v_cndmask_b32_e32 v7, v7, v9, vcc
	v_mov_b32_dpp v8, v6 quad_perm:[1,0,3,2] row_mask:0xf bank_mask:0xf
	v_cndmask_b32_e32 v6, v6, v8, vcc
	v_mov_b32_dpp v9, v7 quad_perm:[2,3,0,1] row_mask:0xf bank_mask:0xf
	v_cmp_gt_f32_e32 vcc, v9, v7
	v_cndmask_b32_e32 v7, v7, v9, vcc
	v_mov_b32_dpp v8, v6 quad_perm:[2,3,0,1] row_mask:0xf bank_mask:0xf
	v_cndmask_b32_e32 v6, v6, v8, vcc
	v_mov_b32_dpp v9, v7 row_half_mirror row_mask:0xf bank_mask:0xf
	v_cmp_gt_f32_e32 vcc, v9, v7
	v_cndmask_b32_e32 v7, v7, v9, vcc
	v_mov_b32_dpp v8, v6 row_half_mirror row_mask:0xf bank_mask:0xf
	v_cndmask_b32_e32 v6, v6, v8, vcc
	v_mov_b32_dpp v9, v7 row_mirror row_mask:0xf bank_mask:0xf
	v_cmp_gt_f32_e32 vcc, v9, v7
	v_cndmask_b32_e32 v7, v7, v9, vcc
	v_mov_b32_dpp v8, v6 row_mirror row_mask:0xf bank_mask:0xf
	v_cndmask_b32_e32 v6, v6, v8, vcc
	v_mov_b32_dpp v9, v7 row_bcast:15 row_mask:0xf bank_mask:0xf
	v_cmp_gt_f32_e32 vcc, v9, v7
	v_mov_b32_dpp v8, v6 row_bcast:15 row_mask:0xf bank_mask:0xf
	v_cndmask_b32_e32 v7, v7, v9, vcc
	v_cndmask_b32_e32 v6, v6, v8, vcc
	s_nop 0
	v_mov_b32_dpp v9, v7 row_bcast:31 row_mask:0xf bank_mask:0xf
	v_mov_b32_dpp v8, v6 row_bcast:31 row_mask:0xf bank_mask:0xf
	v_cmp_gt_f32_e32 vcc, v9, v7
	v_cndmask_b32_e32 v6, v6, v8, vcc
	v_readlane_b32 s8, v6, 63
	s_ashr_i32 s9, s8, 31
	s_lshl_b64 s[14:15], s[8:9], 1
	s_add_u32 s14, s16, s14
	s_addc_u32 s15, s17, s15
	global_load_ushort v6, v4, s[14:15]
	v_cndmask_b32_e32 v7, v7, v9, vcc
	v_readlane_b32 s9, v7, 63
	v_mov_b32_e32 v7, s8
	s_lshl_b32 s8, s8, 2
	v_cmp_eq_u32_e32 vcc, s7, v0
	s_add_i32 s8, s8, 0
	v_cndmask_b32_e32 v2, v2, v7, vcc
	v_mov_b32_e32 v7, s8
	ds_write_b32 v7, v5
	s_add_i32 s7, s7, 1
	s_cmp_eq_u32 s7, s13
	s_waitcnt vmcnt(0)
	v_and_b32_e32 v7, 0xff, v6
	v_lshlrev_b32_e32 v6, 16, v6
	v_lshlrev_b32_e32 v7, 16, v7
	v_and_b32_e32 v6, 0xff000000, v6
	v_or_b32_e32 v6, v7, v6
	v_sub_f32_e32 v6, s9, v6
	v_cndmask_b32_e32 v3, v3, v6, vcc
	s_cbranch_scc1 .LBB210_28
.LBB210_23:                             ; =>This Loop Header: Depth=1
                                        ;     Child Loop BB210_25 Depth 2
	v_mov_b32_e32 v6, s7
	v_mov_b32_e32 v7, 0xff800000
	s_and_saveexec_b64 s[8:9], s[0:1]
	s_cbranch_execz .LBB210_22
; %bb.24:                               ;   in Loop: Header=BB210_23 Depth=1
	s_load_dword s20, s[2:3], 0xc
	s_mov_b64 s[14:15], 0
	v_mov_b32_e32 v6, s7
	v_mov_b32_e32 v7, 0xff800000
	;; [unrolled: 1-line block ×3, first 2 shown]
	s_waitcnt lgkmcnt(0)
	s_and_b32 s20, s20, 0xffff
	s_lshl_b32 s21, s20, 2
	v_mov_b32_e32 v9, v0
.LBB210_25:                             ;   Parent Loop BB210_23 Depth=1
                                        ; =>  This Inner Loop Header: Depth=2
	ds_read_b32 v10, v8
	v_add_u32_e32 v8, s21, v8
	s_waitcnt lgkmcnt(0)
	v_cmp_gt_f32_e32 vcc, v10, v7
	v_cndmask_b32_e32 v6, v6, v9, vcc
	v_add_u32_e32 v9, s20, v9
	v_cndmask_b32_e32 v7, v7, v10, vcc
	v_cmp_le_i32_e32 vcc, s12, v9
	s_or_b64 s[14:15], vcc, s[14:15]
	s_andn2_b64 exec, exec, s[14:15]
	s_cbranch_execnz .LBB210_25
; %bb.26:                               ;   in Loop: Header=BB210_23 Depth=1
	s_or_b64 exec, exec, s[14:15]
	s_branch .LBB210_22
.LBB210_27:
                                        ; implicit-def: $vgpr3
                                        ; implicit-def: $vgpr2
.LBB210_28:
	v_cmp_gt_i32_e32 vcc, s13, v0
	s_and_saveexec_b64 s[0:1], vcc
	s_cbranch_execz .LBB210_31
; %bb.29:
	s_load_dword s2, s[4:5], 0x38
	s_load_dwordx2 s[0:1], s[4:5], 0x20
	s_ashr_i32 s3, s6, 31
	s_load_dword s4, s[4:5], 0x4c
	v_mov_b32_e32 v4, s19
	s_waitcnt lgkmcnt(0)
	v_mul_f32_e32 v1, s2, v3
	s_mul_i32 s1, s6, s1
	s_mul_hi_u32 s2, s6, s0
	s_add_i32 s1, s2, s1
	s_mul_i32 s3, s3, s0
	s_add_i32 s5, s1, s3
	s_mul_i32 s2, s6, s0
	s_and_b32 s3, s4, 0xffff
	s_mov_b64 s[0:1], 0
	v_mov_b32_e32 v3, s5
	v_mov_b32_e32 v5, s11
.LBB210_30:                             ; =>This Inner Loop Header: Depth=1
	v_ashrrev_i32_e32 v7, 31, v0
	v_add_co_u32_e32 v6, vcc, s2, v0
	v_addc_co_u32_e32 v7, vcc, v3, v7, vcc
	v_add_u32_e32 v0, s3, v0
	v_cmp_le_i32_e32 vcc, s13, v0
	v_lshlrev_b64 v[6:7], 2, v[6:7]
	s_or_b64 s[0:1], vcc, s[0:1]
	v_add_co_u32_e32 v8, vcc, s18, v6
	v_addc_co_u32_e32 v9, vcc, v4, v7, vcc
	v_add_co_u32_e32 v6, vcc, s10, v6
	v_addc_co_u32_e32 v7, vcc, v5, v7, vcc
	global_store_dword v[8:9], v1, off
	global_store_dword v[6:7], v2, off
	s_andn2_b64 exec, exec, s[0:1]
	s_cbranch_execnz .LBB210_30
.LBB210_31:
	s_endpgm
	.section	.rodata,"a",@progbits
	.p2align	6, 0x0
	.amdhsa_kernel _ZN5aiter19grouped_topk_kernelIN3c108BFloat16EDv1_fLi8ELb0ELb1ELb0EEEvPT_PKS4_PfPimiiiif
		.amdhsa_group_segment_fixed_size 0
		.amdhsa_private_segment_fixed_size 0
		.amdhsa_kernarg_size 320
		.amdhsa_user_sgpr_count 6
		.amdhsa_user_sgpr_private_segment_buffer 1
		.amdhsa_user_sgpr_dispatch_ptr 0
		.amdhsa_user_sgpr_queue_ptr 0
		.amdhsa_user_sgpr_kernarg_segment_ptr 1
		.amdhsa_user_sgpr_dispatch_id 0
		.amdhsa_user_sgpr_flat_scratch_init 0
		.amdhsa_user_sgpr_kernarg_preload_length 0
		.amdhsa_user_sgpr_kernarg_preload_offset 0
		.amdhsa_user_sgpr_private_segment_size 0
		.amdhsa_uses_dynamic_stack 0
		.amdhsa_system_sgpr_private_segment_wavefront_offset 0
		.amdhsa_system_sgpr_workgroup_id_x 1
		.amdhsa_system_sgpr_workgroup_id_y 0
		.amdhsa_system_sgpr_workgroup_id_z 0
		.amdhsa_system_sgpr_workgroup_info 0
		.amdhsa_system_vgpr_workitem_id 0
		.amdhsa_next_free_vgpr 14
		.amdhsa_next_free_sgpr 30
		.amdhsa_accum_offset 16
		.amdhsa_reserve_vcc 1
		.amdhsa_reserve_flat_scratch 0
		.amdhsa_float_round_mode_32 0
		.amdhsa_float_round_mode_16_64 0
		.amdhsa_float_denorm_mode_32 3
		.amdhsa_float_denorm_mode_16_64 3
		.amdhsa_dx10_clamp 1
		.amdhsa_ieee_mode 1
		.amdhsa_fp16_overflow 0
		.amdhsa_tg_split 0
		.amdhsa_exception_fp_ieee_invalid_op 0
		.amdhsa_exception_fp_denorm_src 0
		.amdhsa_exception_fp_ieee_div_zero 0
		.amdhsa_exception_fp_ieee_overflow 0
		.amdhsa_exception_fp_ieee_underflow 0
		.amdhsa_exception_fp_ieee_inexact 0
		.amdhsa_exception_int_div_zero 0
	.end_amdhsa_kernel
	.section	.text._ZN5aiter19grouped_topk_kernelIN3c108BFloat16EDv1_fLi8ELb0ELb1ELb0EEEvPT_PKS4_PfPimiiiif,"axG",@progbits,_ZN5aiter19grouped_topk_kernelIN3c108BFloat16EDv1_fLi8ELb0ELb1ELb0EEEvPT_PKS4_PfPimiiiif,comdat
.Lfunc_end210:
	.size	_ZN5aiter19grouped_topk_kernelIN3c108BFloat16EDv1_fLi8ELb0ELb1ELb0EEEvPT_PKS4_PfPimiiiif, .Lfunc_end210-_ZN5aiter19grouped_topk_kernelIN3c108BFloat16EDv1_fLi8ELb0ELb1ELb0EEEvPT_PKS4_PfPimiiiif
                                        ; -- End function
	.section	.AMDGPU.csdata,"",@progbits
; Kernel info:
; codeLenInByte = 2084
; NumSgprs: 34
; NumVgprs: 14
; NumAgprs: 0
; TotalNumVgprs: 14
; ScratchSize: 0
; MemoryBound: 0
; FloatMode: 240
; IeeeMode: 1
; LDSByteSize: 0 bytes/workgroup (compile time only)
; SGPRBlocks: 4
; VGPRBlocks: 1
; NumSGPRsForWavesPerEU: 34
; NumVGPRsForWavesPerEU: 14
; AccumOffset: 16
; Occupancy: 8
; WaveLimiterHint : 0
; COMPUTE_PGM_RSRC2:SCRATCH_EN: 0
; COMPUTE_PGM_RSRC2:USER_SGPR: 6
; COMPUTE_PGM_RSRC2:TRAP_HANDLER: 0
; COMPUTE_PGM_RSRC2:TGID_X_EN: 1
; COMPUTE_PGM_RSRC2:TGID_Y_EN: 0
; COMPUTE_PGM_RSRC2:TGID_Z_EN: 0
; COMPUTE_PGM_RSRC2:TIDIG_COMP_CNT: 0
; COMPUTE_PGM_RSRC3_GFX90A:ACCUM_OFFSET: 3
; COMPUTE_PGM_RSRC3_GFX90A:TG_SPLIT: 0
	.section	.text._ZN5aiter19grouped_topk_kernelIfDv1_fLi8ELb0ELb0ELb1EEEvPT_PKS2_PfPimiiiif,"axG",@progbits,_ZN5aiter19grouped_topk_kernelIfDv1_fLi8ELb0ELb0ELb1EEEvPT_PKS2_PfPimiiiif,comdat
	.protected	_ZN5aiter19grouped_topk_kernelIfDv1_fLi8ELb0ELb0ELb1EEEvPT_PKS2_PfPimiiiif ; -- Begin function _ZN5aiter19grouped_topk_kernelIfDv1_fLi8ELb0ELb0ELb1EEEvPT_PKS2_PfPimiiiif
	.globl	_ZN5aiter19grouped_topk_kernelIfDv1_fLi8ELb0ELb0ELb1EEEvPT_PKS2_PfPimiiiif
	.p2align	8
	.type	_ZN5aiter19grouped_topk_kernelIfDv1_fLi8ELb0ELb0ELb1EEEvPT_PKS2_PfPimiiiif,@function
_ZN5aiter19grouped_topk_kernelIfDv1_fLi8ELb0ELb0ELb1EEEvPT_PKS2_PfPimiiiif: ; @_ZN5aiter19grouped_topk_kernelIfDv1_fLi8ELb0ELb0ELb1EEEvPT_PKS2_PfPimiiiif
; %bb.0:
	s_load_dwordx4 s[8:11], s[4:5], 0x28
	s_load_dwordx4 s[12:15], s[4:5], 0x10
	v_mov_b32_e32 v2, 0xff800000
	v_lshl_add_u32 v1, v0, 2, 0
	s_waitcnt lgkmcnt(0)
	v_cmp_gt_i32_e64 s[0:1], s8, v0
	s_and_saveexec_b64 s[2:3], s[0:1]
	s_cbranch_execz .LBB211_4
; %bb.1:
	s_load_dword s11, s[4:5], 0x4c
	s_load_dwordx2 s[16:17], s[4:5], 0x0
	s_mul_i32 s7, s6, s8
	v_lshl_add_u32 v3, v0, 2, 0
	s_mov_b64 s[18:19], 0
	s_waitcnt lgkmcnt(0)
	s_and_b32 s11, s11, 0xffff
	s_lshl_b32 s20, s11, 2
	v_mov_b32_e32 v2, 0xff800000
	v_mov_b32_e32 v4, s17
	;; [unrolled: 1-line block ×3, first 2 shown]
.LBB211_2:                              ; =>This Inner Loop Header: Depth=1
	v_add_u32_e32 v6, s7, v5
	v_ashrrev_i32_e32 v7, 31, v6
	v_lshlrev_b64 v[6:7], 2, v[6:7]
	v_add_co_u32_e32 v6, vcc, s16, v6
	v_addc_co_u32_e32 v7, vcc, v4, v7, vcc
	global_load_dword v6, v[6:7], off
	v_add_u32_e32 v5, s11, v5
	v_cmp_le_i32_e32 vcc, s8, v5
	s_or_b64 s[18:19], vcc, s[18:19]
	s_waitcnt vmcnt(0)
	v_cmp_gt_f32_e32 vcc, v6, v2
	ds_write_b32 v3, v6
	v_cndmask_b32_e32 v2, v2, v6, vcc
	v_add_u32_e32 v3, s20, v3
	s_andn2_b64 exec, exec, s[18:19]
	s_cbranch_execnz .LBB211_2
; %bb.3:
	s_or_b64 exec, exec, s[18:19]
.LBB211_4:
	s_or_b64 exec, exec, s[2:3]
	v_mov_b32_dpp v3, v2 quad_perm:[1,0,3,2] row_mask:0xf bank_mask:0xf
	v_cmp_lt_f32_e32 vcc, v2, v3
	v_cndmask_b32_e32 v2, v2, v3, vcc
	v_bfrev_b32_e32 v4, 0.5
	s_waitcnt lgkmcnt(0)
	v_mov_b32_dpp v3, v2 quad_perm:[2,3,0,1] row_mask:0xf bank_mask:0xf
	v_cmp_lt_f32_e32 vcc, v2, v3
	v_cndmask_b32_e32 v2, v2, v3, vcc
	s_barrier
	s_nop 0
	v_mov_b32_dpp v3, v2 row_half_mirror row_mask:0xf bank_mask:0xf
	v_cmp_lt_f32_e32 vcc, v2, v3
	v_cndmask_b32_e32 v2, v2, v3, vcc
	s_nop 1
	v_mov_b32_dpp v3, v2 row_mirror row_mask:0xf bank_mask:0xf
	v_cmp_lt_f32_e32 vcc, v2, v3
	v_cndmask_b32_e32 v2, v2, v3, vcc
	s_nop 1
	v_mov_b32_dpp v3, v2 row_bcast:15 row_mask:0xf bank_mask:0xf
	v_cmp_lt_f32_e32 vcc, v2, v3
	v_cndmask_b32_e32 v2, v2, v3, vcc
	s_nop 1
	v_mov_b32_dpp v3, v2 row_bcast:31 row_mask:0xf bank_mask:0xf
	v_cmp_lt_f32_e32 vcc, v2, v3
	v_cndmask_b32_e32 v3, v2, v3, vcc
	v_mbcnt_lo_u32_b32 v2, -1, 0
	v_mbcnt_hi_u32_b32 v2, -1, v2
	v_lshl_or_b32 v2, v2, 2, v4
	ds_bpermute_b32 v4, v2, v3
	v_mov_b32_e32 v3, 0
	s_and_saveexec_b64 s[2:3], s[0:1]
	s_cbranch_execz .LBB211_8
; %bb.5:
	s_load_dword s11, s[4:5], 0x4c
	v_lshl_add_u32 v5, v0, 2, 0
	s_mov_b64 s[16:17], 0
	v_mov_b32_e32 v3, 0
	s_mov_b32 s7, 0x3fb8aa3b
	s_waitcnt lgkmcnt(0)
	s_and_b32 s11, s11, 0xffff
	s_lshl_b32 s18, s11, 2
	s_mov_b32 s19, 0xc2ce8ed0
	s_mov_b32 s20, 0x42b17218
	v_mov_b32_e32 v6, 0x7f800000
	v_mov_b32_e32 v7, v0
.LBB211_6:                              ; =>This Inner Loop Header: Depth=1
	ds_read_b32 v8, v5
	v_add_u32_e32 v7, s11, v7
	s_waitcnt lgkmcnt(0)
	v_sub_f32_e32 v8, v8, v4
	v_mul_f32_e32 v9, 0x3fb8aa3b, v8
	v_fma_f32 v10, v8, s7, -v9
	v_rndne_f32_e32 v11, v9
	v_fmac_f32_e32 v10, 0x32a5705f, v8
	v_sub_f32_e32 v9, v9, v11
	v_add_f32_e32 v9, v9, v10
	v_cvt_i32_f32_e32 v11, v11
	v_exp_f32_e32 v9, v9
	v_cmp_ngt_f32_e32 vcc, s19, v8
	v_ldexp_f32 v9, v9, v11
	v_cndmask_b32_e32 v9, 0, v9, vcc
	v_cmp_nlt_f32_e32 vcc, s20, v8
	v_cndmask_b32_e32 v8, v6, v9, vcc
	v_cmp_le_i32_e32 vcc, s8, v7
	ds_write_b32 v5, v8
	v_add_f32_e32 v3, v3, v8
	s_or_b64 s[16:17], vcc, s[16:17]
	v_add_u32_e32 v5, s18, v5
	s_andn2_b64 exec, exec, s[16:17]
	s_cbranch_execnz .LBB211_6
; %bb.7:
	s_or_b64 exec, exec, s[16:17]
.LBB211_8:
	s_or_b64 exec, exec, s[2:3]
	s_waitcnt lgkmcnt(0)
	v_mov_b32_dpp v4, v3 quad_perm:[1,0,3,2] row_mask:0xf bank_mask:0xf
	v_add_f32_e32 v3, v3, v4
	s_barrier
	s_nop 0
	v_mov_b32_dpp v4, v3 quad_perm:[2,3,0,1] row_mask:0xf bank_mask:0xf
	v_add_f32_e32 v3, v3, v4
	s_nop 1
	v_mov_b32_dpp v4, v3 row_half_mirror row_mask:0xf bank_mask:0xf
	v_add_f32_e32 v3, v3, v4
	s_nop 1
	v_mov_b32_dpp v4, v3 row_mirror row_mask:0xf bank_mask:0xf
	v_add_f32_e32 v3, v3, v4
	s_nop 1
	v_mov_b32_dpp v4, v3 row_bcast:15 row_mask:0xf bank_mask:0xf
	v_add_f32_e32 v3, v3, v4
	s_nop 1
	v_mov_b32_dpp v4, v3 row_bcast:31 row_mask:0xf bank_mask:0xf
	v_add_f32_e32 v3, v3, v4
	ds_bpermute_b32 v2, v2, v3
	s_and_saveexec_b64 s[2:3], s[0:1]
	s_cbranch_execz .LBB211_11
; %bb.9:
	s_load_dword s7, s[4:5], 0x4c
	v_lshl_add_u32 v3, v0, 2, 0
	s_mov_b64 s[16:17], 0
	v_mov_b32_e32 v4, v0
	s_waitcnt lgkmcnt(0)
	s_and_b32 s7, s7, 0xffff
	s_lshl_b32 s11, s7, 2
.LBB211_10:                             ; =>This Inner Loop Header: Depth=1
	ds_read_b32 v5, v3
	v_add_u32_e32 v4, s7, v4
	v_cmp_le_i32_e32 vcc, s8, v4
	s_or_b64 s[16:17], vcc, s[16:17]
	s_waitcnt lgkmcnt(0)
	v_div_scale_f32 v6, s[18:19], v2, v2, v5
	v_rcp_f32_e32 v7, v6
	v_div_scale_f32 v8, vcc, v5, v2, v5
	v_fma_f32 v9, -v6, v7, 1.0
	v_fmac_f32_e32 v7, v9, v7
	v_mul_f32_e32 v9, v8, v7
	v_fma_f32 v10, -v6, v9, v8
	v_fmac_f32_e32 v9, v10, v7
	v_fma_f32 v6, -v6, v9, v8
	v_div_fmas_f32 v6, v6, v7, v9
	v_div_fixup_f32 v5, v6, v2, v5
	ds_write_b32 v3, v5
	v_add_u32_e32 v3, s11, v3
	s_andn2_b64 exec, exec, s[16:17]
	s_cbranch_execnz .LBB211_10
.LBB211_11:
	s_or_b64 exec, exec, s[2:3]
	s_ashr_i32 s2, s8, 31
	s_lshr_b32 s2, s2, 29
	s_add_i32 s2, s8, s2
	s_ashr_i32 s11, s2, 3
	s_lshl_b32 s2, s8, 2
	s_add_i32 s7, s2, 0
	v_cmp_gt_u32_e32 vcc, 8, v0
	s_waitcnt lgkmcnt(0)
	s_barrier
	s_and_saveexec_b64 s[16:17], vcc
	s_cbranch_execz .LBB211_18
; %bb.12:
	s_load_dword s2, s[4:5], 0x4c
	v_mul_lo_u32 v2, v0, s11
	v_lshl_add_u32 v2, v2, 2, 0
	s_waitcnt lgkmcnt(0)
	s_and_b32 s22, s2, 0xffff
	s_cmp_gt_i32 s8, 7
	s_cselect_b64 s[2:3], -1, 0
	s_mul_i32 s18, s11, s22
	v_cndmask_b32_e64 v3, 0, 1, s[2:3]
	s_lshl_b32 s23, s18, 2
	s_mov_b64 s[18:19], 0
	v_cmp_ne_u32_e64 s[2:3], 1, v3
	v_mov_b32_e32 v3, v0
	s_branch .LBB211_14
.LBB211_13:                             ;   in Loop: Header=BB211_14 Depth=1
	v_lshl_add_u32 v5, v3, 2, s7
	v_add_u32_e32 v3, s22, v3
	v_cmp_lt_u32_e32 vcc, 7, v3
	s_or_b64 s[18:19], vcc, s[18:19]
	v_add_u32_e32 v2, s23, v2
	ds_write_b32 v5, v4
	s_andn2_b64 exec, exec, s[18:19]
	s_cbranch_execz .LBB211_18
.LBB211_14:                             ; =>This Loop Header: Depth=1
                                        ;     Child Loop BB211_16 Depth 2
	s_and_b64 vcc, exec, s[2:3]
	v_mov_b32_e32 v4, 0xff800000
	s_cbranch_vccnz .LBB211_13
; %bb.15:                               ;   in Loop: Header=BB211_14 Depth=1
	v_mul_lo_u32 v5, v3, s11
	v_add_u32_e32 v6, s11, v5
	s_mov_b64 s[20:21], 0
	v_mov_b32_e32 v4, 0xff800000
	v_mov_b32_e32 v7, v2
.LBB211_16:                             ;   Parent Loop BB211_14 Depth=1
                                        ; =>  This Inner Loop Header: Depth=2
	ds_read_b32 v8, v7
	v_add_u32_e32 v5, 1, v5
	v_cmp_ge_i32_e32 vcc, v5, v6
	s_or_b64 s[20:21], vcc, s[20:21]
	v_add_u32_e32 v7, 4, v7
	s_waitcnt lgkmcnt(0)
	v_cmp_gt_f32_e32 vcc, v8, v4
	v_cndmask_b32_e32 v4, v4, v8, vcc
	s_andn2_b64 exec, exec, s[20:21]
	s_cbranch_execnz .LBB211_16
; %bb.17:                               ;   in Loop: Header=BB211_14 Depth=1
	s_or_b64 exec, exec, s[20:21]
	s_branch .LBB211_13
.LBB211_18:
	s_or_b64 exec, exec, s[16:17]
	s_cmp_lt_i32 s10, 1
	s_waitcnt lgkmcnt(0)
	s_barrier
	s_cbranch_scc1 .LBB211_21
; %bb.19:
	v_mov_b32_e32 v2, s7
	s_mov_b32 s2, 0xff800000
	v_mov_b32_e32 v3, 0xff800000
.LBB211_20:                             ; =>This Inner Loop Header: Depth=1
	ds_read2_b32 v[4:5], v2 offset1:1
	ds_read2_b32 v[6:7], v2 offset0:2 offset1:3
	ds_read2_b32 v[8:9], v2 offset0:4 offset1:5
	;; [unrolled: 1-line block ×3, first 2 shown]
	s_waitcnt lgkmcnt(3)
	v_cmp_nlg_f32_e32 vcc, s2, v4
	v_cndmask_b32_e64 v12, 0, 1, vcc
	v_cmp_lg_f32_e32 vcc, s2, v4
	v_cndmask_b32_e32 v4, v3, v4, vcc
	v_readfirstlane_b32 s3, v12
	v_cmp_gt_f32_e32 vcc, v5, v4
	s_lshl_b32 s3, s3, 3
	v_cndmask_b32_e32 v4, v4, v5, vcc
	s_and_b64 s[16:17], vcc, exec
	s_waitcnt lgkmcnt(2)
	v_cmp_gt_f32_e32 vcc, v6, v4
	v_cndmask_b32_e32 v4, v4, v6, vcc
	s_cselect_b32 s3, 1, s3
	s_and_b64 s[16:17], vcc, exec
	v_cmp_gt_f32_e32 vcc, v7, v4
	v_cndmask_b32_e32 v4, v4, v7, vcc
	s_cselect_b32 s3, 2, s3
	s_and_b64 s[16:17], vcc, exec
	s_waitcnt lgkmcnt(1)
	v_cmp_gt_f32_e32 vcc, v8, v4
	v_cndmask_b32_e32 v4, v4, v8, vcc
	s_cselect_b32 s3, 3, s3
	s_and_b64 s[16:17], vcc, exec
	v_cmp_gt_f32_e32 vcc, v9, v4
	v_cndmask_b32_e32 v4, v4, v9, vcc
	s_cselect_b32 s3, 4, s3
	s_and_b64 s[16:17], vcc, exec
	s_waitcnt lgkmcnt(0)
	v_cmp_gt_f32_e32 vcc, v10, v4
	v_cndmask_b32_e32 v4, v4, v10, vcc
	s_cselect_b32 s3, 5, s3
	s_and_b64 s[16:17], vcc, exec
	v_cmp_ngt_f32_e32 vcc, v11, v4
	s_cselect_b32 s3, 6, s3
	s_and_b64 s[16:17], vcc, exec
	s_cselect_b32 s3, s3, 7
	s_lshl_b32 s3, s3, 2
	s_add_i32 s3, s7, s3
	s_add_i32 s10, s10, -1
	v_mov_b32_e32 v4, s3
	s_cmp_lg_u32 s10, 0
	ds_write_b32 v4, v3
	s_cbranch_scc1 .LBB211_20
.LBB211_21:
	s_and_saveexec_b64 s[2:3], s[0:1]
	s_cbranch_execz .LBB211_26
; %bb.22:
	s_abs_i32 s18, s11
	v_cvt_f32_u32_e32 v3, s18
	s_load_dword s16, s[4:5], 0x4c
	s_sub_i32 s17, 0, s18
	s_ashr_i32 s19, s11, 31
	v_rcp_iflag_f32_e32 v4, v3
	v_lshl_add_u32 v2, v0, 2, 0
	s_waitcnt lgkmcnt(0)
	s_and_b32 s21, s16, 0xffff
	s_mov_b64 s[10:11], 0
	v_mul_f32_e32 v4, 0x4f7ffffe, v4
	v_cvt_u32_f32_e32 v4, v4
	s_mov_b32 s20, 0xff800000
	v_mov_b32_e32 v3, 0xff800000
	s_lshl_b32 s22, s21, 2
	v_mul_lo_u32 v5, s17, v4
	v_mul_hi_u32 v5, v4, v5
	v_add_u32_e32 v4, v4, v5
	v_mov_b32_e32 v5, v0
	s_branch .LBB211_24
.LBB211_23:                             ;   in Loop: Header=BB211_24 Depth=1
	s_or_b64 exec, exec, s[16:17]
	v_add_u32_e32 v5, s21, v5
	v_cmp_le_i32_e32 vcc, s8, v5
	s_or_b64 s[10:11], vcc, s[10:11]
	v_add_u32_e32 v2, s22, v2
	s_andn2_b64 exec, exec, s[10:11]
	s_cbranch_execz .LBB211_26
.LBB211_24:                             ; =>This Inner Loop Header: Depth=1
	v_sub_u32_e32 v7, 0, v5
	v_max_i32_e32 v7, v5, v7
	v_mul_hi_u32 v8, v7, v4
	v_mul_lo_u32 v9, v8, s18
	v_sub_u32_e32 v7, v7, v9
	v_add_u32_e32 v9, 1, v8
	v_cmp_le_u32_e32 vcc, s18, v7
	v_cndmask_b32_e32 v8, v8, v9, vcc
	v_subrev_u32_e32 v9, s18, v7
	v_cndmask_b32_e32 v7, v7, v9, vcc
	v_ashrrev_i32_e32 v6, 31, v5
	v_add_u32_e32 v9, 1, v8
	v_cmp_le_u32_e32 vcc, s18, v7
	v_xor_b32_e32 v6, s19, v6
	v_cndmask_b32_e32 v7, v8, v9, vcc
	v_xor_b32_e32 v7, v7, v6
	v_sub_u32_e32 v6, v7, v6
	v_lshl_add_u32 v6, v6, 2, s7
	ds_read_b32 v6, v6
	s_waitcnt lgkmcnt(0)
	v_cmp_neq_f32_e32 vcc, s20, v6
	s_and_saveexec_b64 s[16:17], vcc
	s_cbranch_execz .LBB211_23
; %bb.25:                               ;   in Loop: Header=BB211_24 Depth=1
	ds_write_b32 v2, v3
	s_branch .LBB211_23
.LBB211_26:
	s_or_b64 exec, exec, s[2:3]
	s_cmp_lt_i32 s9, 1
	s_waitcnt lgkmcnt(0)
	s_barrier
	s_cbranch_scc1 .LBB211_33
; %bb.27:
	s_add_u32 s2, s4, 64
	s_addc_u32 s3, s5, 0
	s_mov_b32 s7, 0
	v_mov_b32_e32 v4, 0xff800000
                                        ; implicit-def: $vgpr3
                                        ; implicit-def: $vgpr2
	s_branch .LBB211_29
.LBB211_28:                             ;   in Loop: Header=BB211_29 Depth=1
	s_or_b64 exec, exec, s[10:11]
	v_mov_b32_dpp v8, v6 quad_perm:[1,0,3,2] row_mask:0xf bank_mask:0xf
	v_cmp_lt_f32_e32 vcc, v6, v8
	v_cndmask_b32_e32 v6, v6, v8, vcc
	v_mov_b32_dpp v7, v5 quad_perm:[1,0,3,2] row_mask:0xf bank_mask:0xf
	v_cndmask_b32_e32 v5, v5, v7, vcc
	v_mov_b32_dpp v8, v6 quad_perm:[2,3,0,1] row_mask:0xf bank_mask:0xf
	v_cmp_gt_f32_e32 vcc, v8, v6
	v_cndmask_b32_e32 v6, v6, v8, vcc
	v_mov_b32_dpp v7, v5 quad_perm:[2,3,0,1] row_mask:0xf bank_mask:0xf
	v_cndmask_b32_e32 v5, v5, v7, vcc
	v_mov_b32_dpp v8, v6 row_half_mirror row_mask:0xf bank_mask:0xf
	v_cmp_gt_f32_e32 vcc, v8, v6
	v_cndmask_b32_e32 v6, v6, v8, vcc
	v_mov_b32_dpp v7, v5 row_half_mirror row_mask:0xf bank_mask:0xf
	v_cndmask_b32_e32 v5, v5, v7, vcc
	v_mov_b32_dpp v8, v6 row_mirror row_mask:0xf bank_mask:0xf
	v_cmp_gt_f32_e32 vcc, v8, v6
	v_cndmask_b32_e32 v6, v6, v8, vcc
	v_mov_b32_dpp v7, v5 row_mirror row_mask:0xf bank_mask:0xf
	v_cndmask_b32_e32 v5, v5, v7, vcc
	v_mov_b32_dpp v8, v6 row_bcast:15 row_mask:0xf bank_mask:0xf
	v_cmp_gt_f32_e32 vcc, v8, v6
	v_mov_b32_dpp v7, v5 row_bcast:15 row_mask:0xf bank_mask:0xf
	v_cndmask_b32_e32 v6, v6, v8, vcc
	v_cndmask_b32_e32 v5, v5, v7, vcc
	s_nop 0
	v_mov_b32_dpp v8, v6 row_bcast:31 row_mask:0xf bank_mask:0xf
	v_mov_b32_dpp v7, v5 row_bcast:31 row_mask:0xf bank_mask:0xf
	v_cmp_gt_f32_e32 vcc, v8, v6
	v_cndmask_b32_e32 v5, v5, v7, vcc
	v_readlane_b32 s11, v5, 63
	s_lshl_b32 s16, s11, 2
	s_add_i32 s16, s16, 0
	v_cndmask_b32_e32 v6, v6, v8, vcc
	v_mov_b32_e32 v5, s16
	v_readlane_b32 s10, v6, 63
	ds_write_b32 v5, v4
	v_mov_b32_e32 v5, s11
	v_cmp_eq_u32_e32 vcc, s7, v0
	v_cndmask_b32_e32 v2, v2, v5, vcc
	v_mov_b32_e32 v5, s10
	s_add_i32 s7, s7, 1
	s_cmp_eq_u32 s7, s9
	v_cndmask_b32_e32 v3, v3, v5, vcc
	s_cbranch_scc1 .LBB211_34
.LBB211_29:                             ; =>This Loop Header: Depth=1
                                        ;     Child Loop BB211_31 Depth 2
	v_mov_b32_e32 v5, s7
	v_mov_b32_e32 v6, 0xff800000
	s_and_saveexec_b64 s[10:11], s[0:1]
	s_cbranch_execz .LBB211_28
; %bb.30:                               ;   in Loop: Header=BB211_29 Depth=1
	s_load_dword s18, s[2:3], 0xc
	s_mov_b64 s[16:17], 0
	v_mov_b32_e32 v5, s7
	v_mov_b32_e32 v6, 0xff800000
	;; [unrolled: 1-line block ×3, first 2 shown]
	s_waitcnt lgkmcnt(0)
	s_and_b32 s18, s18, 0xffff
	s_lshl_b32 s19, s18, 2
	v_mov_b32_e32 v8, v0
.LBB211_31:                             ;   Parent Loop BB211_29 Depth=1
                                        ; =>  This Inner Loop Header: Depth=2
	ds_read_b32 v9, v7
	v_add_u32_e32 v7, s19, v7
	s_waitcnt lgkmcnt(0)
	v_cmp_gt_f32_e32 vcc, v9, v6
	v_cndmask_b32_e32 v5, v5, v8, vcc
	v_add_u32_e32 v8, s18, v8
	v_cndmask_b32_e32 v6, v6, v9, vcc
	v_cmp_le_i32_e32 vcc, s8, v8
	s_or_b64 s[16:17], vcc, s[16:17]
	s_andn2_b64 exec, exec, s[16:17]
	s_cbranch_execnz .LBB211_31
; %bb.32:                               ;   in Loop: Header=BB211_29 Depth=1
	s_or_b64 exec, exec, s[16:17]
	s_branch .LBB211_28
.LBB211_33:
                                        ; implicit-def: $vgpr3
                                        ; implicit-def: $vgpr2
.LBB211_34:
	v_cmp_gt_i32_e32 vcc, s9, v0
	s_and_saveexec_b64 s[0:1], vcc
	s_cbranch_execz .LBB211_37
; %bb.35:
	s_load_dword s2, s[4:5], 0x38
	s_load_dwordx2 s[0:1], s[4:5], 0x20
	s_ashr_i32 s3, s6, 31
	s_load_dword s4, s[4:5], 0x4c
	v_mov_b32_e32 v4, s13
	s_waitcnt lgkmcnt(0)
	v_mul_f32_e32 v1, s2, v3
	s_mul_i32 s1, s6, s1
	s_mul_hi_u32 s2, s6, s0
	s_add_i32 s1, s2, s1
	s_mul_i32 s3, s3, s0
	s_add_i32 s5, s1, s3
	s_mul_i32 s2, s6, s0
	s_and_b32 s3, s4, 0xffff
	s_mov_b64 s[0:1], 0
	v_mov_b32_e32 v3, s5
	v_mov_b32_e32 v5, s15
.LBB211_36:                             ; =>This Inner Loop Header: Depth=1
	v_ashrrev_i32_e32 v7, 31, v0
	v_add_co_u32_e32 v6, vcc, s2, v0
	v_addc_co_u32_e32 v7, vcc, v3, v7, vcc
	v_add_u32_e32 v0, s3, v0
	v_cmp_le_i32_e32 vcc, s9, v0
	v_lshlrev_b64 v[6:7], 2, v[6:7]
	s_or_b64 s[0:1], vcc, s[0:1]
	v_add_co_u32_e32 v8, vcc, s12, v6
	v_addc_co_u32_e32 v9, vcc, v4, v7, vcc
	v_add_co_u32_e32 v6, vcc, s14, v6
	v_addc_co_u32_e32 v7, vcc, v5, v7, vcc
	global_store_dword v[8:9], v1, off
	global_store_dword v[6:7], v2, off
	s_andn2_b64 exec, exec, s[0:1]
	s_cbranch_execnz .LBB211_36
.LBB211_37:
	s_endpgm
	.section	.rodata,"a",@progbits
	.p2align	6, 0x0
	.amdhsa_kernel _ZN5aiter19grouped_topk_kernelIfDv1_fLi8ELb0ELb0ELb1EEEvPT_PKS2_PfPimiiiif
		.amdhsa_group_segment_fixed_size 0
		.amdhsa_private_segment_fixed_size 0
		.amdhsa_kernarg_size 320
		.amdhsa_user_sgpr_count 6
		.amdhsa_user_sgpr_private_segment_buffer 1
		.amdhsa_user_sgpr_dispatch_ptr 0
		.amdhsa_user_sgpr_queue_ptr 0
		.amdhsa_user_sgpr_kernarg_segment_ptr 1
		.amdhsa_user_sgpr_dispatch_id 0
		.amdhsa_user_sgpr_flat_scratch_init 0
		.amdhsa_user_sgpr_kernarg_preload_length 0
		.amdhsa_user_sgpr_kernarg_preload_offset 0
		.amdhsa_user_sgpr_private_segment_size 0
		.amdhsa_uses_dynamic_stack 0
		.amdhsa_system_sgpr_private_segment_wavefront_offset 0
		.amdhsa_system_sgpr_workgroup_id_x 1
		.amdhsa_system_sgpr_workgroup_id_y 0
		.amdhsa_system_sgpr_workgroup_id_z 0
		.amdhsa_system_sgpr_workgroup_info 0
		.amdhsa_system_vgpr_workitem_id 0
		.amdhsa_next_free_vgpr 13
		.amdhsa_next_free_sgpr 24
		.amdhsa_accum_offset 16
		.amdhsa_reserve_vcc 1
		.amdhsa_reserve_flat_scratch 0
		.amdhsa_float_round_mode_32 0
		.amdhsa_float_round_mode_16_64 0
		.amdhsa_float_denorm_mode_32 3
		.amdhsa_float_denorm_mode_16_64 3
		.amdhsa_dx10_clamp 1
		.amdhsa_ieee_mode 1
		.amdhsa_fp16_overflow 0
		.amdhsa_tg_split 0
		.amdhsa_exception_fp_ieee_invalid_op 0
		.amdhsa_exception_fp_denorm_src 0
		.amdhsa_exception_fp_ieee_div_zero 0
		.amdhsa_exception_fp_ieee_overflow 0
		.amdhsa_exception_fp_ieee_underflow 0
		.amdhsa_exception_fp_ieee_inexact 0
		.amdhsa_exception_int_div_zero 0
	.end_amdhsa_kernel
	.section	.text._ZN5aiter19grouped_topk_kernelIfDv1_fLi8ELb0ELb0ELb1EEEvPT_PKS2_PfPimiiiif,"axG",@progbits,_ZN5aiter19grouped_topk_kernelIfDv1_fLi8ELb0ELb0ELb1EEEvPT_PKS2_PfPimiiiif,comdat
.Lfunc_end211:
	.size	_ZN5aiter19grouped_topk_kernelIfDv1_fLi8ELb0ELb0ELb1EEEvPT_PKS2_PfPimiiiif, .Lfunc_end211-_ZN5aiter19grouped_topk_kernelIfDv1_fLi8ELb0ELb0ELb1EEEvPT_PKS2_PfPimiiiif
                                        ; -- End function
	.section	.AMDGPU.csdata,"",@progbits
; Kernel info:
; codeLenInByte = 2216
; NumSgprs: 28
; NumVgprs: 13
; NumAgprs: 0
; TotalNumVgprs: 13
; ScratchSize: 0
; MemoryBound: 0
; FloatMode: 240
; IeeeMode: 1
; LDSByteSize: 0 bytes/workgroup (compile time only)
; SGPRBlocks: 3
; VGPRBlocks: 1
; NumSGPRsForWavesPerEU: 28
; NumVGPRsForWavesPerEU: 13
; AccumOffset: 16
; Occupancy: 8
; WaveLimiterHint : 0
; COMPUTE_PGM_RSRC2:SCRATCH_EN: 0
; COMPUTE_PGM_RSRC2:USER_SGPR: 6
; COMPUTE_PGM_RSRC2:TRAP_HANDLER: 0
; COMPUTE_PGM_RSRC2:TGID_X_EN: 1
; COMPUTE_PGM_RSRC2:TGID_Y_EN: 0
; COMPUTE_PGM_RSRC2:TGID_Z_EN: 0
; COMPUTE_PGM_RSRC2:TIDIG_COMP_CNT: 0
; COMPUTE_PGM_RSRC3_GFX90A:ACCUM_OFFSET: 3
; COMPUTE_PGM_RSRC3_GFX90A:TG_SPLIT: 0
	.section	.text._ZN5aiter19grouped_topk_kernelIN3c104HalfEDv1_fLi8ELb0ELb0ELb1EEEvPT_PKS4_PfPimiiiif,"axG",@progbits,_ZN5aiter19grouped_topk_kernelIN3c104HalfEDv1_fLi8ELb0ELb0ELb1EEEvPT_PKS4_PfPimiiiif,comdat
	.protected	_ZN5aiter19grouped_topk_kernelIN3c104HalfEDv1_fLi8ELb0ELb0ELb1EEEvPT_PKS4_PfPimiiiif ; -- Begin function _ZN5aiter19grouped_topk_kernelIN3c104HalfEDv1_fLi8ELb0ELb0ELb1EEEvPT_PKS4_PfPimiiiif
	.globl	_ZN5aiter19grouped_topk_kernelIN3c104HalfEDv1_fLi8ELb0ELb0ELb1EEEvPT_PKS4_PfPimiiiif
	.p2align	8
	.type	_ZN5aiter19grouped_topk_kernelIN3c104HalfEDv1_fLi8ELb0ELb0ELb1EEEvPT_PKS4_PfPimiiiif,@function
_ZN5aiter19grouped_topk_kernelIN3c104HalfEDv1_fLi8ELb0ELb0ELb1EEEvPT_PKS4_PfPimiiiif: ; @_ZN5aiter19grouped_topk_kernelIN3c104HalfEDv1_fLi8ELb0ELb0ELb1EEEvPT_PKS4_PfPimiiiif
; %bb.0:
	s_load_dwordx4 s[8:11], s[4:5], 0x28
	s_load_dwordx4 s[12:15], s[4:5], 0x10
	v_mov_b32_e32 v2, 0xff800000
	v_lshl_add_u32 v1, v0, 2, 0
	s_waitcnt lgkmcnt(0)
	v_cmp_gt_i32_e64 s[0:1], s8, v0
	s_and_saveexec_b64 s[2:3], s[0:1]
	s_cbranch_execz .LBB212_4
; %bb.1:
	s_load_dword s11, s[4:5], 0x4c
	s_load_dwordx2 s[16:17], s[4:5], 0x0
	s_mul_i32 s7, s6, s8
	v_lshl_add_u32 v3, v0, 2, 0
	s_mov_b64 s[18:19], 0
	s_waitcnt lgkmcnt(0)
	s_and_b32 s11, s11, 0xffff
	s_lshl_b32 s20, s11, 2
	v_mov_b32_e32 v2, 0xff800000
	v_mov_b32_e32 v4, s17
	;; [unrolled: 1-line block ×3, first 2 shown]
.LBB212_2:                              ; =>This Inner Loop Header: Depth=1
	v_add_u32_e32 v6, s7, v5
	v_ashrrev_i32_e32 v7, 31, v6
	v_lshlrev_b64 v[6:7], 1, v[6:7]
	v_add_co_u32_e32 v6, vcc, s16, v6
	v_addc_co_u32_e32 v7, vcc, v4, v7, vcc
	global_load_ushort v6, v[6:7], off
	v_add_u32_e32 v5, s11, v5
	v_cmp_le_i32_e32 vcc, s8, v5
	s_or_b64 s[18:19], vcc, s[18:19]
	s_waitcnt vmcnt(0)
	v_cvt_f32_f16_e32 v6, v6
	v_cmp_lt_f32_e32 vcc, v2, v6
	ds_write_b32 v3, v6
	v_cndmask_b32_e32 v2, v2, v6, vcc
	v_add_u32_e32 v3, s20, v3
	s_andn2_b64 exec, exec, s[18:19]
	s_cbranch_execnz .LBB212_2
; %bb.3:
	s_or_b64 exec, exec, s[18:19]
.LBB212_4:
	s_or_b64 exec, exec, s[2:3]
	v_mov_b32_dpp v3, v2 quad_perm:[1,0,3,2] row_mask:0xf bank_mask:0xf
	v_cmp_lt_f32_e32 vcc, v2, v3
	v_cndmask_b32_e32 v2, v2, v3, vcc
	v_bfrev_b32_e32 v4, 0.5
	s_waitcnt lgkmcnt(0)
	v_mov_b32_dpp v3, v2 quad_perm:[2,3,0,1] row_mask:0xf bank_mask:0xf
	v_cmp_lt_f32_e32 vcc, v2, v3
	v_cndmask_b32_e32 v2, v2, v3, vcc
	s_barrier
	s_nop 0
	v_mov_b32_dpp v3, v2 row_half_mirror row_mask:0xf bank_mask:0xf
	v_cmp_lt_f32_e32 vcc, v2, v3
	v_cndmask_b32_e32 v2, v2, v3, vcc
	s_nop 1
	v_mov_b32_dpp v3, v2 row_mirror row_mask:0xf bank_mask:0xf
	v_cmp_lt_f32_e32 vcc, v2, v3
	v_cndmask_b32_e32 v2, v2, v3, vcc
	s_nop 1
	v_mov_b32_dpp v3, v2 row_bcast:15 row_mask:0xf bank_mask:0xf
	v_cmp_lt_f32_e32 vcc, v2, v3
	v_cndmask_b32_e32 v2, v2, v3, vcc
	s_nop 1
	v_mov_b32_dpp v3, v2 row_bcast:31 row_mask:0xf bank_mask:0xf
	v_cmp_lt_f32_e32 vcc, v2, v3
	v_cndmask_b32_e32 v3, v2, v3, vcc
	v_mbcnt_lo_u32_b32 v2, -1, 0
	v_mbcnt_hi_u32_b32 v2, -1, v2
	v_lshl_or_b32 v2, v2, 2, v4
	ds_bpermute_b32 v4, v2, v3
	v_mov_b32_e32 v3, 0
	s_and_saveexec_b64 s[2:3], s[0:1]
	s_cbranch_execz .LBB212_8
; %bb.5:
	s_load_dword s11, s[4:5], 0x4c
	v_lshl_add_u32 v5, v0, 2, 0
	s_mov_b64 s[16:17], 0
	v_mov_b32_e32 v3, 0
	s_mov_b32 s7, 0x3fb8aa3b
	s_waitcnt lgkmcnt(0)
	s_and_b32 s11, s11, 0xffff
	s_lshl_b32 s18, s11, 2
	s_mov_b32 s19, 0xc2ce8ed0
	s_mov_b32 s20, 0x42b17218
	v_mov_b32_e32 v6, 0x7f800000
	v_mov_b32_e32 v7, v0
.LBB212_6:                              ; =>This Inner Loop Header: Depth=1
	ds_read_b32 v8, v5
	v_add_u32_e32 v7, s11, v7
	s_waitcnt lgkmcnt(0)
	v_sub_f32_e32 v8, v8, v4
	v_mul_f32_e32 v9, 0x3fb8aa3b, v8
	v_fma_f32 v10, v8, s7, -v9
	v_rndne_f32_e32 v11, v9
	v_fmac_f32_e32 v10, 0x32a5705f, v8
	v_sub_f32_e32 v9, v9, v11
	v_add_f32_e32 v9, v9, v10
	v_cvt_i32_f32_e32 v11, v11
	v_exp_f32_e32 v9, v9
	v_cmp_ngt_f32_e32 vcc, s19, v8
	v_ldexp_f32 v9, v9, v11
	v_cndmask_b32_e32 v9, 0, v9, vcc
	v_cmp_nlt_f32_e32 vcc, s20, v8
	v_cndmask_b32_e32 v8, v6, v9, vcc
	v_cmp_le_i32_e32 vcc, s8, v7
	ds_write_b32 v5, v8
	v_add_f32_e32 v3, v3, v8
	s_or_b64 s[16:17], vcc, s[16:17]
	v_add_u32_e32 v5, s18, v5
	s_andn2_b64 exec, exec, s[16:17]
	s_cbranch_execnz .LBB212_6
; %bb.7:
	s_or_b64 exec, exec, s[16:17]
.LBB212_8:
	s_or_b64 exec, exec, s[2:3]
	s_waitcnt lgkmcnt(0)
	v_mov_b32_dpp v4, v3 quad_perm:[1,0,3,2] row_mask:0xf bank_mask:0xf
	v_add_f32_e32 v3, v3, v4
	s_barrier
	s_nop 0
	v_mov_b32_dpp v4, v3 quad_perm:[2,3,0,1] row_mask:0xf bank_mask:0xf
	v_add_f32_e32 v3, v3, v4
	s_nop 1
	v_mov_b32_dpp v4, v3 row_half_mirror row_mask:0xf bank_mask:0xf
	v_add_f32_e32 v3, v3, v4
	s_nop 1
	v_mov_b32_dpp v4, v3 row_mirror row_mask:0xf bank_mask:0xf
	v_add_f32_e32 v3, v3, v4
	s_nop 1
	v_mov_b32_dpp v4, v3 row_bcast:15 row_mask:0xf bank_mask:0xf
	v_add_f32_e32 v3, v3, v4
	s_nop 1
	v_mov_b32_dpp v4, v3 row_bcast:31 row_mask:0xf bank_mask:0xf
	v_add_f32_e32 v3, v3, v4
	ds_bpermute_b32 v2, v2, v3
	s_and_saveexec_b64 s[2:3], s[0:1]
	s_cbranch_execz .LBB212_11
; %bb.9:
	s_load_dword s7, s[4:5], 0x4c
	v_lshl_add_u32 v3, v0, 2, 0
	s_mov_b64 s[16:17], 0
	v_mov_b32_e32 v4, v0
	s_waitcnt lgkmcnt(0)
	s_and_b32 s7, s7, 0xffff
	s_lshl_b32 s11, s7, 2
.LBB212_10:                             ; =>This Inner Loop Header: Depth=1
	ds_read_b32 v5, v3
	v_add_u32_e32 v4, s7, v4
	v_cmp_le_i32_e32 vcc, s8, v4
	s_or_b64 s[16:17], vcc, s[16:17]
	s_waitcnt lgkmcnt(0)
	v_div_scale_f32 v6, s[18:19], v2, v2, v5
	v_rcp_f32_e32 v7, v6
	v_div_scale_f32 v8, vcc, v5, v2, v5
	v_fma_f32 v9, -v6, v7, 1.0
	v_fmac_f32_e32 v7, v9, v7
	v_mul_f32_e32 v9, v8, v7
	v_fma_f32 v10, -v6, v9, v8
	v_fmac_f32_e32 v9, v10, v7
	v_fma_f32 v6, -v6, v9, v8
	v_div_fmas_f32 v6, v6, v7, v9
	v_div_fixup_f32 v5, v6, v2, v5
	ds_write_b32 v3, v5
	v_add_u32_e32 v3, s11, v3
	s_andn2_b64 exec, exec, s[16:17]
	s_cbranch_execnz .LBB212_10
.LBB212_11:
	s_or_b64 exec, exec, s[2:3]
	s_ashr_i32 s2, s8, 31
	s_lshr_b32 s2, s2, 29
	s_add_i32 s2, s8, s2
	s_ashr_i32 s11, s2, 3
	s_lshl_b32 s2, s8, 2
	s_add_i32 s7, s2, 0
	v_cmp_gt_u32_e32 vcc, 8, v0
	s_waitcnt lgkmcnt(0)
	s_barrier
	s_and_saveexec_b64 s[16:17], vcc
	s_cbranch_execz .LBB212_18
; %bb.12:
	s_load_dword s2, s[4:5], 0x4c
	v_mul_lo_u32 v2, v0, s11
	v_lshl_add_u32 v2, v2, 2, 0
	s_waitcnt lgkmcnt(0)
	s_and_b32 s22, s2, 0xffff
	s_cmp_gt_i32 s8, 7
	s_cselect_b64 s[2:3], -1, 0
	s_mul_i32 s18, s11, s22
	v_cndmask_b32_e64 v3, 0, 1, s[2:3]
	s_lshl_b32 s23, s18, 2
	s_mov_b64 s[18:19], 0
	v_cmp_ne_u32_e64 s[2:3], 1, v3
	v_mov_b32_e32 v3, v0
	s_branch .LBB212_14
.LBB212_13:                             ;   in Loop: Header=BB212_14 Depth=1
	v_lshl_add_u32 v5, v3, 2, s7
	v_add_u32_e32 v3, s22, v3
	v_cmp_lt_u32_e32 vcc, 7, v3
	s_or_b64 s[18:19], vcc, s[18:19]
	v_add_u32_e32 v2, s23, v2
	ds_write_b32 v5, v4
	s_andn2_b64 exec, exec, s[18:19]
	s_cbranch_execz .LBB212_18
.LBB212_14:                             ; =>This Loop Header: Depth=1
                                        ;     Child Loop BB212_16 Depth 2
	s_and_b64 vcc, exec, s[2:3]
	v_mov_b32_e32 v4, 0xff800000
	s_cbranch_vccnz .LBB212_13
; %bb.15:                               ;   in Loop: Header=BB212_14 Depth=1
	v_mul_lo_u32 v5, v3, s11
	v_add_u32_e32 v6, s11, v5
	s_mov_b64 s[20:21], 0
	v_mov_b32_e32 v4, 0xff800000
	v_mov_b32_e32 v7, v2
.LBB212_16:                             ;   Parent Loop BB212_14 Depth=1
                                        ; =>  This Inner Loop Header: Depth=2
	ds_read_b32 v8, v7
	v_add_u32_e32 v5, 1, v5
	v_cmp_ge_i32_e32 vcc, v5, v6
	s_or_b64 s[20:21], vcc, s[20:21]
	v_add_u32_e32 v7, 4, v7
	s_waitcnt lgkmcnt(0)
	v_cmp_gt_f32_e32 vcc, v8, v4
	v_cndmask_b32_e32 v4, v4, v8, vcc
	s_andn2_b64 exec, exec, s[20:21]
	s_cbranch_execnz .LBB212_16
; %bb.17:                               ;   in Loop: Header=BB212_14 Depth=1
	s_or_b64 exec, exec, s[20:21]
	s_branch .LBB212_13
.LBB212_18:
	s_or_b64 exec, exec, s[16:17]
	s_cmp_lt_i32 s10, 1
	s_waitcnt lgkmcnt(0)
	s_barrier
	s_cbranch_scc1 .LBB212_21
; %bb.19:
	v_mov_b32_e32 v2, s7
	s_mov_b32 s2, 0xff800000
	v_mov_b32_e32 v3, 0xff800000
.LBB212_20:                             ; =>This Inner Loop Header: Depth=1
	ds_read2_b32 v[4:5], v2 offset1:1
	ds_read2_b32 v[6:7], v2 offset0:2 offset1:3
	ds_read2_b32 v[8:9], v2 offset0:4 offset1:5
	ds_read2_b32 v[10:11], v2 offset0:6 offset1:7
	s_waitcnt lgkmcnt(3)
	v_cmp_nlg_f32_e32 vcc, s2, v4
	v_cndmask_b32_e64 v12, 0, 1, vcc
	v_cmp_lg_f32_e32 vcc, s2, v4
	v_cndmask_b32_e32 v4, v3, v4, vcc
	v_readfirstlane_b32 s3, v12
	v_cmp_gt_f32_e32 vcc, v5, v4
	s_lshl_b32 s3, s3, 3
	v_cndmask_b32_e32 v4, v4, v5, vcc
	s_and_b64 s[16:17], vcc, exec
	s_waitcnt lgkmcnt(2)
	v_cmp_gt_f32_e32 vcc, v6, v4
	v_cndmask_b32_e32 v4, v4, v6, vcc
	s_cselect_b32 s3, 1, s3
	s_and_b64 s[16:17], vcc, exec
	v_cmp_gt_f32_e32 vcc, v7, v4
	v_cndmask_b32_e32 v4, v4, v7, vcc
	s_cselect_b32 s3, 2, s3
	s_and_b64 s[16:17], vcc, exec
	s_waitcnt lgkmcnt(1)
	v_cmp_gt_f32_e32 vcc, v8, v4
	v_cndmask_b32_e32 v4, v4, v8, vcc
	s_cselect_b32 s3, 3, s3
	s_and_b64 s[16:17], vcc, exec
	v_cmp_gt_f32_e32 vcc, v9, v4
	v_cndmask_b32_e32 v4, v4, v9, vcc
	s_cselect_b32 s3, 4, s3
	s_and_b64 s[16:17], vcc, exec
	s_waitcnt lgkmcnt(0)
	v_cmp_gt_f32_e32 vcc, v10, v4
	v_cndmask_b32_e32 v4, v4, v10, vcc
	s_cselect_b32 s3, 5, s3
	s_and_b64 s[16:17], vcc, exec
	v_cmp_ngt_f32_e32 vcc, v11, v4
	s_cselect_b32 s3, 6, s3
	s_and_b64 s[16:17], vcc, exec
	s_cselect_b32 s3, s3, 7
	s_lshl_b32 s3, s3, 2
	s_add_i32 s3, s7, s3
	s_add_i32 s10, s10, -1
	v_mov_b32_e32 v4, s3
	s_cmp_lg_u32 s10, 0
	ds_write_b32 v4, v3
	s_cbranch_scc1 .LBB212_20
.LBB212_21:
	s_and_saveexec_b64 s[2:3], s[0:1]
	s_cbranch_execz .LBB212_26
; %bb.22:
	s_abs_i32 s18, s11
	v_cvt_f32_u32_e32 v3, s18
	s_load_dword s16, s[4:5], 0x4c
	s_sub_i32 s17, 0, s18
	s_ashr_i32 s19, s11, 31
	v_rcp_iflag_f32_e32 v4, v3
	v_lshl_add_u32 v2, v0, 2, 0
	s_waitcnt lgkmcnt(0)
	s_and_b32 s21, s16, 0xffff
	s_mov_b64 s[10:11], 0
	v_mul_f32_e32 v4, 0x4f7ffffe, v4
	v_cvt_u32_f32_e32 v4, v4
	s_mov_b32 s20, 0xff800000
	v_mov_b32_e32 v3, 0xff800000
	s_lshl_b32 s22, s21, 2
	v_mul_lo_u32 v5, s17, v4
	v_mul_hi_u32 v5, v4, v5
	v_add_u32_e32 v4, v4, v5
	v_mov_b32_e32 v5, v0
	s_branch .LBB212_24
.LBB212_23:                             ;   in Loop: Header=BB212_24 Depth=1
	s_or_b64 exec, exec, s[16:17]
	v_add_u32_e32 v5, s21, v5
	v_cmp_le_i32_e32 vcc, s8, v5
	s_or_b64 s[10:11], vcc, s[10:11]
	v_add_u32_e32 v2, s22, v2
	s_andn2_b64 exec, exec, s[10:11]
	s_cbranch_execz .LBB212_26
.LBB212_24:                             ; =>This Inner Loop Header: Depth=1
	v_sub_u32_e32 v7, 0, v5
	v_max_i32_e32 v7, v5, v7
	v_mul_hi_u32 v8, v7, v4
	v_mul_lo_u32 v9, v8, s18
	v_sub_u32_e32 v7, v7, v9
	v_add_u32_e32 v9, 1, v8
	v_cmp_le_u32_e32 vcc, s18, v7
	v_cndmask_b32_e32 v8, v8, v9, vcc
	v_subrev_u32_e32 v9, s18, v7
	v_cndmask_b32_e32 v7, v7, v9, vcc
	v_ashrrev_i32_e32 v6, 31, v5
	v_add_u32_e32 v9, 1, v8
	v_cmp_le_u32_e32 vcc, s18, v7
	v_xor_b32_e32 v6, s19, v6
	v_cndmask_b32_e32 v7, v8, v9, vcc
	v_xor_b32_e32 v7, v7, v6
	v_sub_u32_e32 v6, v7, v6
	v_lshl_add_u32 v6, v6, 2, s7
	ds_read_b32 v6, v6
	s_waitcnt lgkmcnt(0)
	v_cmp_neq_f32_e32 vcc, s20, v6
	s_and_saveexec_b64 s[16:17], vcc
	s_cbranch_execz .LBB212_23
; %bb.25:                               ;   in Loop: Header=BB212_24 Depth=1
	ds_write_b32 v2, v3
	s_branch .LBB212_23
.LBB212_26:
	s_or_b64 exec, exec, s[2:3]
	s_cmp_lt_i32 s9, 1
	s_waitcnt lgkmcnt(0)
	s_barrier
	s_cbranch_scc1 .LBB212_33
; %bb.27:
	s_add_u32 s2, s4, 64
	s_addc_u32 s3, s5, 0
	s_mov_b32 s7, 0
	v_mov_b32_e32 v4, 0xff800000
                                        ; implicit-def: $vgpr3
                                        ; implicit-def: $vgpr2
	s_branch .LBB212_29
.LBB212_28:                             ;   in Loop: Header=BB212_29 Depth=1
	s_or_b64 exec, exec, s[10:11]
	v_mov_b32_dpp v8, v6 quad_perm:[1,0,3,2] row_mask:0xf bank_mask:0xf
	v_cmp_lt_f32_e32 vcc, v6, v8
	v_cndmask_b32_e32 v6, v6, v8, vcc
	v_mov_b32_dpp v7, v5 quad_perm:[1,0,3,2] row_mask:0xf bank_mask:0xf
	v_cndmask_b32_e32 v5, v5, v7, vcc
	v_mov_b32_dpp v8, v6 quad_perm:[2,3,0,1] row_mask:0xf bank_mask:0xf
	v_cmp_gt_f32_e32 vcc, v8, v6
	v_cndmask_b32_e32 v6, v6, v8, vcc
	v_mov_b32_dpp v7, v5 quad_perm:[2,3,0,1] row_mask:0xf bank_mask:0xf
	v_cndmask_b32_e32 v5, v5, v7, vcc
	v_mov_b32_dpp v8, v6 row_half_mirror row_mask:0xf bank_mask:0xf
	v_cmp_gt_f32_e32 vcc, v8, v6
	v_cndmask_b32_e32 v6, v6, v8, vcc
	v_mov_b32_dpp v7, v5 row_half_mirror row_mask:0xf bank_mask:0xf
	v_cndmask_b32_e32 v5, v5, v7, vcc
	v_mov_b32_dpp v8, v6 row_mirror row_mask:0xf bank_mask:0xf
	v_cmp_gt_f32_e32 vcc, v8, v6
	v_cndmask_b32_e32 v6, v6, v8, vcc
	v_mov_b32_dpp v7, v5 row_mirror row_mask:0xf bank_mask:0xf
	v_cndmask_b32_e32 v5, v5, v7, vcc
	v_mov_b32_dpp v8, v6 row_bcast:15 row_mask:0xf bank_mask:0xf
	v_cmp_gt_f32_e32 vcc, v8, v6
	v_mov_b32_dpp v7, v5 row_bcast:15 row_mask:0xf bank_mask:0xf
	v_cndmask_b32_e32 v6, v6, v8, vcc
	v_cndmask_b32_e32 v5, v5, v7, vcc
	s_nop 0
	v_mov_b32_dpp v8, v6 row_bcast:31 row_mask:0xf bank_mask:0xf
	v_mov_b32_dpp v7, v5 row_bcast:31 row_mask:0xf bank_mask:0xf
	v_cmp_gt_f32_e32 vcc, v8, v6
	v_cndmask_b32_e32 v5, v5, v7, vcc
	v_readlane_b32 s11, v5, 63
	s_lshl_b32 s16, s11, 2
	s_add_i32 s16, s16, 0
	v_cndmask_b32_e32 v6, v6, v8, vcc
	v_mov_b32_e32 v5, s16
	v_readlane_b32 s10, v6, 63
	ds_write_b32 v5, v4
	v_mov_b32_e32 v5, s11
	v_cmp_eq_u32_e32 vcc, s7, v0
	v_cndmask_b32_e32 v2, v2, v5, vcc
	v_mov_b32_e32 v5, s10
	s_add_i32 s7, s7, 1
	s_cmp_eq_u32 s7, s9
	v_cndmask_b32_e32 v3, v3, v5, vcc
	s_cbranch_scc1 .LBB212_34
.LBB212_29:                             ; =>This Loop Header: Depth=1
                                        ;     Child Loop BB212_31 Depth 2
	v_mov_b32_e32 v5, s7
	v_mov_b32_e32 v6, 0xff800000
	s_and_saveexec_b64 s[10:11], s[0:1]
	s_cbranch_execz .LBB212_28
; %bb.30:                               ;   in Loop: Header=BB212_29 Depth=1
	s_load_dword s18, s[2:3], 0xc
	s_mov_b64 s[16:17], 0
	v_mov_b32_e32 v5, s7
	v_mov_b32_e32 v6, 0xff800000
	;; [unrolled: 1-line block ×3, first 2 shown]
	s_waitcnt lgkmcnt(0)
	s_and_b32 s18, s18, 0xffff
	s_lshl_b32 s19, s18, 2
	v_mov_b32_e32 v8, v0
.LBB212_31:                             ;   Parent Loop BB212_29 Depth=1
                                        ; =>  This Inner Loop Header: Depth=2
	ds_read_b32 v9, v7
	v_add_u32_e32 v7, s19, v7
	s_waitcnt lgkmcnt(0)
	v_cmp_gt_f32_e32 vcc, v9, v6
	v_cndmask_b32_e32 v5, v5, v8, vcc
	v_add_u32_e32 v8, s18, v8
	v_cndmask_b32_e32 v6, v6, v9, vcc
	v_cmp_le_i32_e32 vcc, s8, v8
	s_or_b64 s[16:17], vcc, s[16:17]
	s_andn2_b64 exec, exec, s[16:17]
	s_cbranch_execnz .LBB212_31
; %bb.32:                               ;   in Loop: Header=BB212_29 Depth=1
	s_or_b64 exec, exec, s[16:17]
	s_branch .LBB212_28
.LBB212_33:
                                        ; implicit-def: $vgpr3
                                        ; implicit-def: $vgpr2
.LBB212_34:
	v_cmp_gt_i32_e32 vcc, s9, v0
	s_and_saveexec_b64 s[0:1], vcc
	s_cbranch_execz .LBB212_37
; %bb.35:
	s_load_dword s2, s[4:5], 0x38
	s_load_dwordx2 s[0:1], s[4:5], 0x20
	s_ashr_i32 s3, s6, 31
	s_load_dword s4, s[4:5], 0x4c
	v_mov_b32_e32 v4, s13
	s_waitcnt lgkmcnt(0)
	v_mul_f32_e32 v1, s2, v3
	s_mul_i32 s1, s6, s1
	s_mul_hi_u32 s2, s6, s0
	s_add_i32 s1, s2, s1
	s_mul_i32 s3, s3, s0
	s_add_i32 s5, s1, s3
	s_mul_i32 s2, s6, s0
	s_and_b32 s3, s4, 0xffff
	s_mov_b64 s[0:1], 0
	v_mov_b32_e32 v3, s5
	v_mov_b32_e32 v5, s15
.LBB212_36:                             ; =>This Inner Loop Header: Depth=1
	v_ashrrev_i32_e32 v7, 31, v0
	v_add_co_u32_e32 v6, vcc, s2, v0
	v_addc_co_u32_e32 v7, vcc, v3, v7, vcc
	v_add_u32_e32 v0, s3, v0
	v_cmp_le_i32_e32 vcc, s9, v0
	v_lshlrev_b64 v[6:7], 2, v[6:7]
	s_or_b64 s[0:1], vcc, s[0:1]
	v_add_co_u32_e32 v8, vcc, s12, v6
	v_addc_co_u32_e32 v9, vcc, v4, v7, vcc
	v_add_co_u32_e32 v6, vcc, s14, v6
	v_addc_co_u32_e32 v7, vcc, v5, v7, vcc
	global_store_dword v[8:9], v1, off
	global_store_dword v[6:7], v2, off
	s_andn2_b64 exec, exec, s[0:1]
	s_cbranch_execnz .LBB212_36
.LBB212_37:
	s_endpgm
	.section	.rodata,"a",@progbits
	.p2align	6, 0x0
	.amdhsa_kernel _ZN5aiter19grouped_topk_kernelIN3c104HalfEDv1_fLi8ELb0ELb0ELb1EEEvPT_PKS4_PfPimiiiif
		.amdhsa_group_segment_fixed_size 0
		.amdhsa_private_segment_fixed_size 0
		.amdhsa_kernarg_size 320
		.amdhsa_user_sgpr_count 6
		.amdhsa_user_sgpr_private_segment_buffer 1
		.amdhsa_user_sgpr_dispatch_ptr 0
		.amdhsa_user_sgpr_queue_ptr 0
		.amdhsa_user_sgpr_kernarg_segment_ptr 1
		.amdhsa_user_sgpr_dispatch_id 0
		.amdhsa_user_sgpr_flat_scratch_init 0
		.amdhsa_user_sgpr_kernarg_preload_length 0
		.amdhsa_user_sgpr_kernarg_preload_offset 0
		.amdhsa_user_sgpr_private_segment_size 0
		.amdhsa_uses_dynamic_stack 0
		.amdhsa_system_sgpr_private_segment_wavefront_offset 0
		.amdhsa_system_sgpr_workgroup_id_x 1
		.amdhsa_system_sgpr_workgroup_id_y 0
		.amdhsa_system_sgpr_workgroup_id_z 0
		.amdhsa_system_sgpr_workgroup_info 0
		.amdhsa_system_vgpr_workitem_id 0
		.amdhsa_next_free_vgpr 13
		.amdhsa_next_free_sgpr 24
		.amdhsa_accum_offset 16
		.amdhsa_reserve_vcc 1
		.amdhsa_reserve_flat_scratch 0
		.amdhsa_float_round_mode_32 0
		.amdhsa_float_round_mode_16_64 0
		.amdhsa_float_denorm_mode_32 3
		.amdhsa_float_denorm_mode_16_64 3
		.amdhsa_dx10_clamp 1
		.amdhsa_ieee_mode 1
		.amdhsa_fp16_overflow 0
		.amdhsa_tg_split 0
		.amdhsa_exception_fp_ieee_invalid_op 0
		.amdhsa_exception_fp_denorm_src 0
		.amdhsa_exception_fp_ieee_div_zero 0
		.amdhsa_exception_fp_ieee_overflow 0
		.amdhsa_exception_fp_ieee_underflow 0
		.amdhsa_exception_fp_ieee_inexact 0
		.amdhsa_exception_int_div_zero 0
	.end_amdhsa_kernel
	.section	.text._ZN5aiter19grouped_topk_kernelIN3c104HalfEDv1_fLi8ELb0ELb0ELb1EEEvPT_PKS4_PfPimiiiif,"axG",@progbits,_ZN5aiter19grouped_topk_kernelIN3c104HalfEDv1_fLi8ELb0ELb0ELb1EEEvPT_PKS4_PfPimiiiif,comdat
.Lfunc_end212:
	.size	_ZN5aiter19grouped_topk_kernelIN3c104HalfEDv1_fLi8ELb0ELb0ELb1EEEvPT_PKS4_PfPimiiiif, .Lfunc_end212-_ZN5aiter19grouped_topk_kernelIN3c104HalfEDv1_fLi8ELb0ELb0ELb1EEEvPT_PKS4_PfPimiiiif
                                        ; -- End function
	.section	.AMDGPU.csdata,"",@progbits
; Kernel info:
; codeLenInByte = 2220
; NumSgprs: 28
; NumVgprs: 13
; NumAgprs: 0
; TotalNumVgprs: 13
; ScratchSize: 0
; MemoryBound: 0
; FloatMode: 240
; IeeeMode: 1
; LDSByteSize: 0 bytes/workgroup (compile time only)
; SGPRBlocks: 3
; VGPRBlocks: 1
; NumSGPRsForWavesPerEU: 28
; NumVGPRsForWavesPerEU: 13
; AccumOffset: 16
; Occupancy: 8
; WaveLimiterHint : 0
; COMPUTE_PGM_RSRC2:SCRATCH_EN: 0
; COMPUTE_PGM_RSRC2:USER_SGPR: 6
; COMPUTE_PGM_RSRC2:TRAP_HANDLER: 0
; COMPUTE_PGM_RSRC2:TGID_X_EN: 1
; COMPUTE_PGM_RSRC2:TGID_Y_EN: 0
; COMPUTE_PGM_RSRC2:TGID_Z_EN: 0
; COMPUTE_PGM_RSRC2:TIDIG_COMP_CNT: 0
; COMPUTE_PGM_RSRC3_GFX90A:ACCUM_OFFSET: 3
; COMPUTE_PGM_RSRC3_GFX90A:TG_SPLIT: 0
	.section	.text._ZN5aiter19grouped_topk_kernelIN3c108BFloat16EDv1_fLi8ELb0ELb0ELb1EEEvPT_PKS4_PfPimiiiif,"axG",@progbits,_ZN5aiter19grouped_topk_kernelIN3c108BFloat16EDv1_fLi8ELb0ELb0ELb1EEEvPT_PKS4_PfPimiiiif,comdat
	.protected	_ZN5aiter19grouped_topk_kernelIN3c108BFloat16EDv1_fLi8ELb0ELb0ELb1EEEvPT_PKS4_PfPimiiiif ; -- Begin function _ZN5aiter19grouped_topk_kernelIN3c108BFloat16EDv1_fLi8ELb0ELb0ELb1EEEvPT_PKS4_PfPimiiiif
	.globl	_ZN5aiter19grouped_topk_kernelIN3c108BFloat16EDv1_fLi8ELb0ELb0ELb1EEEvPT_PKS4_PfPimiiiif
	.p2align	8
	.type	_ZN5aiter19grouped_topk_kernelIN3c108BFloat16EDv1_fLi8ELb0ELb0ELb1EEEvPT_PKS4_PfPimiiiif,@function
_ZN5aiter19grouped_topk_kernelIN3c108BFloat16EDv1_fLi8ELb0ELb0ELb1EEEvPT_PKS4_PfPimiiiif: ; @_ZN5aiter19grouped_topk_kernelIN3c108BFloat16EDv1_fLi8ELb0ELb0ELb1EEEvPT_PKS4_PfPimiiiif
; %bb.0:
	s_load_dwordx4 s[8:11], s[4:5], 0x28
	s_load_dwordx4 s[12:15], s[4:5], 0x10
	v_mov_b32_e32 v2, 0xff800000
	v_lshl_add_u32 v1, v0, 2, 0
	s_waitcnt lgkmcnt(0)
	v_cmp_gt_i32_e64 s[0:1], s8, v0
	s_and_saveexec_b64 s[2:3], s[0:1]
	s_cbranch_execz .LBB213_4
; %bb.1:
	s_load_dword s11, s[4:5], 0x4c
	s_load_dwordx2 s[16:17], s[4:5], 0x0
	s_mul_i32 s7, s6, s8
	v_lshl_add_u32 v3, v0, 2, 0
	s_mov_b64 s[18:19], 0
	s_waitcnt lgkmcnt(0)
	s_and_b32 s11, s11, 0xffff
	s_lshl_b32 s20, s11, 2
	v_mov_b32_e32 v2, 0xff800000
	v_mov_b32_e32 v4, s17
	;; [unrolled: 1-line block ×3, first 2 shown]
.LBB213_2:                              ; =>This Inner Loop Header: Depth=1
	v_add_u32_e32 v6, s7, v5
	v_ashrrev_i32_e32 v7, 31, v6
	v_lshlrev_b64 v[6:7], 1, v[6:7]
	v_add_co_u32_e32 v6, vcc, s16, v6
	v_addc_co_u32_e32 v7, vcc, v4, v7, vcc
	global_load_ushort v6, v[6:7], off
	v_add_u32_e32 v5, s11, v5
	v_cmp_le_i32_e32 vcc, s8, v5
	s_or_b64 s[18:19], vcc, s[18:19]
	s_waitcnt vmcnt(0)
	v_lshrrev_b16_e32 v7, 8, v6
	v_and_b32_e32 v6, 0xff, v6
	v_lshlrev_b32_e32 v6, 16, v6
	v_lshl_or_b32 v6, v7, 24, v6
	v_cmp_lt_f32_e32 vcc, v2, v6
	ds_write_b32 v3, v6
	v_cndmask_b32_e32 v2, v2, v6, vcc
	v_add_u32_e32 v3, s20, v3
	s_andn2_b64 exec, exec, s[18:19]
	s_cbranch_execnz .LBB213_2
; %bb.3:
	s_or_b64 exec, exec, s[18:19]
.LBB213_4:
	s_or_b64 exec, exec, s[2:3]
	v_mov_b32_dpp v3, v2 quad_perm:[1,0,3,2] row_mask:0xf bank_mask:0xf
	v_cmp_lt_f32_e32 vcc, v2, v3
	v_cndmask_b32_e32 v2, v2, v3, vcc
	v_bfrev_b32_e32 v4, 0.5
	s_waitcnt lgkmcnt(0)
	v_mov_b32_dpp v3, v2 quad_perm:[2,3,0,1] row_mask:0xf bank_mask:0xf
	v_cmp_lt_f32_e32 vcc, v2, v3
	v_cndmask_b32_e32 v2, v2, v3, vcc
	s_barrier
	s_nop 0
	v_mov_b32_dpp v3, v2 row_half_mirror row_mask:0xf bank_mask:0xf
	v_cmp_lt_f32_e32 vcc, v2, v3
	v_cndmask_b32_e32 v2, v2, v3, vcc
	s_nop 1
	v_mov_b32_dpp v3, v2 row_mirror row_mask:0xf bank_mask:0xf
	v_cmp_lt_f32_e32 vcc, v2, v3
	v_cndmask_b32_e32 v2, v2, v3, vcc
	s_nop 1
	v_mov_b32_dpp v3, v2 row_bcast:15 row_mask:0xf bank_mask:0xf
	v_cmp_lt_f32_e32 vcc, v2, v3
	v_cndmask_b32_e32 v2, v2, v3, vcc
	s_nop 1
	v_mov_b32_dpp v3, v2 row_bcast:31 row_mask:0xf bank_mask:0xf
	v_cmp_lt_f32_e32 vcc, v2, v3
	v_cndmask_b32_e32 v3, v2, v3, vcc
	v_mbcnt_lo_u32_b32 v2, -1, 0
	v_mbcnt_hi_u32_b32 v2, -1, v2
	v_lshl_or_b32 v2, v2, 2, v4
	ds_bpermute_b32 v4, v2, v3
	v_mov_b32_e32 v3, 0
	s_and_saveexec_b64 s[2:3], s[0:1]
	s_cbranch_execz .LBB213_8
; %bb.5:
	s_load_dword s11, s[4:5], 0x4c
	v_lshl_add_u32 v5, v0, 2, 0
	s_mov_b64 s[16:17], 0
	v_mov_b32_e32 v3, 0
	s_mov_b32 s7, 0x3fb8aa3b
	s_waitcnt lgkmcnt(0)
	s_and_b32 s11, s11, 0xffff
	s_lshl_b32 s18, s11, 2
	s_mov_b32 s19, 0xc2ce8ed0
	s_mov_b32 s20, 0x42b17218
	v_mov_b32_e32 v6, 0x7f800000
	v_mov_b32_e32 v7, v0
.LBB213_6:                              ; =>This Inner Loop Header: Depth=1
	ds_read_b32 v8, v5
	v_add_u32_e32 v7, s11, v7
	s_waitcnt lgkmcnt(0)
	v_sub_f32_e32 v8, v8, v4
	v_mul_f32_e32 v9, 0x3fb8aa3b, v8
	v_fma_f32 v10, v8, s7, -v9
	v_rndne_f32_e32 v11, v9
	v_fmac_f32_e32 v10, 0x32a5705f, v8
	v_sub_f32_e32 v9, v9, v11
	v_add_f32_e32 v9, v9, v10
	v_cvt_i32_f32_e32 v11, v11
	v_exp_f32_e32 v9, v9
	v_cmp_ngt_f32_e32 vcc, s19, v8
	v_ldexp_f32 v9, v9, v11
	v_cndmask_b32_e32 v9, 0, v9, vcc
	v_cmp_nlt_f32_e32 vcc, s20, v8
	v_cndmask_b32_e32 v8, v6, v9, vcc
	v_cmp_le_i32_e32 vcc, s8, v7
	ds_write_b32 v5, v8
	v_add_f32_e32 v3, v3, v8
	s_or_b64 s[16:17], vcc, s[16:17]
	v_add_u32_e32 v5, s18, v5
	s_andn2_b64 exec, exec, s[16:17]
	s_cbranch_execnz .LBB213_6
; %bb.7:
	s_or_b64 exec, exec, s[16:17]
.LBB213_8:
	s_or_b64 exec, exec, s[2:3]
	s_waitcnt lgkmcnt(0)
	v_mov_b32_dpp v4, v3 quad_perm:[1,0,3,2] row_mask:0xf bank_mask:0xf
	v_add_f32_e32 v3, v3, v4
	s_barrier
	s_nop 0
	v_mov_b32_dpp v4, v3 quad_perm:[2,3,0,1] row_mask:0xf bank_mask:0xf
	v_add_f32_e32 v3, v3, v4
	s_nop 1
	v_mov_b32_dpp v4, v3 row_half_mirror row_mask:0xf bank_mask:0xf
	v_add_f32_e32 v3, v3, v4
	s_nop 1
	v_mov_b32_dpp v4, v3 row_mirror row_mask:0xf bank_mask:0xf
	v_add_f32_e32 v3, v3, v4
	s_nop 1
	v_mov_b32_dpp v4, v3 row_bcast:15 row_mask:0xf bank_mask:0xf
	v_add_f32_e32 v3, v3, v4
	s_nop 1
	v_mov_b32_dpp v4, v3 row_bcast:31 row_mask:0xf bank_mask:0xf
	v_add_f32_e32 v3, v3, v4
	ds_bpermute_b32 v2, v2, v3
	s_and_saveexec_b64 s[2:3], s[0:1]
	s_cbranch_execz .LBB213_11
; %bb.9:
	s_load_dword s7, s[4:5], 0x4c
	v_lshl_add_u32 v3, v0, 2, 0
	s_mov_b64 s[16:17], 0
	v_mov_b32_e32 v4, v0
	s_waitcnt lgkmcnt(0)
	s_and_b32 s7, s7, 0xffff
	s_lshl_b32 s11, s7, 2
.LBB213_10:                             ; =>This Inner Loop Header: Depth=1
	ds_read_b32 v5, v3
	v_add_u32_e32 v4, s7, v4
	v_cmp_le_i32_e32 vcc, s8, v4
	s_or_b64 s[16:17], vcc, s[16:17]
	s_waitcnt lgkmcnt(0)
	v_div_scale_f32 v6, s[18:19], v2, v2, v5
	v_rcp_f32_e32 v7, v6
	v_div_scale_f32 v8, vcc, v5, v2, v5
	v_fma_f32 v9, -v6, v7, 1.0
	v_fmac_f32_e32 v7, v9, v7
	v_mul_f32_e32 v9, v8, v7
	v_fma_f32 v10, -v6, v9, v8
	v_fmac_f32_e32 v9, v10, v7
	v_fma_f32 v6, -v6, v9, v8
	v_div_fmas_f32 v6, v6, v7, v9
	v_div_fixup_f32 v5, v6, v2, v5
	ds_write_b32 v3, v5
	v_add_u32_e32 v3, s11, v3
	s_andn2_b64 exec, exec, s[16:17]
	s_cbranch_execnz .LBB213_10
.LBB213_11:
	s_or_b64 exec, exec, s[2:3]
	s_ashr_i32 s2, s8, 31
	s_lshr_b32 s2, s2, 29
	s_add_i32 s2, s8, s2
	s_ashr_i32 s11, s2, 3
	s_lshl_b32 s2, s8, 2
	s_add_i32 s7, s2, 0
	v_cmp_gt_u32_e32 vcc, 8, v0
	s_waitcnt lgkmcnt(0)
	s_barrier
	s_and_saveexec_b64 s[16:17], vcc
	s_cbranch_execz .LBB213_18
; %bb.12:
	s_load_dword s2, s[4:5], 0x4c
	v_mul_lo_u32 v2, v0, s11
	v_lshl_add_u32 v2, v2, 2, 0
	s_waitcnt lgkmcnt(0)
	s_and_b32 s22, s2, 0xffff
	s_cmp_gt_i32 s8, 7
	s_cselect_b64 s[2:3], -1, 0
	s_mul_i32 s18, s11, s22
	v_cndmask_b32_e64 v3, 0, 1, s[2:3]
	s_lshl_b32 s23, s18, 2
	s_mov_b64 s[18:19], 0
	v_cmp_ne_u32_e64 s[2:3], 1, v3
	v_mov_b32_e32 v3, v0
	s_branch .LBB213_14
.LBB213_13:                             ;   in Loop: Header=BB213_14 Depth=1
	v_lshl_add_u32 v5, v3, 2, s7
	v_add_u32_e32 v3, s22, v3
	v_cmp_lt_u32_e32 vcc, 7, v3
	s_or_b64 s[18:19], vcc, s[18:19]
	v_add_u32_e32 v2, s23, v2
	ds_write_b32 v5, v4
	s_andn2_b64 exec, exec, s[18:19]
	s_cbranch_execz .LBB213_18
.LBB213_14:                             ; =>This Loop Header: Depth=1
                                        ;     Child Loop BB213_16 Depth 2
	s_and_b64 vcc, exec, s[2:3]
	v_mov_b32_e32 v4, 0xff800000
	s_cbranch_vccnz .LBB213_13
; %bb.15:                               ;   in Loop: Header=BB213_14 Depth=1
	v_mul_lo_u32 v5, v3, s11
	v_add_u32_e32 v6, s11, v5
	s_mov_b64 s[20:21], 0
	v_mov_b32_e32 v4, 0xff800000
	v_mov_b32_e32 v7, v2
.LBB213_16:                             ;   Parent Loop BB213_14 Depth=1
                                        ; =>  This Inner Loop Header: Depth=2
	ds_read_b32 v8, v7
	v_add_u32_e32 v5, 1, v5
	v_cmp_ge_i32_e32 vcc, v5, v6
	s_or_b64 s[20:21], vcc, s[20:21]
	v_add_u32_e32 v7, 4, v7
	s_waitcnt lgkmcnt(0)
	v_cmp_gt_f32_e32 vcc, v8, v4
	v_cndmask_b32_e32 v4, v4, v8, vcc
	s_andn2_b64 exec, exec, s[20:21]
	s_cbranch_execnz .LBB213_16
; %bb.17:                               ;   in Loop: Header=BB213_14 Depth=1
	s_or_b64 exec, exec, s[20:21]
	s_branch .LBB213_13
.LBB213_18:
	s_or_b64 exec, exec, s[16:17]
	s_cmp_lt_i32 s10, 1
	s_waitcnt lgkmcnt(0)
	s_barrier
	s_cbranch_scc1 .LBB213_21
; %bb.19:
	v_mov_b32_e32 v2, s7
	s_mov_b32 s2, 0xff800000
	v_mov_b32_e32 v3, 0xff800000
.LBB213_20:                             ; =>This Inner Loop Header: Depth=1
	ds_read2_b32 v[4:5], v2 offset1:1
	ds_read2_b32 v[6:7], v2 offset0:2 offset1:3
	ds_read2_b32 v[8:9], v2 offset0:4 offset1:5
	;; [unrolled: 1-line block ×3, first 2 shown]
	s_waitcnt lgkmcnt(3)
	v_cmp_nlg_f32_e32 vcc, s2, v4
	v_cndmask_b32_e64 v12, 0, 1, vcc
	v_cmp_lg_f32_e32 vcc, s2, v4
	v_cndmask_b32_e32 v4, v3, v4, vcc
	v_readfirstlane_b32 s3, v12
	v_cmp_gt_f32_e32 vcc, v5, v4
	s_lshl_b32 s3, s3, 3
	v_cndmask_b32_e32 v4, v4, v5, vcc
	s_and_b64 s[16:17], vcc, exec
	s_waitcnt lgkmcnt(2)
	v_cmp_gt_f32_e32 vcc, v6, v4
	v_cndmask_b32_e32 v4, v4, v6, vcc
	s_cselect_b32 s3, 1, s3
	s_and_b64 s[16:17], vcc, exec
	v_cmp_gt_f32_e32 vcc, v7, v4
	v_cndmask_b32_e32 v4, v4, v7, vcc
	s_cselect_b32 s3, 2, s3
	s_and_b64 s[16:17], vcc, exec
	s_waitcnt lgkmcnt(1)
	v_cmp_gt_f32_e32 vcc, v8, v4
	v_cndmask_b32_e32 v4, v4, v8, vcc
	s_cselect_b32 s3, 3, s3
	s_and_b64 s[16:17], vcc, exec
	v_cmp_gt_f32_e32 vcc, v9, v4
	v_cndmask_b32_e32 v4, v4, v9, vcc
	s_cselect_b32 s3, 4, s3
	s_and_b64 s[16:17], vcc, exec
	s_waitcnt lgkmcnt(0)
	v_cmp_gt_f32_e32 vcc, v10, v4
	v_cndmask_b32_e32 v4, v4, v10, vcc
	s_cselect_b32 s3, 5, s3
	s_and_b64 s[16:17], vcc, exec
	v_cmp_ngt_f32_e32 vcc, v11, v4
	s_cselect_b32 s3, 6, s3
	s_and_b64 s[16:17], vcc, exec
	s_cselect_b32 s3, s3, 7
	s_lshl_b32 s3, s3, 2
	s_add_i32 s3, s7, s3
	s_add_i32 s10, s10, -1
	v_mov_b32_e32 v4, s3
	s_cmp_lg_u32 s10, 0
	ds_write_b32 v4, v3
	s_cbranch_scc1 .LBB213_20
.LBB213_21:
	s_and_saveexec_b64 s[2:3], s[0:1]
	s_cbranch_execz .LBB213_26
; %bb.22:
	s_abs_i32 s18, s11
	v_cvt_f32_u32_e32 v3, s18
	s_load_dword s16, s[4:5], 0x4c
	s_sub_i32 s17, 0, s18
	s_ashr_i32 s19, s11, 31
	v_rcp_iflag_f32_e32 v4, v3
	v_lshl_add_u32 v2, v0, 2, 0
	s_waitcnt lgkmcnt(0)
	s_and_b32 s21, s16, 0xffff
	s_mov_b64 s[10:11], 0
	v_mul_f32_e32 v4, 0x4f7ffffe, v4
	v_cvt_u32_f32_e32 v4, v4
	s_mov_b32 s20, 0xff800000
	v_mov_b32_e32 v3, 0xff800000
	s_lshl_b32 s22, s21, 2
	v_mul_lo_u32 v5, s17, v4
	v_mul_hi_u32 v5, v4, v5
	v_add_u32_e32 v4, v4, v5
	v_mov_b32_e32 v5, v0
	s_branch .LBB213_24
.LBB213_23:                             ;   in Loop: Header=BB213_24 Depth=1
	s_or_b64 exec, exec, s[16:17]
	v_add_u32_e32 v5, s21, v5
	v_cmp_le_i32_e32 vcc, s8, v5
	s_or_b64 s[10:11], vcc, s[10:11]
	v_add_u32_e32 v2, s22, v2
	s_andn2_b64 exec, exec, s[10:11]
	s_cbranch_execz .LBB213_26
.LBB213_24:                             ; =>This Inner Loop Header: Depth=1
	v_sub_u32_e32 v7, 0, v5
	v_max_i32_e32 v7, v5, v7
	v_mul_hi_u32 v8, v7, v4
	v_mul_lo_u32 v9, v8, s18
	v_sub_u32_e32 v7, v7, v9
	v_add_u32_e32 v9, 1, v8
	v_cmp_le_u32_e32 vcc, s18, v7
	v_cndmask_b32_e32 v8, v8, v9, vcc
	v_subrev_u32_e32 v9, s18, v7
	v_cndmask_b32_e32 v7, v7, v9, vcc
	v_ashrrev_i32_e32 v6, 31, v5
	v_add_u32_e32 v9, 1, v8
	v_cmp_le_u32_e32 vcc, s18, v7
	v_xor_b32_e32 v6, s19, v6
	v_cndmask_b32_e32 v7, v8, v9, vcc
	v_xor_b32_e32 v7, v7, v6
	v_sub_u32_e32 v6, v7, v6
	v_lshl_add_u32 v6, v6, 2, s7
	ds_read_b32 v6, v6
	s_waitcnt lgkmcnt(0)
	v_cmp_neq_f32_e32 vcc, s20, v6
	s_and_saveexec_b64 s[16:17], vcc
	s_cbranch_execz .LBB213_23
; %bb.25:                               ;   in Loop: Header=BB213_24 Depth=1
	ds_write_b32 v2, v3
	s_branch .LBB213_23
.LBB213_26:
	s_or_b64 exec, exec, s[2:3]
	s_cmp_lt_i32 s9, 1
	s_waitcnt lgkmcnt(0)
	s_barrier
	s_cbranch_scc1 .LBB213_33
; %bb.27:
	s_add_u32 s2, s4, 64
	s_addc_u32 s3, s5, 0
	s_mov_b32 s7, 0
	v_mov_b32_e32 v4, 0xff800000
                                        ; implicit-def: $vgpr3
                                        ; implicit-def: $vgpr2
	s_branch .LBB213_29
.LBB213_28:                             ;   in Loop: Header=BB213_29 Depth=1
	s_or_b64 exec, exec, s[10:11]
	v_mov_b32_dpp v8, v6 quad_perm:[1,0,3,2] row_mask:0xf bank_mask:0xf
	v_cmp_lt_f32_e32 vcc, v6, v8
	v_cndmask_b32_e32 v6, v6, v8, vcc
	v_mov_b32_dpp v7, v5 quad_perm:[1,0,3,2] row_mask:0xf bank_mask:0xf
	v_cndmask_b32_e32 v5, v5, v7, vcc
	v_mov_b32_dpp v8, v6 quad_perm:[2,3,0,1] row_mask:0xf bank_mask:0xf
	v_cmp_gt_f32_e32 vcc, v8, v6
	v_cndmask_b32_e32 v6, v6, v8, vcc
	v_mov_b32_dpp v7, v5 quad_perm:[2,3,0,1] row_mask:0xf bank_mask:0xf
	v_cndmask_b32_e32 v5, v5, v7, vcc
	v_mov_b32_dpp v8, v6 row_half_mirror row_mask:0xf bank_mask:0xf
	v_cmp_gt_f32_e32 vcc, v8, v6
	v_cndmask_b32_e32 v6, v6, v8, vcc
	v_mov_b32_dpp v7, v5 row_half_mirror row_mask:0xf bank_mask:0xf
	v_cndmask_b32_e32 v5, v5, v7, vcc
	v_mov_b32_dpp v8, v6 row_mirror row_mask:0xf bank_mask:0xf
	v_cmp_gt_f32_e32 vcc, v8, v6
	v_cndmask_b32_e32 v6, v6, v8, vcc
	v_mov_b32_dpp v7, v5 row_mirror row_mask:0xf bank_mask:0xf
	v_cndmask_b32_e32 v5, v5, v7, vcc
	v_mov_b32_dpp v8, v6 row_bcast:15 row_mask:0xf bank_mask:0xf
	v_cmp_gt_f32_e32 vcc, v8, v6
	v_mov_b32_dpp v7, v5 row_bcast:15 row_mask:0xf bank_mask:0xf
	v_cndmask_b32_e32 v6, v6, v8, vcc
	v_cndmask_b32_e32 v5, v5, v7, vcc
	s_nop 0
	v_mov_b32_dpp v8, v6 row_bcast:31 row_mask:0xf bank_mask:0xf
	v_mov_b32_dpp v7, v5 row_bcast:31 row_mask:0xf bank_mask:0xf
	v_cmp_gt_f32_e32 vcc, v8, v6
	v_cndmask_b32_e32 v5, v5, v7, vcc
	v_readlane_b32 s11, v5, 63
	s_lshl_b32 s16, s11, 2
	s_add_i32 s16, s16, 0
	v_cndmask_b32_e32 v6, v6, v8, vcc
	v_mov_b32_e32 v5, s16
	v_readlane_b32 s10, v6, 63
	ds_write_b32 v5, v4
	v_mov_b32_e32 v5, s11
	v_cmp_eq_u32_e32 vcc, s7, v0
	v_cndmask_b32_e32 v2, v2, v5, vcc
	v_mov_b32_e32 v5, s10
	s_add_i32 s7, s7, 1
	s_cmp_eq_u32 s7, s9
	v_cndmask_b32_e32 v3, v3, v5, vcc
	s_cbranch_scc1 .LBB213_34
.LBB213_29:                             ; =>This Loop Header: Depth=1
                                        ;     Child Loop BB213_31 Depth 2
	v_mov_b32_e32 v5, s7
	v_mov_b32_e32 v6, 0xff800000
	s_and_saveexec_b64 s[10:11], s[0:1]
	s_cbranch_execz .LBB213_28
; %bb.30:                               ;   in Loop: Header=BB213_29 Depth=1
	s_load_dword s18, s[2:3], 0xc
	s_mov_b64 s[16:17], 0
	v_mov_b32_e32 v5, s7
	v_mov_b32_e32 v6, 0xff800000
	v_mov_b32_e32 v7, v1
	s_waitcnt lgkmcnt(0)
	s_and_b32 s18, s18, 0xffff
	s_lshl_b32 s19, s18, 2
	v_mov_b32_e32 v8, v0
.LBB213_31:                             ;   Parent Loop BB213_29 Depth=1
                                        ; =>  This Inner Loop Header: Depth=2
	ds_read_b32 v9, v7
	v_add_u32_e32 v7, s19, v7
	s_waitcnt lgkmcnt(0)
	v_cmp_gt_f32_e32 vcc, v9, v6
	v_cndmask_b32_e32 v5, v5, v8, vcc
	v_add_u32_e32 v8, s18, v8
	v_cndmask_b32_e32 v6, v6, v9, vcc
	v_cmp_le_i32_e32 vcc, s8, v8
	s_or_b64 s[16:17], vcc, s[16:17]
	s_andn2_b64 exec, exec, s[16:17]
	s_cbranch_execnz .LBB213_31
; %bb.32:                               ;   in Loop: Header=BB213_29 Depth=1
	s_or_b64 exec, exec, s[16:17]
	s_branch .LBB213_28
.LBB213_33:
                                        ; implicit-def: $vgpr3
                                        ; implicit-def: $vgpr2
.LBB213_34:
	v_cmp_gt_i32_e32 vcc, s9, v0
	s_and_saveexec_b64 s[0:1], vcc
	s_cbranch_execz .LBB213_37
; %bb.35:
	s_load_dword s2, s[4:5], 0x38
	s_load_dwordx2 s[0:1], s[4:5], 0x20
	s_ashr_i32 s3, s6, 31
	s_load_dword s4, s[4:5], 0x4c
	v_mov_b32_e32 v4, s13
	s_waitcnt lgkmcnt(0)
	v_mul_f32_e32 v1, s2, v3
	s_mul_i32 s1, s6, s1
	s_mul_hi_u32 s2, s6, s0
	s_add_i32 s1, s2, s1
	s_mul_i32 s3, s3, s0
	s_add_i32 s5, s1, s3
	s_mul_i32 s2, s6, s0
	s_and_b32 s3, s4, 0xffff
	s_mov_b64 s[0:1], 0
	v_mov_b32_e32 v3, s5
	v_mov_b32_e32 v5, s15
.LBB213_36:                             ; =>This Inner Loop Header: Depth=1
	v_ashrrev_i32_e32 v7, 31, v0
	v_add_co_u32_e32 v6, vcc, s2, v0
	v_addc_co_u32_e32 v7, vcc, v3, v7, vcc
	v_add_u32_e32 v0, s3, v0
	v_cmp_le_i32_e32 vcc, s9, v0
	v_lshlrev_b64 v[6:7], 2, v[6:7]
	s_or_b64 s[0:1], vcc, s[0:1]
	v_add_co_u32_e32 v8, vcc, s12, v6
	v_addc_co_u32_e32 v9, vcc, v4, v7, vcc
	v_add_co_u32_e32 v6, vcc, s14, v6
	v_addc_co_u32_e32 v7, vcc, v5, v7, vcc
	global_store_dword v[8:9], v1, off
	global_store_dword v[6:7], v2, off
	s_andn2_b64 exec, exec, s[0:1]
	s_cbranch_execnz .LBB213_36
.LBB213_37:
	s_endpgm
	.section	.rodata,"a",@progbits
	.p2align	6, 0x0
	.amdhsa_kernel _ZN5aiter19grouped_topk_kernelIN3c108BFloat16EDv1_fLi8ELb0ELb0ELb1EEEvPT_PKS4_PfPimiiiif
		.amdhsa_group_segment_fixed_size 0
		.amdhsa_private_segment_fixed_size 0
		.amdhsa_kernarg_size 320
		.amdhsa_user_sgpr_count 6
		.amdhsa_user_sgpr_private_segment_buffer 1
		.amdhsa_user_sgpr_dispatch_ptr 0
		.amdhsa_user_sgpr_queue_ptr 0
		.amdhsa_user_sgpr_kernarg_segment_ptr 1
		.amdhsa_user_sgpr_dispatch_id 0
		.amdhsa_user_sgpr_flat_scratch_init 0
		.amdhsa_user_sgpr_kernarg_preload_length 0
		.amdhsa_user_sgpr_kernarg_preload_offset 0
		.amdhsa_user_sgpr_private_segment_size 0
		.amdhsa_uses_dynamic_stack 0
		.amdhsa_system_sgpr_private_segment_wavefront_offset 0
		.amdhsa_system_sgpr_workgroup_id_x 1
		.amdhsa_system_sgpr_workgroup_id_y 0
		.amdhsa_system_sgpr_workgroup_id_z 0
		.amdhsa_system_sgpr_workgroup_info 0
		.amdhsa_system_vgpr_workitem_id 0
		.amdhsa_next_free_vgpr 13
		.amdhsa_next_free_sgpr 24
		.amdhsa_accum_offset 16
		.amdhsa_reserve_vcc 1
		.amdhsa_reserve_flat_scratch 0
		.amdhsa_float_round_mode_32 0
		.amdhsa_float_round_mode_16_64 0
		.amdhsa_float_denorm_mode_32 3
		.amdhsa_float_denorm_mode_16_64 3
		.amdhsa_dx10_clamp 1
		.amdhsa_ieee_mode 1
		.amdhsa_fp16_overflow 0
		.amdhsa_tg_split 0
		.amdhsa_exception_fp_ieee_invalid_op 0
		.amdhsa_exception_fp_denorm_src 0
		.amdhsa_exception_fp_ieee_div_zero 0
		.amdhsa_exception_fp_ieee_overflow 0
		.amdhsa_exception_fp_ieee_underflow 0
		.amdhsa_exception_fp_ieee_inexact 0
		.amdhsa_exception_int_div_zero 0
	.end_amdhsa_kernel
	.section	.text._ZN5aiter19grouped_topk_kernelIN3c108BFloat16EDv1_fLi8ELb0ELb0ELb1EEEvPT_PKS4_PfPimiiiif,"axG",@progbits,_ZN5aiter19grouped_topk_kernelIN3c108BFloat16EDv1_fLi8ELb0ELb0ELb1EEEvPT_PKS4_PfPimiiiif,comdat
.Lfunc_end213:
	.size	_ZN5aiter19grouped_topk_kernelIN3c108BFloat16EDv1_fLi8ELb0ELb0ELb1EEEvPT_PKS4_PfPimiiiif, .Lfunc_end213-_ZN5aiter19grouped_topk_kernelIN3c108BFloat16EDv1_fLi8ELb0ELb0ELb1EEEvPT_PKS4_PfPimiiiif
                                        ; -- End function
	.section	.AMDGPU.csdata,"",@progbits
; Kernel info:
; codeLenInByte = 2240
; NumSgprs: 28
; NumVgprs: 13
; NumAgprs: 0
; TotalNumVgprs: 13
; ScratchSize: 0
; MemoryBound: 0
; FloatMode: 240
; IeeeMode: 1
; LDSByteSize: 0 bytes/workgroup (compile time only)
; SGPRBlocks: 3
; VGPRBlocks: 1
; NumSGPRsForWavesPerEU: 28
; NumVGPRsForWavesPerEU: 13
; AccumOffset: 16
; Occupancy: 8
; WaveLimiterHint : 0
; COMPUTE_PGM_RSRC2:SCRATCH_EN: 0
; COMPUTE_PGM_RSRC2:USER_SGPR: 6
; COMPUTE_PGM_RSRC2:TRAP_HANDLER: 0
; COMPUTE_PGM_RSRC2:TGID_X_EN: 1
; COMPUTE_PGM_RSRC2:TGID_Y_EN: 0
; COMPUTE_PGM_RSRC2:TGID_Z_EN: 0
; COMPUTE_PGM_RSRC2:TIDIG_COMP_CNT: 0
; COMPUTE_PGM_RSRC3_GFX90A:ACCUM_OFFSET: 3
; COMPUTE_PGM_RSRC3_GFX90A:TG_SPLIT: 0
	.section	.text._ZN5aiter19grouped_topk_kernelIfDv1_fLi8ELb0ELb0ELb0EEEvPT_PKS2_PfPimiiiif,"axG",@progbits,_ZN5aiter19grouped_topk_kernelIfDv1_fLi8ELb0ELb0ELb0EEEvPT_PKS2_PfPimiiiif,comdat
	.protected	_ZN5aiter19grouped_topk_kernelIfDv1_fLi8ELb0ELb0ELb0EEEvPT_PKS2_PfPimiiiif ; -- Begin function _ZN5aiter19grouped_topk_kernelIfDv1_fLi8ELb0ELb0ELb0EEEvPT_PKS2_PfPimiiiif
	.globl	_ZN5aiter19grouped_topk_kernelIfDv1_fLi8ELb0ELb0ELb0EEEvPT_PKS2_PfPimiiiif
	.p2align	8
	.type	_ZN5aiter19grouped_topk_kernelIfDv1_fLi8ELb0ELb0ELb0EEEvPT_PKS2_PfPimiiiif,@function
_ZN5aiter19grouped_topk_kernelIfDv1_fLi8ELb0ELb0ELb0EEEvPT_PKS2_PfPimiiiif: ; @_ZN5aiter19grouped_topk_kernelIfDv1_fLi8ELb0ELb0ELb0EEEvPT_PKS2_PfPimiiiif
; %bb.0:
	s_load_dwordx4 s[8:11], s[4:5], 0x28
	s_load_dwordx4 s[12:15], s[4:5], 0x10
	v_lshl_add_u32 v1, v0, 2, 0
	s_waitcnt lgkmcnt(0)
	v_cmp_gt_i32_e64 s[0:1], s8, v0
	s_and_saveexec_b64 s[2:3], s[0:1]
	s_cbranch_execz .LBB214_3
; %bb.1:
	s_load_dwordx2 s[16:17], s[4:5], 0x0
	s_load_dword s11, s[4:5], 0x4c
	s_mul_i32 s18, s6, s8
	s_ashr_i32 s19, s18, 31
	s_lshl_b64 s[18:19], s[18:19], 2
	s_waitcnt lgkmcnt(0)
	s_add_u32 s7, s16, s18
	s_addc_u32 s19, s17, s19
	s_and_b32 s11, s11, 0xffff
	v_lshl_add_u32 v4, v0, 2, 0
	s_lshl_b32 s18, s11, 2
	s_mov_b64 s[16:17], 0
	v_mov_b32_e32 v5, s19
	s_mov_b32 s19, 0xbfb8aa3b
	s_mov_b32 s20, 0x42ce8ed0
	;; [unrolled: 1-line block ×3, first 2 shown]
	v_mov_b32_e32 v6, 0x7f800000
	v_mov_b32_e32 v2, v0
.LBB214_2:                              ; =>This Inner Loop Header: Depth=1
	v_ashrrev_i32_e32 v3, 31, v2
	v_lshlrev_b64 v[8:9], 2, v[2:3]
	v_add_co_u32_e32 v8, vcc, s7, v8
	v_addc_co_u32_e32 v9, vcc, v5, v9, vcc
	global_load_dword v3, v[8:9], off
	v_add_u32_e32 v2, s11, v2
	v_cmp_le_i32_e32 vcc, s8, v2
	s_or_b64 s[16:17], vcc, s[16:17]
	s_waitcnt vmcnt(0)
	v_mul_f32_e32 v7, 0xbfb8aa3b, v3
	v_fma_f32 v8, v3, s19, -v7
	v_rndne_f32_e32 v9, v7
	v_fmac_f32_e32 v8, 0xb2a5705f, v3
	v_sub_f32_e32 v7, v7, v9
	v_add_f32_e32 v7, v7, v8
	v_cvt_i32_f32_e32 v9, v9
	v_exp_f32_e32 v7, v7
	v_cmp_nlt_f32_e32 vcc, s20, v3
	v_ldexp_f32 v7, v7, v9
	v_cndmask_b32_e32 v7, 0, v7, vcc
	v_cmp_ngt_f32_e32 vcc, s21, v3
	v_cndmask_b32_e32 v3, v6, v7, vcc
	v_add_f32_e32 v3, 1.0, v3
	v_div_scale_f32 v7, s[22:23], v3, v3, 1.0
	v_rcp_f32_e32 v8, v7
	v_div_scale_f32 v9, vcc, 1.0, v3, 1.0
	v_fma_f32 v10, -v7, v8, 1.0
	v_fmac_f32_e32 v8, v10, v8
	v_mul_f32_e32 v10, v9, v8
	v_fma_f32 v11, -v7, v10, v9
	v_fmac_f32_e32 v10, v11, v8
	v_fma_f32 v7, -v7, v10, v9
	v_div_fmas_f32 v7, v7, v8, v10
	v_div_fixup_f32 v3, v7, v3, 1.0
	ds_write_b32 v4, v3
	v_add_u32_e32 v4, s18, v4
	s_andn2_b64 exec, exec, s[16:17]
	s_cbranch_execnz .LBB214_2
.LBB214_3:
	s_or_b64 exec, exec, s[2:3]
	s_ashr_i32 s2, s8, 31
	s_lshr_b32 s2, s2, 29
	s_add_i32 s2, s8, s2
	s_ashr_i32 s11, s2, 3
	s_lshl_b32 s2, s8, 2
	s_add_i32 s7, s2, 0
	v_cmp_gt_u32_e32 vcc, 8, v0
	s_waitcnt lgkmcnt(0)
	s_barrier
	s_and_saveexec_b64 s[16:17], vcc
	s_cbranch_execz .LBB214_10
; %bb.4:
	s_load_dword s2, s[4:5], 0x4c
	v_mul_lo_u32 v2, v0, s11
	v_lshl_add_u32 v2, v2, 2, 0
	s_waitcnt lgkmcnt(0)
	s_and_b32 s22, s2, 0xffff
	s_cmp_gt_i32 s8, 7
	s_cselect_b64 s[2:3], -1, 0
	s_mul_i32 s18, s11, s22
	v_cndmask_b32_e64 v3, 0, 1, s[2:3]
	s_lshl_b32 s23, s18, 2
	s_mov_b64 s[18:19], 0
	v_cmp_ne_u32_e64 s[2:3], 1, v3
	v_mov_b32_e32 v3, v0
	s_branch .LBB214_6
.LBB214_5:                              ;   in Loop: Header=BB214_6 Depth=1
	v_lshl_add_u32 v5, v3, 2, s7
	v_add_u32_e32 v3, s22, v3
	v_cmp_lt_u32_e32 vcc, 7, v3
	s_or_b64 s[18:19], vcc, s[18:19]
	v_add_u32_e32 v2, s23, v2
	ds_write_b32 v5, v4
	s_andn2_b64 exec, exec, s[18:19]
	s_cbranch_execz .LBB214_10
.LBB214_6:                              ; =>This Loop Header: Depth=1
                                        ;     Child Loop BB214_8 Depth 2
	s_and_b64 vcc, exec, s[2:3]
	v_mov_b32_e32 v4, 0xff800000
	s_cbranch_vccnz .LBB214_5
; %bb.7:                                ;   in Loop: Header=BB214_6 Depth=1
	v_mul_lo_u32 v5, v3, s11
	v_add_u32_e32 v6, s11, v5
	s_mov_b64 s[20:21], 0
	v_mov_b32_e32 v4, 0xff800000
	v_mov_b32_e32 v7, v2
.LBB214_8:                              ;   Parent Loop BB214_6 Depth=1
                                        ; =>  This Inner Loop Header: Depth=2
	ds_read_b32 v8, v7
	v_add_u32_e32 v5, 1, v5
	v_cmp_ge_i32_e32 vcc, v5, v6
	s_or_b64 s[20:21], vcc, s[20:21]
	v_add_u32_e32 v7, 4, v7
	s_waitcnt lgkmcnt(0)
	v_cmp_gt_f32_e32 vcc, v8, v4
	v_cndmask_b32_e32 v4, v4, v8, vcc
	s_andn2_b64 exec, exec, s[20:21]
	s_cbranch_execnz .LBB214_8
; %bb.9:                                ;   in Loop: Header=BB214_6 Depth=1
	s_or_b64 exec, exec, s[20:21]
	s_branch .LBB214_5
.LBB214_10:
	s_or_b64 exec, exec, s[16:17]
	s_cmp_lt_i32 s10, 1
	s_waitcnt lgkmcnt(0)
	s_barrier
	s_cbranch_scc1 .LBB214_13
; %bb.11:
	v_mov_b32_e32 v2, s7
	s_mov_b32 s2, 0xff800000
	v_mov_b32_e32 v3, 0xff800000
.LBB214_12:                             ; =>This Inner Loop Header: Depth=1
	ds_read2_b32 v[4:5], v2 offset1:1
	ds_read2_b32 v[6:7], v2 offset0:2 offset1:3
	ds_read2_b32 v[8:9], v2 offset0:4 offset1:5
	;; [unrolled: 1-line block ×3, first 2 shown]
	s_waitcnt lgkmcnt(3)
	v_cmp_nlg_f32_e32 vcc, s2, v4
	v_cndmask_b32_e64 v12, 0, 1, vcc
	v_cmp_lg_f32_e32 vcc, s2, v4
	v_cndmask_b32_e32 v4, v3, v4, vcc
	v_readfirstlane_b32 s3, v12
	v_cmp_gt_f32_e32 vcc, v5, v4
	s_lshl_b32 s3, s3, 3
	v_cndmask_b32_e32 v4, v4, v5, vcc
	s_and_b64 s[16:17], vcc, exec
	s_waitcnt lgkmcnt(2)
	v_cmp_gt_f32_e32 vcc, v6, v4
	v_cndmask_b32_e32 v4, v4, v6, vcc
	s_cselect_b32 s3, 1, s3
	s_and_b64 s[16:17], vcc, exec
	v_cmp_gt_f32_e32 vcc, v7, v4
	v_cndmask_b32_e32 v4, v4, v7, vcc
	s_cselect_b32 s3, 2, s3
	s_and_b64 s[16:17], vcc, exec
	s_waitcnt lgkmcnt(1)
	v_cmp_gt_f32_e32 vcc, v8, v4
	v_cndmask_b32_e32 v4, v4, v8, vcc
	s_cselect_b32 s3, 3, s3
	s_and_b64 s[16:17], vcc, exec
	v_cmp_gt_f32_e32 vcc, v9, v4
	v_cndmask_b32_e32 v4, v4, v9, vcc
	s_cselect_b32 s3, 4, s3
	s_and_b64 s[16:17], vcc, exec
	s_waitcnt lgkmcnt(0)
	v_cmp_gt_f32_e32 vcc, v10, v4
	v_cndmask_b32_e32 v4, v4, v10, vcc
	s_cselect_b32 s3, 5, s3
	s_and_b64 s[16:17], vcc, exec
	v_cmp_ngt_f32_e32 vcc, v11, v4
	s_cselect_b32 s3, 6, s3
	s_and_b64 s[16:17], vcc, exec
	s_cselect_b32 s3, s3, 7
	s_lshl_b32 s3, s3, 2
	s_add_i32 s3, s7, s3
	s_add_i32 s10, s10, -1
	v_mov_b32_e32 v4, s3
	s_cmp_lg_u32 s10, 0
	ds_write_b32 v4, v3
	s_cbranch_scc1 .LBB214_12
.LBB214_13:
	s_and_saveexec_b64 s[2:3], s[0:1]
	s_cbranch_execz .LBB214_18
; %bb.14:
	s_abs_i32 s18, s11
	v_cvt_f32_u32_e32 v3, s18
	s_load_dword s16, s[4:5], 0x4c
	s_sub_i32 s17, 0, s18
	s_ashr_i32 s19, s11, 31
	v_rcp_iflag_f32_e32 v4, v3
	v_lshl_add_u32 v2, v0, 2, 0
	s_waitcnt lgkmcnt(0)
	s_and_b32 s21, s16, 0xffff
	s_mov_b64 s[10:11], 0
	v_mul_f32_e32 v4, 0x4f7ffffe, v4
	v_cvt_u32_f32_e32 v4, v4
	s_mov_b32 s20, 0xff800000
	v_mov_b32_e32 v3, 0xff800000
	s_lshl_b32 s22, s21, 2
	v_mul_lo_u32 v5, s17, v4
	v_mul_hi_u32 v5, v4, v5
	v_add_u32_e32 v4, v4, v5
	v_mov_b32_e32 v5, v0
	s_branch .LBB214_16
.LBB214_15:                             ;   in Loop: Header=BB214_16 Depth=1
	s_or_b64 exec, exec, s[16:17]
	v_add_u32_e32 v5, s21, v5
	v_cmp_le_i32_e32 vcc, s8, v5
	s_or_b64 s[10:11], vcc, s[10:11]
	v_add_u32_e32 v2, s22, v2
	s_andn2_b64 exec, exec, s[10:11]
	s_cbranch_execz .LBB214_18
.LBB214_16:                             ; =>This Inner Loop Header: Depth=1
	v_sub_u32_e32 v7, 0, v5
	v_max_i32_e32 v7, v5, v7
	v_mul_hi_u32 v8, v7, v4
	v_mul_lo_u32 v9, v8, s18
	v_sub_u32_e32 v7, v7, v9
	v_add_u32_e32 v9, 1, v8
	v_cmp_le_u32_e32 vcc, s18, v7
	v_cndmask_b32_e32 v8, v8, v9, vcc
	v_subrev_u32_e32 v9, s18, v7
	v_cndmask_b32_e32 v7, v7, v9, vcc
	v_ashrrev_i32_e32 v6, 31, v5
	v_add_u32_e32 v9, 1, v8
	v_cmp_le_u32_e32 vcc, s18, v7
	v_xor_b32_e32 v6, s19, v6
	v_cndmask_b32_e32 v7, v8, v9, vcc
	v_xor_b32_e32 v7, v7, v6
	v_sub_u32_e32 v6, v7, v6
	v_lshl_add_u32 v6, v6, 2, s7
	ds_read_b32 v6, v6
	s_waitcnt lgkmcnt(0)
	v_cmp_neq_f32_e32 vcc, s20, v6
	s_and_saveexec_b64 s[16:17], vcc
	s_cbranch_execz .LBB214_15
; %bb.17:                               ;   in Loop: Header=BB214_16 Depth=1
	ds_write_b32 v2, v3
	s_branch .LBB214_15
.LBB214_18:
	s_or_b64 exec, exec, s[2:3]
	s_cmp_lt_i32 s9, 1
	s_waitcnt lgkmcnt(0)
	s_barrier
	s_cbranch_scc1 .LBB214_25
; %bb.19:
	s_add_u32 s2, s4, 64
	s_addc_u32 s3, s5, 0
	s_mov_b32 s7, 0
	v_mov_b32_e32 v4, 0xff800000
                                        ; implicit-def: $vgpr3
                                        ; implicit-def: $vgpr2
	s_branch .LBB214_21
.LBB214_20:                             ;   in Loop: Header=BB214_21 Depth=1
	s_or_b64 exec, exec, s[10:11]
	v_mov_b32_dpp v8, v6 quad_perm:[1,0,3,2] row_mask:0xf bank_mask:0xf
	v_cmp_lt_f32_e32 vcc, v6, v8
	v_cndmask_b32_e32 v6, v6, v8, vcc
	v_mov_b32_dpp v7, v5 quad_perm:[1,0,3,2] row_mask:0xf bank_mask:0xf
	v_cndmask_b32_e32 v5, v5, v7, vcc
	v_mov_b32_dpp v8, v6 quad_perm:[2,3,0,1] row_mask:0xf bank_mask:0xf
	v_cmp_gt_f32_e32 vcc, v8, v6
	v_cndmask_b32_e32 v6, v6, v8, vcc
	v_mov_b32_dpp v7, v5 quad_perm:[2,3,0,1] row_mask:0xf bank_mask:0xf
	v_cndmask_b32_e32 v5, v5, v7, vcc
	v_mov_b32_dpp v8, v6 row_half_mirror row_mask:0xf bank_mask:0xf
	v_cmp_gt_f32_e32 vcc, v8, v6
	v_cndmask_b32_e32 v6, v6, v8, vcc
	v_mov_b32_dpp v7, v5 row_half_mirror row_mask:0xf bank_mask:0xf
	v_cndmask_b32_e32 v5, v5, v7, vcc
	v_mov_b32_dpp v8, v6 row_mirror row_mask:0xf bank_mask:0xf
	v_cmp_gt_f32_e32 vcc, v8, v6
	v_cndmask_b32_e32 v6, v6, v8, vcc
	v_mov_b32_dpp v7, v5 row_mirror row_mask:0xf bank_mask:0xf
	v_cndmask_b32_e32 v5, v5, v7, vcc
	v_mov_b32_dpp v8, v6 row_bcast:15 row_mask:0xf bank_mask:0xf
	v_cmp_gt_f32_e32 vcc, v8, v6
	v_mov_b32_dpp v7, v5 row_bcast:15 row_mask:0xf bank_mask:0xf
	v_cndmask_b32_e32 v6, v6, v8, vcc
	v_cndmask_b32_e32 v5, v5, v7, vcc
	s_nop 0
	v_mov_b32_dpp v8, v6 row_bcast:31 row_mask:0xf bank_mask:0xf
	v_mov_b32_dpp v7, v5 row_bcast:31 row_mask:0xf bank_mask:0xf
	v_cmp_gt_f32_e32 vcc, v8, v6
	v_cndmask_b32_e32 v5, v5, v7, vcc
	v_readlane_b32 s11, v5, 63
	s_lshl_b32 s16, s11, 2
	s_add_i32 s16, s16, 0
	v_cndmask_b32_e32 v6, v6, v8, vcc
	v_mov_b32_e32 v5, s16
	v_readlane_b32 s10, v6, 63
	ds_write_b32 v5, v4
	v_mov_b32_e32 v5, s11
	v_cmp_eq_u32_e32 vcc, s7, v0
	v_cndmask_b32_e32 v2, v2, v5, vcc
	v_mov_b32_e32 v5, s10
	s_add_i32 s7, s7, 1
	s_cmp_eq_u32 s7, s9
	v_cndmask_b32_e32 v3, v3, v5, vcc
	s_cbranch_scc1 .LBB214_26
.LBB214_21:                             ; =>This Loop Header: Depth=1
                                        ;     Child Loop BB214_23 Depth 2
	v_mov_b32_e32 v5, s7
	v_mov_b32_e32 v6, 0xff800000
	s_and_saveexec_b64 s[10:11], s[0:1]
	s_cbranch_execz .LBB214_20
; %bb.22:                               ;   in Loop: Header=BB214_21 Depth=1
	s_load_dword s18, s[2:3], 0xc
	s_mov_b64 s[16:17], 0
	v_mov_b32_e32 v5, s7
	v_mov_b32_e32 v6, 0xff800000
	;; [unrolled: 1-line block ×3, first 2 shown]
	s_waitcnt lgkmcnt(0)
	s_and_b32 s18, s18, 0xffff
	s_lshl_b32 s19, s18, 2
	v_mov_b32_e32 v8, v0
.LBB214_23:                             ;   Parent Loop BB214_21 Depth=1
                                        ; =>  This Inner Loop Header: Depth=2
	ds_read_b32 v9, v7
	v_add_u32_e32 v7, s19, v7
	s_waitcnt lgkmcnt(0)
	v_cmp_gt_f32_e32 vcc, v9, v6
	v_cndmask_b32_e32 v5, v5, v8, vcc
	v_add_u32_e32 v8, s18, v8
	v_cndmask_b32_e32 v6, v6, v9, vcc
	v_cmp_le_i32_e32 vcc, s8, v8
	s_or_b64 s[16:17], vcc, s[16:17]
	s_andn2_b64 exec, exec, s[16:17]
	s_cbranch_execnz .LBB214_23
; %bb.24:                               ;   in Loop: Header=BB214_21 Depth=1
	s_or_b64 exec, exec, s[16:17]
	s_branch .LBB214_20
.LBB214_25:
                                        ; implicit-def: $vgpr3
                                        ; implicit-def: $vgpr2
.LBB214_26:
	v_cmp_gt_i32_e32 vcc, s9, v0
	s_and_saveexec_b64 s[0:1], vcc
	s_cbranch_execz .LBB214_29
; %bb.27:
	s_load_dword s2, s[4:5], 0x38
	s_load_dwordx2 s[0:1], s[4:5], 0x20
	s_ashr_i32 s3, s6, 31
	s_load_dword s4, s[4:5], 0x4c
	v_mov_b32_e32 v4, s13
	s_waitcnt lgkmcnt(0)
	v_mul_f32_e32 v1, s2, v3
	s_mul_i32 s1, s6, s1
	s_mul_hi_u32 s2, s6, s0
	s_add_i32 s1, s2, s1
	s_mul_i32 s3, s3, s0
	s_add_i32 s5, s1, s3
	s_mul_i32 s2, s6, s0
	s_and_b32 s3, s4, 0xffff
	s_mov_b64 s[0:1], 0
	v_mov_b32_e32 v3, s5
	v_mov_b32_e32 v5, s15
.LBB214_28:                             ; =>This Inner Loop Header: Depth=1
	v_ashrrev_i32_e32 v7, 31, v0
	v_add_co_u32_e32 v6, vcc, s2, v0
	v_addc_co_u32_e32 v7, vcc, v3, v7, vcc
	v_add_u32_e32 v0, s3, v0
	v_cmp_le_i32_e32 vcc, s9, v0
	v_lshlrev_b64 v[6:7], 2, v[6:7]
	s_or_b64 s[0:1], vcc, s[0:1]
	v_add_co_u32_e32 v8, vcc, s12, v6
	v_addc_co_u32_e32 v9, vcc, v4, v7, vcc
	v_add_co_u32_e32 v6, vcc, s14, v6
	v_addc_co_u32_e32 v7, vcc, v5, v7, vcc
	global_store_dword v[8:9], v1, off
	global_store_dword v[6:7], v2, off
	s_andn2_b64 exec, exec, s[0:1]
	s_cbranch_execnz .LBB214_28
.LBB214_29:
	s_endpgm
	.section	.rodata,"a",@progbits
	.p2align	6, 0x0
	.amdhsa_kernel _ZN5aiter19grouped_topk_kernelIfDv1_fLi8ELb0ELb0ELb0EEEvPT_PKS2_PfPimiiiif
		.amdhsa_group_segment_fixed_size 0
		.amdhsa_private_segment_fixed_size 0
		.amdhsa_kernarg_size 320
		.amdhsa_user_sgpr_count 6
		.amdhsa_user_sgpr_private_segment_buffer 1
		.amdhsa_user_sgpr_dispatch_ptr 0
		.amdhsa_user_sgpr_queue_ptr 0
		.amdhsa_user_sgpr_kernarg_segment_ptr 1
		.amdhsa_user_sgpr_dispatch_id 0
		.amdhsa_user_sgpr_flat_scratch_init 0
		.amdhsa_user_sgpr_kernarg_preload_length 0
		.amdhsa_user_sgpr_kernarg_preload_offset 0
		.amdhsa_user_sgpr_private_segment_size 0
		.amdhsa_uses_dynamic_stack 0
		.amdhsa_system_sgpr_private_segment_wavefront_offset 0
		.amdhsa_system_sgpr_workgroup_id_x 1
		.amdhsa_system_sgpr_workgroup_id_y 0
		.amdhsa_system_sgpr_workgroup_id_z 0
		.amdhsa_system_sgpr_workgroup_info 0
		.amdhsa_system_vgpr_workitem_id 0
		.amdhsa_next_free_vgpr 13
		.amdhsa_next_free_sgpr 24
		.amdhsa_accum_offset 16
		.amdhsa_reserve_vcc 1
		.amdhsa_reserve_flat_scratch 0
		.amdhsa_float_round_mode_32 0
		.amdhsa_float_round_mode_16_64 0
		.amdhsa_float_denorm_mode_32 3
		.amdhsa_float_denorm_mode_16_64 3
		.amdhsa_dx10_clamp 1
		.amdhsa_ieee_mode 1
		.amdhsa_fp16_overflow 0
		.amdhsa_tg_split 0
		.amdhsa_exception_fp_ieee_invalid_op 0
		.amdhsa_exception_fp_denorm_src 0
		.amdhsa_exception_fp_ieee_div_zero 0
		.amdhsa_exception_fp_ieee_overflow 0
		.amdhsa_exception_fp_ieee_underflow 0
		.amdhsa_exception_fp_ieee_inexact 0
		.amdhsa_exception_int_div_zero 0
	.end_amdhsa_kernel
	.section	.text._ZN5aiter19grouped_topk_kernelIfDv1_fLi8ELb0ELb0ELb0EEEvPT_PKS2_PfPimiiiif,"axG",@progbits,_ZN5aiter19grouped_topk_kernelIfDv1_fLi8ELb0ELb0ELb0EEEvPT_PKS2_PfPimiiiif,comdat
.Lfunc_end214:
	.size	_ZN5aiter19grouped_topk_kernelIfDv1_fLi8ELb0ELb0ELb0EEEvPT_PKS2_PfPimiiiif, .Lfunc_end214-_ZN5aiter19grouped_topk_kernelIfDv1_fLi8ELb0ELb0ELb0EEEvPT_PKS2_PfPimiiiif
                                        ; -- End function
	.section	.AMDGPU.csdata,"",@progbits
; Kernel info:
; codeLenInByte = 1728
; NumSgprs: 28
; NumVgprs: 13
; NumAgprs: 0
; TotalNumVgprs: 13
; ScratchSize: 0
; MemoryBound: 0
; FloatMode: 240
; IeeeMode: 1
; LDSByteSize: 0 bytes/workgroup (compile time only)
; SGPRBlocks: 3
; VGPRBlocks: 1
; NumSGPRsForWavesPerEU: 28
; NumVGPRsForWavesPerEU: 13
; AccumOffset: 16
; Occupancy: 8
; WaveLimiterHint : 0
; COMPUTE_PGM_RSRC2:SCRATCH_EN: 0
; COMPUTE_PGM_RSRC2:USER_SGPR: 6
; COMPUTE_PGM_RSRC2:TRAP_HANDLER: 0
; COMPUTE_PGM_RSRC2:TGID_X_EN: 1
; COMPUTE_PGM_RSRC2:TGID_Y_EN: 0
; COMPUTE_PGM_RSRC2:TGID_Z_EN: 0
; COMPUTE_PGM_RSRC2:TIDIG_COMP_CNT: 0
; COMPUTE_PGM_RSRC3_GFX90A:ACCUM_OFFSET: 3
; COMPUTE_PGM_RSRC3_GFX90A:TG_SPLIT: 0
	.section	.text._ZN5aiter19grouped_topk_kernelIN3c104HalfEDv1_fLi8ELb0ELb0ELb0EEEvPT_PKS4_PfPimiiiif,"axG",@progbits,_ZN5aiter19grouped_topk_kernelIN3c104HalfEDv1_fLi8ELb0ELb0ELb0EEEvPT_PKS4_PfPimiiiif,comdat
	.protected	_ZN5aiter19grouped_topk_kernelIN3c104HalfEDv1_fLi8ELb0ELb0ELb0EEEvPT_PKS4_PfPimiiiif ; -- Begin function _ZN5aiter19grouped_topk_kernelIN3c104HalfEDv1_fLi8ELb0ELb0ELb0EEEvPT_PKS4_PfPimiiiif
	.globl	_ZN5aiter19grouped_topk_kernelIN3c104HalfEDv1_fLi8ELb0ELb0ELb0EEEvPT_PKS4_PfPimiiiif
	.p2align	8
	.type	_ZN5aiter19grouped_topk_kernelIN3c104HalfEDv1_fLi8ELb0ELb0ELb0EEEvPT_PKS4_PfPimiiiif,@function
_ZN5aiter19grouped_topk_kernelIN3c104HalfEDv1_fLi8ELb0ELb0ELb0EEEvPT_PKS4_PfPimiiiif: ; @_ZN5aiter19grouped_topk_kernelIN3c104HalfEDv1_fLi8ELb0ELb0ELb0EEEvPT_PKS4_PfPimiiiif
; %bb.0:
	s_load_dwordx4 s[8:11], s[4:5], 0x28
	s_load_dwordx4 s[12:15], s[4:5], 0x10
	v_lshl_add_u32 v1, v0, 2, 0
	s_waitcnt lgkmcnt(0)
	v_cmp_gt_i32_e64 s[0:1], s8, v0
	s_and_saveexec_b64 s[2:3], s[0:1]
	s_cbranch_execz .LBB215_3
; %bb.1:
	s_load_dwordx2 s[16:17], s[4:5], 0x0
	s_load_dword s11, s[4:5], 0x4c
	s_mul_i32 s18, s6, s8
	s_ashr_i32 s19, s18, 31
	s_lshl_b64 s[18:19], s[18:19], 1
	s_waitcnt lgkmcnt(0)
	s_add_u32 s7, s16, s18
	s_addc_u32 s19, s17, s19
	s_and_b32 s11, s11, 0xffff
	v_lshl_add_u32 v4, v0, 2, 0
	s_lshl_b32 s18, s11, 2
	s_mov_b64 s[16:17], 0
	v_mov_b32_e32 v5, s19
	s_mov_b32 s19, 0x3fb8aa3b
	s_mov_b32 s20, 0x32a5705f
	;; [unrolled: 1-line block ×4, first 2 shown]
	v_mov_b32_e32 v6, 0x7f800000
	v_mov_b32_e32 v2, v0
.LBB215_2:                              ; =>This Inner Loop Header: Depth=1
	v_ashrrev_i32_e32 v3, 31, v2
	v_lshlrev_b64 v[8:9], 1, v[2:3]
	v_add_co_u32_e32 v8, vcc, s7, v8
	v_addc_co_u32_e32 v9, vcc, v5, v9, vcc
	global_load_ushort v3, v[8:9], off
	v_add_u32_e32 v2, s11, v2
	v_cmp_le_i32_e32 vcc, s8, v2
	s_or_b64 s[16:17], vcc, s[16:17]
	s_waitcnt vmcnt(0)
	v_cvt_f32_f16_e64 v7, -v3
	v_mul_f32_e32 v8, 0x3fb8aa3b, v7
	v_fma_mix_f32 v9, -v3, s19, -v8 op_sel_hi:[1,0,0]
	v_rndne_f32_e32 v10, v8
	v_fma_mix_f32 v3, -v3, s20, v9 op_sel_hi:[1,0,0]
	v_sub_f32_e32 v8, v8, v10
	v_add_f32_e32 v3, v8, v3
	v_cvt_i32_f32_e32 v9, v10
	v_exp_f32_e32 v3, v3
	v_cmp_ngt_f32_e32 vcc, s21, v7
	v_ldexp_f32 v3, v3, v9
	v_cndmask_b32_e32 v3, 0, v3, vcc
	v_cmp_nlt_f32_e32 vcc, s22, v7
	v_cndmask_b32_e32 v3, v6, v3, vcc
	v_add_f32_e32 v3, 1.0, v3
	v_div_scale_f32 v7, s[24:25], v3, v3, 1.0
	v_rcp_f32_e32 v8, v7
	v_div_scale_f32 v9, vcc, 1.0, v3, 1.0
	v_fma_f32 v10, -v7, v8, 1.0
	v_fmac_f32_e32 v8, v10, v8
	v_mul_f32_e32 v10, v9, v8
	v_fma_f32 v11, -v7, v10, v9
	v_fmac_f32_e32 v10, v11, v8
	v_fma_f32 v7, -v7, v10, v9
	v_div_fmas_f32 v7, v7, v8, v10
	v_div_fixup_f32 v3, v7, v3, 1.0
	ds_write_b32 v4, v3
	v_add_u32_e32 v4, s18, v4
	s_andn2_b64 exec, exec, s[16:17]
	s_cbranch_execnz .LBB215_2
.LBB215_3:
	s_or_b64 exec, exec, s[2:3]
	s_ashr_i32 s2, s8, 31
	s_lshr_b32 s2, s2, 29
	s_add_i32 s2, s8, s2
	s_ashr_i32 s11, s2, 3
	s_lshl_b32 s2, s8, 2
	s_add_i32 s7, s2, 0
	v_cmp_gt_u32_e32 vcc, 8, v0
	s_waitcnt lgkmcnt(0)
	s_barrier
	s_and_saveexec_b64 s[16:17], vcc
	s_cbranch_execz .LBB215_10
; %bb.4:
	s_load_dword s2, s[4:5], 0x4c
	v_mul_lo_u32 v2, v0, s11
	v_lshl_add_u32 v2, v2, 2, 0
	s_waitcnt lgkmcnt(0)
	s_and_b32 s22, s2, 0xffff
	s_cmp_gt_i32 s8, 7
	s_cselect_b64 s[2:3], -1, 0
	s_mul_i32 s18, s11, s22
	v_cndmask_b32_e64 v3, 0, 1, s[2:3]
	s_lshl_b32 s23, s18, 2
	s_mov_b64 s[18:19], 0
	v_cmp_ne_u32_e64 s[2:3], 1, v3
	v_mov_b32_e32 v3, v0
	s_branch .LBB215_6
.LBB215_5:                              ;   in Loop: Header=BB215_6 Depth=1
	v_lshl_add_u32 v5, v3, 2, s7
	v_add_u32_e32 v3, s22, v3
	v_cmp_lt_u32_e32 vcc, 7, v3
	s_or_b64 s[18:19], vcc, s[18:19]
	v_add_u32_e32 v2, s23, v2
	ds_write_b32 v5, v4
	s_andn2_b64 exec, exec, s[18:19]
	s_cbranch_execz .LBB215_10
.LBB215_6:                              ; =>This Loop Header: Depth=1
                                        ;     Child Loop BB215_8 Depth 2
	s_and_b64 vcc, exec, s[2:3]
	v_mov_b32_e32 v4, 0xff800000
	s_cbranch_vccnz .LBB215_5
; %bb.7:                                ;   in Loop: Header=BB215_6 Depth=1
	v_mul_lo_u32 v5, v3, s11
	v_add_u32_e32 v6, s11, v5
	s_mov_b64 s[20:21], 0
	v_mov_b32_e32 v4, 0xff800000
	v_mov_b32_e32 v7, v2
.LBB215_8:                              ;   Parent Loop BB215_6 Depth=1
                                        ; =>  This Inner Loop Header: Depth=2
	ds_read_b32 v8, v7
	v_add_u32_e32 v5, 1, v5
	v_cmp_ge_i32_e32 vcc, v5, v6
	s_or_b64 s[20:21], vcc, s[20:21]
	v_add_u32_e32 v7, 4, v7
	s_waitcnt lgkmcnt(0)
	v_cmp_gt_f32_e32 vcc, v8, v4
	v_cndmask_b32_e32 v4, v4, v8, vcc
	s_andn2_b64 exec, exec, s[20:21]
	s_cbranch_execnz .LBB215_8
; %bb.9:                                ;   in Loop: Header=BB215_6 Depth=1
	s_or_b64 exec, exec, s[20:21]
	s_branch .LBB215_5
.LBB215_10:
	s_or_b64 exec, exec, s[16:17]
	s_cmp_lt_i32 s10, 1
	s_waitcnt lgkmcnt(0)
	s_barrier
	s_cbranch_scc1 .LBB215_13
; %bb.11:
	v_mov_b32_e32 v2, s7
	s_mov_b32 s2, 0xff800000
	v_mov_b32_e32 v3, 0xff800000
.LBB215_12:                             ; =>This Inner Loop Header: Depth=1
	ds_read2_b32 v[4:5], v2 offset1:1
	ds_read2_b32 v[6:7], v2 offset0:2 offset1:3
	ds_read2_b32 v[8:9], v2 offset0:4 offset1:5
	;; [unrolled: 1-line block ×3, first 2 shown]
	s_waitcnt lgkmcnt(3)
	v_cmp_nlg_f32_e32 vcc, s2, v4
	v_cndmask_b32_e64 v12, 0, 1, vcc
	v_cmp_lg_f32_e32 vcc, s2, v4
	v_cndmask_b32_e32 v4, v3, v4, vcc
	v_readfirstlane_b32 s3, v12
	v_cmp_gt_f32_e32 vcc, v5, v4
	s_lshl_b32 s3, s3, 3
	v_cndmask_b32_e32 v4, v4, v5, vcc
	s_and_b64 s[16:17], vcc, exec
	s_waitcnt lgkmcnt(2)
	v_cmp_gt_f32_e32 vcc, v6, v4
	v_cndmask_b32_e32 v4, v4, v6, vcc
	s_cselect_b32 s3, 1, s3
	s_and_b64 s[16:17], vcc, exec
	v_cmp_gt_f32_e32 vcc, v7, v4
	v_cndmask_b32_e32 v4, v4, v7, vcc
	s_cselect_b32 s3, 2, s3
	s_and_b64 s[16:17], vcc, exec
	s_waitcnt lgkmcnt(1)
	v_cmp_gt_f32_e32 vcc, v8, v4
	v_cndmask_b32_e32 v4, v4, v8, vcc
	s_cselect_b32 s3, 3, s3
	s_and_b64 s[16:17], vcc, exec
	v_cmp_gt_f32_e32 vcc, v9, v4
	v_cndmask_b32_e32 v4, v4, v9, vcc
	s_cselect_b32 s3, 4, s3
	s_and_b64 s[16:17], vcc, exec
	s_waitcnt lgkmcnt(0)
	v_cmp_gt_f32_e32 vcc, v10, v4
	v_cndmask_b32_e32 v4, v4, v10, vcc
	s_cselect_b32 s3, 5, s3
	s_and_b64 s[16:17], vcc, exec
	v_cmp_ngt_f32_e32 vcc, v11, v4
	s_cselect_b32 s3, 6, s3
	s_and_b64 s[16:17], vcc, exec
	s_cselect_b32 s3, s3, 7
	s_lshl_b32 s3, s3, 2
	s_add_i32 s3, s7, s3
	s_add_i32 s10, s10, -1
	v_mov_b32_e32 v4, s3
	s_cmp_lg_u32 s10, 0
	ds_write_b32 v4, v3
	s_cbranch_scc1 .LBB215_12
.LBB215_13:
	s_and_saveexec_b64 s[2:3], s[0:1]
	s_cbranch_execz .LBB215_18
; %bb.14:
	s_abs_i32 s18, s11
	v_cvt_f32_u32_e32 v3, s18
	s_load_dword s16, s[4:5], 0x4c
	s_sub_i32 s17, 0, s18
	s_ashr_i32 s19, s11, 31
	v_rcp_iflag_f32_e32 v4, v3
	v_lshl_add_u32 v2, v0, 2, 0
	s_waitcnt lgkmcnt(0)
	s_and_b32 s21, s16, 0xffff
	s_mov_b64 s[10:11], 0
	v_mul_f32_e32 v4, 0x4f7ffffe, v4
	v_cvt_u32_f32_e32 v4, v4
	s_mov_b32 s20, 0xff800000
	v_mov_b32_e32 v3, 0xff800000
	s_lshl_b32 s22, s21, 2
	v_mul_lo_u32 v5, s17, v4
	v_mul_hi_u32 v5, v4, v5
	v_add_u32_e32 v4, v4, v5
	v_mov_b32_e32 v5, v0
	s_branch .LBB215_16
.LBB215_15:                             ;   in Loop: Header=BB215_16 Depth=1
	s_or_b64 exec, exec, s[16:17]
	v_add_u32_e32 v5, s21, v5
	v_cmp_le_i32_e32 vcc, s8, v5
	s_or_b64 s[10:11], vcc, s[10:11]
	v_add_u32_e32 v2, s22, v2
	s_andn2_b64 exec, exec, s[10:11]
	s_cbranch_execz .LBB215_18
.LBB215_16:                             ; =>This Inner Loop Header: Depth=1
	v_sub_u32_e32 v7, 0, v5
	v_max_i32_e32 v7, v5, v7
	v_mul_hi_u32 v8, v7, v4
	v_mul_lo_u32 v9, v8, s18
	v_sub_u32_e32 v7, v7, v9
	v_add_u32_e32 v9, 1, v8
	v_cmp_le_u32_e32 vcc, s18, v7
	v_cndmask_b32_e32 v8, v8, v9, vcc
	v_subrev_u32_e32 v9, s18, v7
	v_cndmask_b32_e32 v7, v7, v9, vcc
	v_ashrrev_i32_e32 v6, 31, v5
	v_add_u32_e32 v9, 1, v8
	v_cmp_le_u32_e32 vcc, s18, v7
	v_xor_b32_e32 v6, s19, v6
	v_cndmask_b32_e32 v7, v8, v9, vcc
	v_xor_b32_e32 v7, v7, v6
	v_sub_u32_e32 v6, v7, v6
	v_lshl_add_u32 v6, v6, 2, s7
	ds_read_b32 v6, v6
	s_waitcnt lgkmcnt(0)
	v_cmp_neq_f32_e32 vcc, s20, v6
	s_and_saveexec_b64 s[16:17], vcc
	s_cbranch_execz .LBB215_15
; %bb.17:                               ;   in Loop: Header=BB215_16 Depth=1
	ds_write_b32 v2, v3
	s_branch .LBB215_15
.LBB215_18:
	s_or_b64 exec, exec, s[2:3]
	s_cmp_lt_i32 s9, 1
	s_waitcnt lgkmcnt(0)
	s_barrier
	s_cbranch_scc1 .LBB215_25
; %bb.19:
	s_add_u32 s2, s4, 64
	s_addc_u32 s3, s5, 0
	s_mov_b32 s7, 0
	v_mov_b32_e32 v4, 0xff800000
                                        ; implicit-def: $vgpr3
                                        ; implicit-def: $vgpr2
	s_branch .LBB215_21
.LBB215_20:                             ;   in Loop: Header=BB215_21 Depth=1
	s_or_b64 exec, exec, s[10:11]
	v_mov_b32_dpp v8, v6 quad_perm:[1,0,3,2] row_mask:0xf bank_mask:0xf
	v_cmp_lt_f32_e32 vcc, v6, v8
	v_cndmask_b32_e32 v6, v6, v8, vcc
	v_mov_b32_dpp v7, v5 quad_perm:[1,0,3,2] row_mask:0xf bank_mask:0xf
	v_cndmask_b32_e32 v5, v5, v7, vcc
	v_mov_b32_dpp v8, v6 quad_perm:[2,3,0,1] row_mask:0xf bank_mask:0xf
	v_cmp_gt_f32_e32 vcc, v8, v6
	v_cndmask_b32_e32 v6, v6, v8, vcc
	v_mov_b32_dpp v7, v5 quad_perm:[2,3,0,1] row_mask:0xf bank_mask:0xf
	v_cndmask_b32_e32 v5, v5, v7, vcc
	v_mov_b32_dpp v8, v6 row_half_mirror row_mask:0xf bank_mask:0xf
	v_cmp_gt_f32_e32 vcc, v8, v6
	v_cndmask_b32_e32 v6, v6, v8, vcc
	v_mov_b32_dpp v7, v5 row_half_mirror row_mask:0xf bank_mask:0xf
	v_cndmask_b32_e32 v5, v5, v7, vcc
	v_mov_b32_dpp v8, v6 row_mirror row_mask:0xf bank_mask:0xf
	v_cmp_gt_f32_e32 vcc, v8, v6
	v_cndmask_b32_e32 v6, v6, v8, vcc
	v_mov_b32_dpp v7, v5 row_mirror row_mask:0xf bank_mask:0xf
	v_cndmask_b32_e32 v5, v5, v7, vcc
	v_mov_b32_dpp v8, v6 row_bcast:15 row_mask:0xf bank_mask:0xf
	v_cmp_gt_f32_e32 vcc, v8, v6
	v_mov_b32_dpp v7, v5 row_bcast:15 row_mask:0xf bank_mask:0xf
	v_cndmask_b32_e32 v6, v6, v8, vcc
	v_cndmask_b32_e32 v5, v5, v7, vcc
	s_nop 0
	v_mov_b32_dpp v8, v6 row_bcast:31 row_mask:0xf bank_mask:0xf
	v_mov_b32_dpp v7, v5 row_bcast:31 row_mask:0xf bank_mask:0xf
	v_cmp_gt_f32_e32 vcc, v8, v6
	v_cndmask_b32_e32 v5, v5, v7, vcc
	v_readlane_b32 s11, v5, 63
	s_lshl_b32 s16, s11, 2
	s_add_i32 s16, s16, 0
	v_cndmask_b32_e32 v6, v6, v8, vcc
	v_mov_b32_e32 v5, s16
	v_readlane_b32 s10, v6, 63
	ds_write_b32 v5, v4
	v_mov_b32_e32 v5, s11
	v_cmp_eq_u32_e32 vcc, s7, v0
	v_cndmask_b32_e32 v2, v2, v5, vcc
	v_mov_b32_e32 v5, s10
	s_add_i32 s7, s7, 1
	s_cmp_eq_u32 s7, s9
	v_cndmask_b32_e32 v3, v3, v5, vcc
	s_cbranch_scc1 .LBB215_26
.LBB215_21:                             ; =>This Loop Header: Depth=1
                                        ;     Child Loop BB215_23 Depth 2
	v_mov_b32_e32 v5, s7
	v_mov_b32_e32 v6, 0xff800000
	s_and_saveexec_b64 s[10:11], s[0:1]
	s_cbranch_execz .LBB215_20
; %bb.22:                               ;   in Loop: Header=BB215_21 Depth=1
	s_load_dword s18, s[2:3], 0xc
	s_mov_b64 s[16:17], 0
	v_mov_b32_e32 v5, s7
	v_mov_b32_e32 v6, 0xff800000
	;; [unrolled: 1-line block ×3, first 2 shown]
	s_waitcnt lgkmcnt(0)
	s_and_b32 s18, s18, 0xffff
	s_lshl_b32 s19, s18, 2
	v_mov_b32_e32 v8, v0
.LBB215_23:                             ;   Parent Loop BB215_21 Depth=1
                                        ; =>  This Inner Loop Header: Depth=2
	ds_read_b32 v9, v7
	v_add_u32_e32 v7, s19, v7
	s_waitcnt lgkmcnt(0)
	v_cmp_gt_f32_e32 vcc, v9, v6
	v_cndmask_b32_e32 v5, v5, v8, vcc
	v_add_u32_e32 v8, s18, v8
	v_cndmask_b32_e32 v6, v6, v9, vcc
	v_cmp_le_i32_e32 vcc, s8, v8
	s_or_b64 s[16:17], vcc, s[16:17]
	s_andn2_b64 exec, exec, s[16:17]
	s_cbranch_execnz .LBB215_23
; %bb.24:                               ;   in Loop: Header=BB215_21 Depth=1
	s_or_b64 exec, exec, s[16:17]
	s_branch .LBB215_20
.LBB215_25:
                                        ; implicit-def: $vgpr3
                                        ; implicit-def: $vgpr2
.LBB215_26:
	v_cmp_gt_i32_e32 vcc, s9, v0
	s_and_saveexec_b64 s[0:1], vcc
	s_cbranch_execz .LBB215_29
; %bb.27:
	s_load_dword s2, s[4:5], 0x38
	s_load_dwordx2 s[0:1], s[4:5], 0x20
	s_ashr_i32 s3, s6, 31
	s_load_dword s4, s[4:5], 0x4c
	v_mov_b32_e32 v4, s13
	s_waitcnt lgkmcnt(0)
	v_mul_f32_e32 v1, s2, v3
	s_mul_i32 s1, s6, s1
	s_mul_hi_u32 s2, s6, s0
	s_add_i32 s1, s2, s1
	s_mul_i32 s3, s3, s0
	s_add_i32 s5, s1, s3
	s_mul_i32 s2, s6, s0
	s_and_b32 s3, s4, 0xffff
	s_mov_b64 s[0:1], 0
	v_mov_b32_e32 v3, s5
	v_mov_b32_e32 v5, s15
.LBB215_28:                             ; =>This Inner Loop Header: Depth=1
	v_ashrrev_i32_e32 v7, 31, v0
	v_add_co_u32_e32 v6, vcc, s2, v0
	v_addc_co_u32_e32 v7, vcc, v3, v7, vcc
	v_add_u32_e32 v0, s3, v0
	v_cmp_le_i32_e32 vcc, s9, v0
	v_lshlrev_b64 v[6:7], 2, v[6:7]
	s_or_b64 s[0:1], vcc, s[0:1]
	v_add_co_u32_e32 v8, vcc, s12, v6
	v_addc_co_u32_e32 v9, vcc, v4, v7, vcc
	v_add_co_u32_e32 v6, vcc, s14, v6
	v_addc_co_u32_e32 v7, vcc, v5, v7, vcc
	global_store_dword v[8:9], v1, off
	global_store_dword v[6:7], v2, off
	s_andn2_b64 exec, exec, s[0:1]
	s_cbranch_execnz .LBB215_28
.LBB215_29:
	s_endpgm
	.section	.rodata,"a",@progbits
	.p2align	6, 0x0
	.amdhsa_kernel _ZN5aiter19grouped_topk_kernelIN3c104HalfEDv1_fLi8ELb0ELb0ELb0EEEvPT_PKS4_PfPimiiiif
		.amdhsa_group_segment_fixed_size 0
		.amdhsa_private_segment_fixed_size 0
		.amdhsa_kernarg_size 320
		.amdhsa_user_sgpr_count 6
		.amdhsa_user_sgpr_private_segment_buffer 1
		.amdhsa_user_sgpr_dispatch_ptr 0
		.amdhsa_user_sgpr_queue_ptr 0
		.amdhsa_user_sgpr_kernarg_segment_ptr 1
		.amdhsa_user_sgpr_dispatch_id 0
		.amdhsa_user_sgpr_flat_scratch_init 0
		.amdhsa_user_sgpr_kernarg_preload_length 0
		.amdhsa_user_sgpr_kernarg_preload_offset 0
		.amdhsa_user_sgpr_private_segment_size 0
		.amdhsa_uses_dynamic_stack 0
		.amdhsa_system_sgpr_private_segment_wavefront_offset 0
		.amdhsa_system_sgpr_workgroup_id_x 1
		.amdhsa_system_sgpr_workgroup_id_y 0
		.amdhsa_system_sgpr_workgroup_id_z 0
		.amdhsa_system_sgpr_workgroup_info 0
		.amdhsa_system_vgpr_workitem_id 0
		.amdhsa_next_free_vgpr 13
		.amdhsa_next_free_sgpr 26
		.amdhsa_accum_offset 16
		.amdhsa_reserve_vcc 1
		.amdhsa_reserve_flat_scratch 0
		.amdhsa_float_round_mode_32 0
		.amdhsa_float_round_mode_16_64 0
		.amdhsa_float_denorm_mode_32 3
		.amdhsa_float_denorm_mode_16_64 3
		.amdhsa_dx10_clamp 1
		.amdhsa_ieee_mode 1
		.amdhsa_fp16_overflow 0
		.amdhsa_tg_split 0
		.amdhsa_exception_fp_ieee_invalid_op 0
		.amdhsa_exception_fp_denorm_src 0
		.amdhsa_exception_fp_ieee_div_zero 0
		.amdhsa_exception_fp_ieee_overflow 0
		.amdhsa_exception_fp_ieee_underflow 0
		.amdhsa_exception_fp_ieee_inexact 0
		.amdhsa_exception_int_div_zero 0
	.end_amdhsa_kernel
	.section	.text._ZN5aiter19grouped_topk_kernelIN3c104HalfEDv1_fLi8ELb0ELb0ELb0EEEvPT_PKS4_PfPimiiiif,"axG",@progbits,_ZN5aiter19grouped_topk_kernelIN3c104HalfEDv1_fLi8ELb0ELb0ELb0EEEvPT_PKS4_PfPimiiiif,comdat
.Lfunc_end215:
	.size	_ZN5aiter19grouped_topk_kernelIN3c104HalfEDv1_fLi8ELb0ELb0ELb0EEEvPT_PKS4_PfPimiiiif, .Lfunc_end215-_ZN5aiter19grouped_topk_kernelIN3c104HalfEDv1_fLi8ELb0ELb0ELb0EEEvPT_PKS4_PfPimiiiif
                                        ; -- End function
	.section	.AMDGPU.csdata,"",@progbits
; Kernel info:
; codeLenInByte = 1744
; NumSgprs: 30
; NumVgprs: 13
; NumAgprs: 0
; TotalNumVgprs: 13
; ScratchSize: 0
; MemoryBound: 0
; FloatMode: 240
; IeeeMode: 1
; LDSByteSize: 0 bytes/workgroup (compile time only)
; SGPRBlocks: 3
; VGPRBlocks: 1
; NumSGPRsForWavesPerEU: 30
; NumVGPRsForWavesPerEU: 13
; AccumOffset: 16
; Occupancy: 8
; WaveLimiterHint : 0
; COMPUTE_PGM_RSRC2:SCRATCH_EN: 0
; COMPUTE_PGM_RSRC2:USER_SGPR: 6
; COMPUTE_PGM_RSRC2:TRAP_HANDLER: 0
; COMPUTE_PGM_RSRC2:TGID_X_EN: 1
; COMPUTE_PGM_RSRC2:TGID_Y_EN: 0
; COMPUTE_PGM_RSRC2:TGID_Z_EN: 0
; COMPUTE_PGM_RSRC2:TIDIG_COMP_CNT: 0
; COMPUTE_PGM_RSRC3_GFX90A:ACCUM_OFFSET: 3
; COMPUTE_PGM_RSRC3_GFX90A:TG_SPLIT: 0
	.section	.text._ZN5aiter19grouped_topk_kernelIN3c108BFloat16EDv1_fLi8ELb0ELb0ELb0EEEvPT_PKS4_PfPimiiiif,"axG",@progbits,_ZN5aiter19grouped_topk_kernelIN3c108BFloat16EDv1_fLi8ELb0ELb0ELb0EEEvPT_PKS4_PfPimiiiif,comdat
	.protected	_ZN5aiter19grouped_topk_kernelIN3c108BFloat16EDv1_fLi8ELb0ELb0ELb0EEEvPT_PKS4_PfPimiiiif ; -- Begin function _ZN5aiter19grouped_topk_kernelIN3c108BFloat16EDv1_fLi8ELb0ELb0ELb0EEEvPT_PKS4_PfPimiiiif
	.globl	_ZN5aiter19grouped_topk_kernelIN3c108BFloat16EDv1_fLi8ELb0ELb0ELb0EEEvPT_PKS4_PfPimiiiif
	.p2align	8
	.type	_ZN5aiter19grouped_topk_kernelIN3c108BFloat16EDv1_fLi8ELb0ELb0ELb0EEEvPT_PKS4_PfPimiiiif,@function
_ZN5aiter19grouped_topk_kernelIN3c108BFloat16EDv1_fLi8ELb0ELb0ELb0EEEvPT_PKS4_PfPimiiiif: ; @_ZN5aiter19grouped_topk_kernelIN3c108BFloat16EDv1_fLi8ELb0ELb0ELb0EEEvPT_PKS4_PfPimiiiif
; %bb.0:
	s_load_dwordx4 s[8:11], s[4:5], 0x28
	s_load_dwordx4 s[12:15], s[4:5], 0x10
	v_lshl_add_u32 v1, v0, 2, 0
	s_waitcnt lgkmcnt(0)
	v_cmp_gt_i32_e64 s[0:1], s8, v0
	s_and_saveexec_b64 s[2:3], s[0:1]
	s_cbranch_execz .LBB216_3
; %bb.1:
	s_load_dwordx2 s[16:17], s[4:5], 0x0
	s_load_dword s11, s[4:5], 0x4c
	s_mul_i32 s18, s6, s8
	s_ashr_i32 s19, s18, 31
	s_lshl_b64 s[18:19], s[18:19], 1
	s_waitcnt lgkmcnt(0)
	s_add_u32 s7, s16, s18
	s_addc_u32 s19, s17, s19
	s_and_b32 s11, s11, 0xffff
	v_lshl_add_u32 v4, v0, 2, 0
	s_lshl_b32 s18, s11, 2
	s_mov_b64 s[16:17], 0
	v_mov_b32_e32 v5, s19
	s_mov_b32 s19, 0xbfb8aa3b
	s_mov_b32 s20, 0x42ce8ed0
	;; [unrolled: 1-line block ×3, first 2 shown]
	v_mov_b32_e32 v6, 0x7f800000
	v_mov_b32_e32 v2, v0
.LBB216_2:                              ; =>This Inner Loop Header: Depth=1
	v_ashrrev_i32_e32 v3, 31, v2
	v_lshlrev_b64 v[8:9], 1, v[2:3]
	v_add_co_u32_e32 v8, vcc, s7, v8
	v_addc_co_u32_e32 v9, vcc, v5, v9, vcc
	global_load_ushort v3, v[8:9], off
	v_add_u32_e32 v2, s11, v2
	v_cmp_le_i32_e32 vcc, s8, v2
	s_or_b64 s[16:17], vcc, s[16:17]
	s_waitcnt vmcnt(0)
	v_cvt_f32_u32_e32 v3, v3
	v_mul_f32_e32 v7, 0xbfb8aa3b, v3
	v_fma_f32 v8, v3, s19, -v7
	v_rndne_f32_e32 v9, v7
	v_fmac_f32_e32 v8, 0xb2a5705f, v3
	v_sub_f32_e32 v7, v7, v9
	v_add_f32_e32 v7, v7, v8
	v_cvt_i32_f32_e32 v9, v9
	v_exp_f32_e32 v7, v7
	v_cmp_nlt_f32_e32 vcc, s20, v3
	v_ldexp_f32 v7, v7, v9
	v_cndmask_b32_e32 v7, 0, v7, vcc
	v_cmp_ngt_f32_e32 vcc, s21, v3
	v_cndmask_b32_e32 v3, v6, v7, vcc
	v_add_f32_e32 v3, 1.0, v3
	v_div_scale_f32 v7, s[22:23], v3, v3, 1.0
	v_rcp_f32_e32 v8, v7
	v_div_scale_f32 v9, vcc, 1.0, v3, 1.0
	v_fma_f32 v10, -v7, v8, 1.0
	v_fmac_f32_e32 v8, v10, v8
	v_mul_f32_e32 v10, v9, v8
	v_fma_f32 v11, -v7, v10, v9
	v_fmac_f32_e32 v10, v11, v8
	v_fma_f32 v7, -v7, v10, v9
	v_div_fmas_f32 v7, v7, v8, v10
	v_div_fixup_f32 v3, v7, v3, 1.0
	ds_write_b32 v4, v3
	v_add_u32_e32 v4, s18, v4
	s_andn2_b64 exec, exec, s[16:17]
	s_cbranch_execnz .LBB216_2
.LBB216_3:
	s_or_b64 exec, exec, s[2:3]
	s_ashr_i32 s2, s8, 31
	s_lshr_b32 s2, s2, 29
	s_add_i32 s2, s8, s2
	s_ashr_i32 s11, s2, 3
	s_lshl_b32 s2, s8, 2
	s_add_i32 s7, s2, 0
	v_cmp_gt_u32_e32 vcc, 8, v0
	s_waitcnt lgkmcnt(0)
	s_barrier
	s_and_saveexec_b64 s[16:17], vcc
	s_cbranch_execz .LBB216_10
; %bb.4:
	s_load_dword s2, s[4:5], 0x4c
	v_mul_lo_u32 v2, v0, s11
	v_lshl_add_u32 v2, v2, 2, 0
	s_waitcnt lgkmcnt(0)
	s_and_b32 s22, s2, 0xffff
	s_cmp_gt_i32 s8, 7
	s_cselect_b64 s[2:3], -1, 0
	s_mul_i32 s18, s11, s22
	v_cndmask_b32_e64 v3, 0, 1, s[2:3]
	s_lshl_b32 s23, s18, 2
	s_mov_b64 s[18:19], 0
	v_cmp_ne_u32_e64 s[2:3], 1, v3
	v_mov_b32_e32 v3, v0
	s_branch .LBB216_6
.LBB216_5:                              ;   in Loop: Header=BB216_6 Depth=1
	v_lshl_add_u32 v5, v3, 2, s7
	v_add_u32_e32 v3, s22, v3
	v_cmp_lt_u32_e32 vcc, 7, v3
	s_or_b64 s[18:19], vcc, s[18:19]
	v_add_u32_e32 v2, s23, v2
	ds_write_b32 v5, v4
	s_andn2_b64 exec, exec, s[18:19]
	s_cbranch_execz .LBB216_10
.LBB216_6:                              ; =>This Loop Header: Depth=1
                                        ;     Child Loop BB216_8 Depth 2
	s_and_b64 vcc, exec, s[2:3]
	v_mov_b32_e32 v4, 0xff800000
	s_cbranch_vccnz .LBB216_5
; %bb.7:                                ;   in Loop: Header=BB216_6 Depth=1
	v_mul_lo_u32 v5, v3, s11
	v_add_u32_e32 v6, s11, v5
	s_mov_b64 s[20:21], 0
	v_mov_b32_e32 v4, 0xff800000
	v_mov_b32_e32 v7, v2
.LBB216_8:                              ;   Parent Loop BB216_6 Depth=1
                                        ; =>  This Inner Loop Header: Depth=2
	ds_read_b32 v8, v7
	v_add_u32_e32 v5, 1, v5
	v_cmp_ge_i32_e32 vcc, v5, v6
	s_or_b64 s[20:21], vcc, s[20:21]
	v_add_u32_e32 v7, 4, v7
	s_waitcnt lgkmcnt(0)
	v_cmp_gt_f32_e32 vcc, v8, v4
	v_cndmask_b32_e32 v4, v4, v8, vcc
	s_andn2_b64 exec, exec, s[20:21]
	s_cbranch_execnz .LBB216_8
; %bb.9:                                ;   in Loop: Header=BB216_6 Depth=1
	s_or_b64 exec, exec, s[20:21]
	s_branch .LBB216_5
.LBB216_10:
	s_or_b64 exec, exec, s[16:17]
	s_cmp_lt_i32 s10, 1
	s_waitcnt lgkmcnt(0)
	s_barrier
	s_cbranch_scc1 .LBB216_13
; %bb.11:
	v_mov_b32_e32 v2, s7
	s_mov_b32 s2, 0xff800000
	v_mov_b32_e32 v3, 0xff800000
.LBB216_12:                             ; =>This Inner Loop Header: Depth=1
	ds_read2_b32 v[4:5], v2 offset1:1
	ds_read2_b32 v[6:7], v2 offset0:2 offset1:3
	ds_read2_b32 v[8:9], v2 offset0:4 offset1:5
	;; [unrolled: 1-line block ×3, first 2 shown]
	s_waitcnt lgkmcnt(3)
	v_cmp_nlg_f32_e32 vcc, s2, v4
	v_cndmask_b32_e64 v12, 0, 1, vcc
	v_cmp_lg_f32_e32 vcc, s2, v4
	v_cndmask_b32_e32 v4, v3, v4, vcc
	v_readfirstlane_b32 s3, v12
	v_cmp_gt_f32_e32 vcc, v5, v4
	s_lshl_b32 s3, s3, 3
	v_cndmask_b32_e32 v4, v4, v5, vcc
	s_and_b64 s[16:17], vcc, exec
	s_waitcnt lgkmcnt(2)
	v_cmp_gt_f32_e32 vcc, v6, v4
	v_cndmask_b32_e32 v4, v4, v6, vcc
	s_cselect_b32 s3, 1, s3
	s_and_b64 s[16:17], vcc, exec
	v_cmp_gt_f32_e32 vcc, v7, v4
	v_cndmask_b32_e32 v4, v4, v7, vcc
	s_cselect_b32 s3, 2, s3
	s_and_b64 s[16:17], vcc, exec
	s_waitcnt lgkmcnt(1)
	v_cmp_gt_f32_e32 vcc, v8, v4
	v_cndmask_b32_e32 v4, v4, v8, vcc
	s_cselect_b32 s3, 3, s3
	s_and_b64 s[16:17], vcc, exec
	v_cmp_gt_f32_e32 vcc, v9, v4
	v_cndmask_b32_e32 v4, v4, v9, vcc
	s_cselect_b32 s3, 4, s3
	s_and_b64 s[16:17], vcc, exec
	s_waitcnt lgkmcnt(0)
	v_cmp_gt_f32_e32 vcc, v10, v4
	v_cndmask_b32_e32 v4, v4, v10, vcc
	s_cselect_b32 s3, 5, s3
	s_and_b64 s[16:17], vcc, exec
	v_cmp_ngt_f32_e32 vcc, v11, v4
	s_cselect_b32 s3, 6, s3
	s_and_b64 s[16:17], vcc, exec
	s_cselect_b32 s3, s3, 7
	s_lshl_b32 s3, s3, 2
	s_add_i32 s3, s7, s3
	s_add_i32 s10, s10, -1
	v_mov_b32_e32 v4, s3
	s_cmp_lg_u32 s10, 0
	ds_write_b32 v4, v3
	s_cbranch_scc1 .LBB216_12
.LBB216_13:
	s_and_saveexec_b64 s[2:3], s[0:1]
	s_cbranch_execz .LBB216_18
; %bb.14:
	s_abs_i32 s18, s11
	v_cvt_f32_u32_e32 v3, s18
	s_load_dword s16, s[4:5], 0x4c
	s_sub_i32 s17, 0, s18
	s_ashr_i32 s19, s11, 31
	v_rcp_iflag_f32_e32 v4, v3
	v_lshl_add_u32 v2, v0, 2, 0
	s_waitcnt lgkmcnt(0)
	s_and_b32 s21, s16, 0xffff
	s_mov_b64 s[10:11], 0
	v_mul_f32_e32 v4, 0x4f7ffffe, v4
	v_cvt_u32_f32_e32 v4, v4
	s_mov_b32 s20, 0xff800000
	v_mov_b32_e32 v3, 0xff800000
	s_lshl_b32 s22, s21, 2
	v_mul_lo_u32 v5, s17, v4
	v_mul_hi_u32 v5, v4, v5
	v_add_u32_e32 v4, v4, v5
	v_mov_b32_e32 v5, v0
	s_branch .LBB216_16
.LBB216_15:                             ;   in Loop: Header=BB216_16 Depth=1
	s_or_b64 exec, exec, s[16:17]
	v_add_u32_e32 v5, s21, v5
	v_cmp_le_i32_e32 vcc, s8, v5
	s_or_b64 s[10:11], vcc, s[10:11]
	v_add_u32_e32 v2, s22, v2
	s_andn2_b64 exec, exec, s[10:11]
	s_cbranch_execz .LBB216_18
.LBB216_16:                             ; =>This Inner Loop Header: Depth=1
	v_sub_u32_e32 v7, 0, v5
	v_max_i32_e32 v7, v5, v7
	v_mul_hi_u32 v8, v7, v4
	v_mul_lo_u32 v9, v8, s18
	v_sub_u32_e32 v7, v7, v9
	v_add_u32_e32 v9, 1, v8
	v_cmp_le_u32_e32 vcc, s18, v7
	v_cndmask_b32_e32 v8, v8, v9, vcc
	v_subrev_u32_e32 v9, s18, v7
	v_cndmask_b32_e32 v7, v7, v9, vcc
	v_ashrrev_i32_e32 v6, 31, v5
	v_add_u32_e32 v9, 1, v8
	v_cmp_le_u32_e32 vcc, s18, v7
	v_xor_b32_e32 v6, s19, v6
	v_cndmask_b32_e32 v7, v8, v9, vcc
	v_xor_b32_e32 v7, v7, v6
	v_sub_u32_e32 v6, v7, v6
	v_lshl_add_u32 v6, v6, 2, s7
	ds_read_b32 v6, v6
	s_waitcnt lgkmcnt(0)
	v_cmp_neq_f32_e32 vcc, s20, v6
	s_and_saveexec_b64 s[16:17], vcc
	s_cbranch_execz .LBB216_15
; %bb.17:                               ;   in Loop: Header=BB216_16 Depth=1
	ds_write_b32 v2, v3
	s_branch .LBB216_15
.LBB216_18:
	s_or_b64 exec, exec, s[2:3]
	s_cmp_lt_i32 s9, 1
	s_waitcnt lgkmcnt(0)
	s_barrier
	s_cbranch_scc1 .LBB216_25
; %bb.19:
	s_add_u32 s2, s4, 64
	s_addc_u32 s3, s5, 0
	s_mov_b32 s7, 0
	v_mov_b32_e32 v4, 0xff800000
                                        ; implicit-def: $vgpr3
                                        ; implicit-def: $vgpr2
	s_branch .LBB216_21
.LBB216_20:                             ;   in Loop: Header=BB216_21 Depth=1
	s_or_b64 exec, exec, s[10:11]
	v_mov_b32_dpp v8, v6 quad_perm:[1,0,3,2] row_mask:0xf bank_mask:0xf
	v_cmp_lt_f32_e32 vcc, v6, v8
	v_cndmask_b32_e32 v6, v6, v8, vcc
	v_mov_b32_dpp v7, v5 quad_perm:[1,0,3,2] row_mask:0xf bank_mask:0xf
	v_cndmask_b32_e32 v5, v5, v7, vcc
	v_mov_b32_dpp v8, v6 quad_perm:[2,3,0,1] row_mask:0xf bank_mask:0xf
	v_cmp_gt_f32_e32 vcc, v8, v6
	v_cndmask_b32_e32 v6, v6, v8, vcc
	v_mov_b32_dpp v7, v5 quad_perm:[2,3,0,1] row_mask:0xf bank_mask:0xf
	v_cndmask_b32_e32 v5, v5, v7, vcc
	v_mov_b32_dpp v8, v6 row_half_mirror row_mask:0xf bank_mask:0xf
	v_cmp_gt_f32_e32 vcc, v8, v6
	v_cndmask_b32_e32 v6, v6, v8, vcc
	v_mov_b32_dpp v7, v5 row_half_mirror row_mask:0xf bank_mask:0xf
	v_cndmask_b32_e32 v5, v5, v7, vcc
	v_mov_b32_dpp v8, v6 row_mirror row_mask:0xf bank_mask:0xf
	v_cmp_gt_f32_e32 vcc, v8, v6
	v_cndmask_b32_e32 v6, v6, v8, vcc
	v_mov_b32_dpp v7, v5 row_mirror row_mask:0xf bank_mask:0xf
	v_cndmask_b32_e32 v5, v5, v7, vcc
	v_mov_b32_dpp v8, v6 row_bcast:15 row_mask:0xf bank_mask:0xf
	v_cmp_gt_f32_e32 vcc, v8, v6
	v_mov_b32_dpp v7, v5 row_bcast:15 row_mask:0xf bank_mask:0xf
	v_cndmask_b32_e32 v6, v6, v8, vcc
	v_cndmask_b32_e32 v5, v5, v7, vcc
	s_nop 0
	v_mov_b32_dpp v8, v6 row_bcast:31 row_mask:0xf bank_mask:0xf
	v_mov_b32_dpp v7, v5 row_bcast:31 row_mask:0xf bank_mask:0xf
	v_cmp_gt_f32_e32 vcc, v8, v6
	v_cndmask_b32_e32 v5, v5, v7, vcc
	v_readlane_b32 s11, v5, 63
	s_lshl_b32 s16, s11, 2
	s_add_i32 s16, s16, 0
	v_cndmask_b32_e32 v6, v6, v8, vcc
	v_mov_b32_e32 v5, s16
	v_readlane_b32 s10, v6, 63
	ds_write_b32 v5, v4
	v_mov_b32_e32 v5, s11
	v_cmp_eq_u32_e32 vcc, s7, v0
	v_cndmask_b32_e32 v2, v2, v5, vcc
	v_mov_b32_e32 v5, s10
	s_add_i32 s7, s7, 1
	s_cmp_eq_u32 s7, s9
	v_cndmask_b32_e32 v3, v3, v5, vcc
	s_cbranch_scc1 .LBB216_26
.LBB216_21:                             ; =>This Loop Header: Depth=1
                                        ;     Child Loop BB216_23 Depth 2
	v_mov_b32_e32 v5, s7
	v_mov_b32_e32 v6, 0xff800000
	s_and_saveexec_b64 s[10:11], s[0:1]
	s_cbranch_execz .LBB216_20
; %bb.22:                               ;   in Loop: Header=BB216_21 Depth=1
	s_load_dword s18, s[2:3], 0xc
	s_mov_b64 s[16:17], 0
	v_mov_b32_e32 v5, s7
	v_mov_b32_e32 v6, 0xff800000
	;; [unrolled: 1-line block ×3, first 2 shown]
	s_waitcnt lgkmcnt(0)
	s_and_b32 s18, s18, 0xffff
	s_lshl_b32 s19, s18, 2
	v_mov_b32_e32 v8, v0
.LBB216_23:                             ;   Parent Loop BB216_21 Depth=1
                                        ; =>  This Inner Loop Header: Depth=2
	ds_read_b32 v9, v7
	v_add_u32_e32 v7, s19, v7
	s_waitcnt lgkmcnt(0)
	v_cmp_gt_f32_e32 vcc, v9, v6
	v_cndmask_b32_e32 v5, v5, v8, vcc
	v_add_u32_e32 v8, s18, v8
	v_cndmask_b32_e32 v6, v6, v9, vcc
	v_cmp_le_i32_e32 vcc, s8, v8
	s_or_b64 s[16:17], vcc, s[16:17]
	s_andn2_b64 exec, exec, s[16:17]
	s_cbranch_execnz .LBB216_23
; %bb.24:                               ;   in Loop: Header=BB216_21 Depth=1
	s_or_b64 exec, exec, s[16:17]
	s_branch .LBB216_20
.LBB216_25:
                                        ; implicit-def: $vgpr3
                                        ; implicit-def: $vgpr2
.LBB216_26:
	v_cmp_gt_i32_e32 vcc, s9, v0
	s_and_saveexec_b64 s[0:1], vcc
	s_cbranch_execz .LBB216_29
; %bb.27:
	s_load_dword s2, s[4:5], 0x38
	s_load_dwordx2 s[0:1], s[4:5], 0x20
	s_ashr_i32 s3, s6, 31
	s_load_dword s4, s[4:5], 0x4c
	v_mov_b32_e32 v4, s13
	s_waitcnt lgkmcnt(0)
	v_mul_f32_e32 v1, s2, v3
	s_mul_i32 s1, s6, s1
	s_mul_hi_u32 s2, s6, s0
	s_add_i32 s1, s2, s1
	s_mul_i32 s3, s3, s0
	s_add_i32 s5, s1, s3
	s_mul_i32 s2, s6, s0
	s_and_b32 s3, s4, 0xffff
	s_mov_b64 s[0:1], 0
	v_mov_b32_e32 v3, s5
	v_mov_b32_e32 v5, s15
.LBB216_28:                             ; =>This Inner Loop Header: Depth=1
	v_ashrrev_i32_e32 v7, 31, v0
	v_add_co_u32_e32 v6, vcc, s2, v0
	v_addc_co_u32_e32 v7, vcc, v3, v7, vcc
	v_add_u32_e32 v0, s3, v0
	v_cmp_le_i32_e32 vcc, s9, v0
	v_lshlrev_b64 v[6:7], 2, v[6:7]
	s_or_b64 s[0:1], vcc, s[0:1]
	v_add_co_u32_e32 v8, vcc, s12, v6
	v_addc_co_u32_e32 v9, vcc, v4, v7, vcc
	v_add_co_u32_e32 v6, vcc, s14, v6
	v_addc_co_u32_e32 v7, vcc, v5, v7, vcc
	global_store_dword v[8:9], v1, off
	global_store_dword v[6:7], v2, off
	s_andn2_b64 exec, exec, s[0:1]
	s_cbranch_execnz .LBB216_28
.LBB216_29:
	s_endpgm
	.section	.rodata,"a",@progbits
	.p2align	6, 0x0
	.amdhsa_kernel _ZN5aiter19grouped_topk_kernelIN3c108BFloat16EDv1_fLi8ELb0ELb0ELb0EEEvPT_PKS4_PfPimiiiif
		.amdhsa_group_segment_fixed_size 0
		.amdhsa_private_segment_fixed_size 0
		.amdhsa_kernarg_size 320
		.amdhsa_user_sgpr_count 6
		.amdhsa_user_sgpr_private_segment_buffer 1
		.amdhsa_user_sgpr_dispatch_ptr 0
		.amdhsa_user_sgpr_queue_ptr 0
		.amdhsa_user_sgpr_kernarg_segment_ptr 1
		.amdhsa_user_sgpr_dispatch_id 0
		.amdhsa_user_sgpr_flat_scratch_init 0
		.amdhsa_user_sgpr_kernarg_preload_length 0
		.amdhsa_user_sgpr_kernarg_preload_offset 0
		.amdhsa_user_sgpr_private_segment_size 0
		.amdhsa_uses_dynamic_stack 0
		.amdhsa_system_sgpr_private_segment_wavefront_offset 0
		.amdhsa_system_sgpr_workgroup_id_x 1
		.amdhsa_system_sgpr_workgroup_id_y 0
		.amdhsa_system_sgpr_workgroup_id_z 0
		.amdhsa_system_sgpr_workgroup_info 0
		.amdhsa_system_vgpr_workitem_id 0
		.amdhsa_next_free_vgpr 13
		.amdhsa_next_free_sgpr 24
		.amdhsa_accum_offset 16
		.amdhsa_reserve_vcc 1
		.amdhsa_reserve_flat_scratch 0
		.amdhsa_float_round_mode_32 0
		.amdhsa_float_round_mode_16_64 0
		.amdhsa_float_denorm_mode_32 3
		.amdhsa_float_denorm_mode_16_64 3
		.amdhsa_dx10_clamp 1
		.amdhsa_ieee_mode 1
		.amdhsa_fp16_overflow 0
		.amdhsa_tg_split 0
		.amdhsa_exception_fp_ieee_invalid_op 0
		.amdhsa_exception_fp_denorm_src 0
		.amdhsa_exception_fp_ieee_div_zero 0
		.amdhsa_exception_fp_ieee_overflow 0
		.amdhsa_exception_fp_ieee_underflow 0
		.amdhsa_exception_fp_ieee_inexact 0
		.amdhsa_exception_int_div_zero 0
	.end_amdhsa_kernel
	.section	.text._ZN5aiter19grouped_topk_kernelIN3c108BFloat16EDv1_fLi8ELb0ELb0ELb0EEEvPT_PKS4_PfPimiiiif,"axG",@progbits,_ZN5aiter19grouped_topk_kernelIN3c108BFloat16EDv1_fLi8ELb0ELb0ELb0EEEvPT_PKS4_PfPimiiiif,comdat
.Lfunc_end216:
	.size	_ZN5aiter19grouped_topk_kernelIN3c108BFloat16EDv1_fLi8ELb0ELb0ELb0EEEvPT_PKS4_PfPimiiiif, .Lfunc_end216-_ZN5aiter19grouped_topk_kernelIN3c108BFloat16EDv1_fLi8ELb0ELb0ELb0EEEvPT_PKS4_PfPimiiiif
                                        ; -- End function
	.section	.AMDGPU.csdata,"",@progbits
; Kernel info:
; codeLenInByte = 1732
; NumSgprs: 28
; NumVgprs: 13
; NumAgprs: 0
; TotalNumVgprs: 13
; ScratchSize: 0
; MemoryBound: 0
; FloatMode: 240
; IeeeMode: 1
; LDSByteSize: 0 bytes/workgroup (compile time only)
; SGPRBlocks: 3
; VGPRBlocks: 1
; NumSGPRsForWavesPerEU: 28
; NumVGPRsForWavesPerEU: 13
; AccumOffset: 16
; Occupancy: 8
; WaveLimiterHint : 0
; COMPUTE_PGM_RSRC2:SCRATCH_EN: 0
; COMPUTE_PGM_RSRC2:USER_SGPR: 6
; COMPUTE_PGM_RSRC2:TRAP_HANDLER: 0
; COMPUTE_PGM_RSRC2:TGID_X_EN: 1
; COMPUTE_PGM_RSRC2:TGID_Y_EN: 0
; COMPUTE_PGM_RSRC2:TGID_Z_EN: 0
; COMPUTE_PGM_RSRC2:TIDIG_COMP_CNT: 0
; COMPUTE_PGM_RSRC3_GFX90A:ACCUM_OFFSET: 3
; COMPUTE_PGM_RSRC3_GFX90A:TG_SPLIT: 0
	.section	.text._ZN5aiter28grouped_topk_opt_sort_kernelIfDv1_fLi4ELb1ELb1ELb0EEEvPT_PKS2_PfPimiiiif,"axG",@progbits,_ZN5aiter28grouped_topk_opt_sort_kernelIfDv1_fLi4ELb1ELb1ELb0EEEvPT_PKS2_PfPimiiiif,comdat
	.protected	_ZN5aiter28grouped_topk_opt_sort_kernelIfDv1_fLi4ELb1ELb1ELb0EEEvPT_PKS2_PfPimiiiif ; -- Begin function _ZN5aiter28grouped_topk_opt_sort_kernelIfDv1_fLi4ELb1ELb1ELb0EEEvPT_PKS2_PfPimiiiif
	.globl	_ZN5aiter28grouped_topk_opt_sort_kernelIfDv1_fLi4ELb1ELb1ELb0EEEvPT_PKS2_PfPimiiiif
	.p2align	8
	.type	_ZN5aiter28grouped_topk_opt_sort_kernelIfDv1_fLi4ELb1ELb1ELb0EEEvPT_PKS2_PfPimiiiif,@function
_ZN5aiter28grouped_topk_opt_sort_kernelIfDv1_fLi4ELb1ELb1ELb0EEEvPT_PKS2_PfPimiiiif: ; @_ZN5aiter28grouped_topk_opt_sort_kernelIfDv1_fLi4ELb1ELb1ELb0EEEvPT_PKS2_PfPimiiiif
; %bb.0:
	s_load_dword s7, s[4:5], 0x28
	s_load_dwordx4 s[0:3], s[4:5], 0x0
	s_load_dword s8, s[4:5], 0x30
	v_lshlrev_b32_e32 v1, 2, v0
	v_mbcnt_lo_u32_b32 v3, -1, 0
	s_waitcnt lgkmcnt(0)
	s_mul_i32 s4, s6, s7
	s_ashr_i32 s5, s4, 31
	s_lshl_b64 s[4:5], s[4:5], 2
	s_add_u32 s0, s0, s4
	s_addc_u32 s1, s1, s5
	global_load_dword v2, v1, s[0:1]
	global_load_dword v4, v1, s[2:3]
	s_mov_b32 s0, 0x652b82fe
	v_mbcnt_hi_u32_b32 v3, -1, v3
	s_mov_b32 s1, 0xbff71547
	v_and_b32_e32 v13, 64, v3
	s_mov_b32 s2, 0xc2fc0000
	v_mov_b32_e32 v5, 0x42800000
	v_mov_b32_e32 v6, 0x1f800000
	v_and_b32_e32 v12, 1, v0
	v_mov_b32_e32 v7, 0xff800000
	v_mov_b32_e32 v8, 0x7f800000
	v_lshlrev_b32_e32 v9, 4, v0
	v_lshrrev_b32_e32 v10, 1, v0
	v_xor_b32_e32 v10, v10, v0
	v_and_b32_e32 v11, 2, v0
	v_add_u32_e32 v1, 0, v1
	s_waitcnt vmcnt(1)
	v_cvt_f64_f32_e32 v[2:3], v2
	v_mul_f64 v[2:3], v[2:3], s[0:1]
	v_cvt_f32_f64_e32 v2, v[2:3]
	v_cmp_gt_f32_e32 vcc, s2, v2
	v_cndmask_b32_e32 v3, 0, v5, vcc
	v_add_f32_e32 v2, v2, v3
	v_exp_f32_e32 v2, v2
	v_cndmask_b32_e32 v5, 1.0, v6, vcc
	v_cmp_eq_u32_e32 vcc, 0, v12
	v_and_or_b32 v6, v9, 48, v13
	v_fma_f32 v2, v2, v5, 1.0
	v_rcp_f32_e32 v2, v2
	v_cndmask_b32_e32 v5, v7, v8, vcc
	v_lshlrev_b32_e32 v6, 2, v6
	v_cmp_eq_u32_e64 s[0:1], 0, v11
	s_waitcnt vmcnt(0)
	v_add_f32_e32 v2, v4, v2
	v_cmp_o_f32_e32 vcc, v2, v2
	v_cndmask_b32_e32 v2, v7, v2, vcc
	v_add_f32_e32 v4, 0xff800000, v2
	ds_bpermute_b32 v4, v6, v4
	v_and_b32_e32 v6, 1, v10
	v_cmp_eq_u32_e32 vcc, 0, v6
	v_cndmask_b32_e64 v3, v7, v8, s[0:1]
	v_cndmask_b32_e32 v6, v7, v8, vcc
	s_waitcnt lgkmcnt(0)
	v_mov_b32_dpp v7, v4 quad_perm:[1,0,3,2] row_mask:0xf bank_mask:0xf bound_ctrl:1
	v_med3_f32 v6, v4, v7, v6
	v_lshlrev_b32_e32 v9, 2, v13
	ds_write_b32 v1, v2
	v_mov_b32_dpp v7, v6 quad_perm:[2,3,0,1] row_mask:0xf bank_mask:0xf bound_ctrl:1
	v_med3_f32 v3, v6, v7, v3
	s_nop 1
	v_mov_b32_dpp v6, v3 quad_perm:[1,0,3,2] row_mask:0xf bank_mask:0xf bound_ctrl:1
	v_med3_f32 v3, v3, v6, v5
	ds_bpermute_b32 v3, v9, v3 offset:12
	s_waitcnt lgkmcnt(0)
	v_cmp_gt_f32_e32 vcc, v4, v3
	v_cndmask_b32_e64 v1, 0, 1, vcc
	v_cmp_eq_f32_e64 s[0:1], v4, v3
	v_cndmask_b32_e64 v2, 0, 1, s[0:1]
	v_mov_b32_dpp v1, v1 row_shr:1 row_mask:0xf bank_mask:0xf bound_ctrl:1
	v_cmp_ge_f32_e64 s[2:3], v4, v3
	v_addc_co_u32_e64 v3, s[4:5], 0, v1, vcc
	v_mov_b32_dpp v2, v2 row_shr:1 row_mask:0xf bank_mask:0xf bound_ctrl:1
	s_nop 0
	v_mov_b32_dpp v3, v3 row_shr:2 row_mask:0xf bank_mask:0xf bound_ctrl:1
	v_addc_co_u32_e64 v4, s[4:5], 0, v2, s[0:1]
	v_addc_co_u32_e32 v1, vcc, v3, v1, vcc
	v_readlane_b32 s4, v1, 3
	v_mov_b32_e32 v3, s4
	v_addc_co_u32_e64 v2, vcc, v3, v2, s[0:1]
	s_nop 1
	v_add_u32_dpp v2, v4, v2 row_shr:2 row_mask:0xf bank_mask:0xf bound_ctrl:1
	v_cndmask_b32_e64 v1, v1, v2, s[0:1]
	v_cmp_ge_i32_e32 vcc, s8, v1
	s_and_b64 s[0:1], s[2:3], vcc
	v_cmp_gt_u32_e32 vcc, 4, v0
	s_and_b64 s[2:3], vcc, s[0:1]
	s_and_saveexec_b64 s[0:1], s[2:3]
	s_cbranch_execz .LBB217_2
; %bb.1:
	s_lshl_b32 s2, s7, 2
	s_add_i32 s2, s2, 0
	v_lshl_add_u32 v1, v1, 2, s2
	ds_write_b32 v1, v0 offset:12
.LBB217_2:
	s_or_b64 exec, exec, s[0:1]
	s_waitcnt lgkmcnt(0)
	s_barrier
	s_endpgm
	.section	.rodata,"a",@progbits
	.p2align	6, 0x0
	.amdhsa_kernel _ZN5aiter28grouped_topk_opt_sort_kernelIfDv1_fLi4ELb1ELb1ELb0EEEvPT_PKS2_PfPimiiiif
		.amdhsa_group_segment_fixed_size 0
		.amdhsa_private_segment_fixed_size 0
		.amdhsa_kernarg_size 60
		.amdhsa_user_sgpr_count 6
		.amdhsa_user_sgpr_private_segment_buffer 1
		.amdhsa_user_sgpr_dispatch_ptr 0
		.amdhsa_user_sgpr_queue_ptr 0
		.amdhsa_user_sgpr_kernarg_segment_ptr 1
		.amdhsa_user_sgpr_dispatch_id 0
		.amdhsa_user_sgpr_flat_scratch_init 0
		.amdhsa_user_sgpr_kernarg_preload_length 0
		.amdhsa_user_sgpr_kernarg_preload_offset 0
		.amdhsa_user_sgpr_private_segment_size 0
		.amdhsa_uses_dynamic_stack 0
		.amdhsa_system_sgpr_private_segment_wavefront_offset 0
		.amdhsa_system_sgpr_workgroup_id_x 1
		.amdhsa_system_sgpr_workgroup_id_y 0
		.amdhsa_system_sgpr_workgroup_id_z 0
		.amdhsa_system_sgpr_workgroup_info 0
		.amdhsa_system_vgpr_workitem_id 0
		.amdhsa_next_free_vgpr 14
		.amdhsa_next_free_sgpr 9
		.amdhsa_accum_offset 16
		.amdhsa_reserve_vcc 1
		.amdhsa_reserve_flat_scratch 0
		.amdhsa_float_round_mode_32 0
		.amdhsa_float_round_mode_16_64 0
		.amdhsa_float_denorm_mode_32 3
		.amdhsa_float_denorm_mode_16_64 3
		.amdhsa_dx10_clamp 1
		.amdhsa_ieee_mode 1
		.amdhsa_fp16_overflow 0
		.amdhsa_tg_split 0
		.amdhsa_exception_fp_ieee_invalid_op 0
		.amdhsa_exception_fp_denorm_src 0
		.amdhsa_exception_fp_ieee_div_zero 0
		.amdhsa_exception_fp_ieee_overflow 0
		.amdhsa_exception_fp_ieee_underflow 0
		.amdhsa_exception_fp_ieee_inexact 0
		.amdhsa_exception_int_div_zero 0
	.end_amdhsa_kernel
	.section	.text._ZN5aiter28grouped_topk_opt_sort_kernelIfDv1_fLi4ELb1ELb1ELb0EEEvPT_PKS2_PfPimiiiif,"axG",@progbits,_ZN5aiter28grouped_topk_opt_sort_kernelIfDv1_fLi4ELb1ELb1ELb0EEEvPT_PKS2_PfPimiiiif,comdat
.Lfunc_end217:
	.size	_ZN5aiter28grouped_topk_opt_sort_kernelIfDv1_fLi4ELb1ELb1ELb0EEEvPT_PKS2_PfPimiiiif, .Lfunc_end217-_ZN5aiter28grouped_topk_opt_sort_kernelIfDv1_fLi4ELb1ELb1ELb0EEEvPT_PKS2_PfPimiiiif
                                        ; -- End function
	.section	.AMDGPU.csdata,"",@progbits
; Kernel info:
; codeLenInByte = 568
; NumSgprs: 13
; NumVgprs: 14
; NumAgprs: 0
; TotalNumVgprs: 14
; ScratchSize: 0
; MemoryBound: 0
; FloatMode: 240
; IeeeMode: 1
; LDSByteSize: 0 bytes/workgroup (compile time only)
; SGPRBlocks: 1
; VGPRBlocks: 1
; NumSGPRsForWavesPerEU: 13
; NumVGPRsForWavesPerEU: 14
; AccumOffset: 16
; Occupancy: 8
; WaveLimiterHint : 0
; COMPUTE_PGM_RSRC2:SCRATCH_EN: 0
; COMPUTE_PGM_RSRC2:USER_SGPR: 6
; COMPUTE_PGM_RSRC2:TRAP_HANDLER: 0
; COMPUTE_PGM_RSRC2:TGID_X_EN: 1
; COMPUTE_PGM_RSRC2:TGID_Y_EN: 0
; COMPUTE_PGM_RSRC2:TGID_Z_EN: 0
; COMPUTE_PGM_RSRC2:TIDIG_COMP_CNT: 0
; COMPUTE_PGM_RSRC3_GFX90A:ACCUM_OFFSET: 3
; COMPUTE_PGM_RSRC3_GFX90A:TG_SPLIT: 0
	.section	.text._ZN5aiter28grouped_topk_opt_sort_kernelIN3c104HalfEDv1_fLi4ELb1ELb1ELb0EEEvPT_PKS4_PfPimiiiif,"axG",@progbits,_ZN5aiter28grouped_topk_opt_sort_kernelIN3c104HalfEDv1_fLi4ELb1ELb1ELb0EEEvPT_PKS4_PfPimiiiif,comdat
	.protected	_ZN5aiter28grouped_topk_opt_sort_kernelIN3c104HalfEDv1_fLi4ELb1ELb1ELb0EEEvPT_PKS4_PfPimiiiif ; -- Begin function _ZN5aiter28grouped_topk_opt_sort_kernelIN3c104HalfEDv1_fLi4ELb1ELb1ELb0EEEvPT_PKS4_PfPimiiiif
	.globl	_ZN5aiter28grouped_topk_opt_sort_kernelIN3c104HalfEDv1_fLi4ELb1ELb1ELb0EEEvPT_PKS4_PfPimiiiif
	.p2align	8
	.type	_ZN5aiter28grouped_topk_opt_sort_kernelIN3c104HalfEDv1_fLi4ELb1ELb1ELb0EEEvPT_PKS4_PfPimiiiif,@function
_ZN5aiter28grouped_topk_opt_sort_kernelIN3c104HalfEDv1_fLi4ELb1ELb1ELb0EEEvPT_PKS4_PfPimiiiif: ; @_ZN5aiter28grouped_topk_opt_sort_kernelIN3c104HalfEDv1_fLi4ELb1ELb1ELb0EEEvPT_PKS4_PfPimiiiif
; %bb.0:
	s_load_dword s7, s[4:5], 0x28
	s_load_dwordx4 s[0:3], s[4:5], 0x0
	s_load_dword s8, s[4:5], 0x30
	v_lshlrev_b32_e32 v1, 1, v0
	v_mbcnt_lo_u32_b32 v3, -1, 0
	s_waitcnt lgkmcnt(0)
	s_mul_i32 s4, s6, s7
	s_ashr_i32 s5, s4, 31
	s_lshl_b64 s[4:5], s[4:5], 1
	s_add_u32 s0, s0, s4
	s_addc_u32 s1, s1, s5
	global_load_ushort v2, v1, s[0:1]
	global_load_ushort v4, v1, s[2:3]
	s_mov_b32 s0, 0x652b82fe
	v_mbcnt_hi_u32_b32 v3, -1, v3
	s_mov_b32 s1, 0xbff71547
	v_and_b32_e32 v12, 64, v3
	s_mov_b32 s2, 0xc2fc0000
	v_mov_b32_e32 v1, 0x42800000
	v_mov_b32_e32 v5, 0x1f800000
	v_and_b32_e32 v11, 1, v0
	v_mov_b32_e32 v6, 0xff800000
	v_mov_b32_e32 v7, 0x7f800000
	v_lshlrev_b32_e32 v8, 4, v0
	v_lshrrev_b32_e32 v9, 1, v0
	v_xor_b32_e32 v9, v9, v0
	v_and_b32_e32 v10, 2, v0
	s_waitcnt vmcnt(1)
	v_cvt_f32_f16_e32 v2, v2
	v_cvt_f64_f32_e32 v[2:3], v2
	v_mul_f64 v[2:3], v[2:3], s[0:1]
	v_cvt_f32_f64_e32 v2, v[2:3]
	v_cmp_gt_f32_e32 vcc, s2, v2
	v_cndmask_b32_e32 v1, 0, v1, vcc
	v_add_f32_e32 v1, v2, v1
	v_exp_f32_e32 v1, v1
	s_waitcnt vmcnt(0)
	v_cvt_f32_f16_e32 v3, v4
	v_cndmask_b32_e32 v4, 1.0, v5, vcc
	v_cmp_eq_u32_e32 vcc, 0, v11
	v_fma_f32 v1, v1, v4, 1.0
	v_rcp_f32_e32 v1, v1
	v_cndmask_b32_e32 v4, v6, v7, vcc
	v_and_or_b32 v5, v8, 48, v12
	v_lshlrev_b32_e32 v5, 2, v5
	v_add_f32_e32 v1, v1, v3
	v_cmp_o_f32_e32 vcc, v1, v1
	v_cndmask_b32_e32 v1, v6, v1, vcc
	v_add_f32_e32 v3, 0xff800000, v1
	ds_bpermute_b32 v3, v5, v3
	v_and_b32_e32 v5, 1, v9
	v_cmp_eq_u32_e64 s[0:1], 0, v10
	v_cmp_eq_u32_e32 vcc, 0, v5
	v_cndmask_b32_e64 v2, v6, v7, s[0:1]
	v_cndmask_b32_e32 v5, v6, v7, vcc
	s_waitcnt lgkmcnt(0)
	v_mov_b32_dpp v6, v3 quad_perm:[1,0,3,2] row_mask:0xf bank_mask:0xf bound_ctrl:1
	v_med3_f32 v5, v3, v6, v5
	v_lshlrev_b32_e32 v8, 2, v12
	s_nop 0
	v_mov_b32_dpp v6, v5 quad_perm:[2,3,0,1] row_mask:0xf bank_mask:0xf bound_ctrl:1
	v_med3_f32 v2, v5, v6, v2
	s_nop 1
	v_mov_b32_dpp v5, v2 quad_perm:[1,0,3,2] row_mask:0xf bank_mask:0xf bound_ctrl:1
	v_med3_f32 v2, v2, v5, v4
	ds_bpermute_b32 v2, v8, v2 offset:12
	v_lshl_add_u32 v4, v0, 2, 0
	ds_write_b32 v4, v1
	s_waitcnt lgkmcnt(1)
	v_cmp_gt_f32_e32 vcc, v3, v2
	v_cndmask_b32_e64 v1, 0, 1, vcc
	v_cmp_eq_f32_e64 s[0:1], v3, v2
	v_cndmask_b32_e64 v4, 0, 1, s[0:1]
	v_mov_b32_dpp v1, v1 row_shr:1 row_mask:0xf bank_mask:0xf bound_ctrl:1
	v_cmp_ge_f32_e64 s[2:3], v3, v2
	v_addc_co_u32_e64 v3, s[4:5], 0, v1, vcc
	v_mov_b32_dpp v2, v4 row_shr:1 row_mask:0xf bank_mask:0xf bound_ctrl:1
	s_nop 0
	v_mov_b32_dpp v3, v3 row_shr:2 row_mask:0xf bank_mask:0xf bound_ctrl:1
	v_addc_co_u32_e64 v4, s[4:5], 0, v2, s[0:1]
	v_addc_co_u32_e32 v1, vcc, v3, v1, vcc
	v_readlane_b32 s4, v1, 3
	v_mov_b32_e32 v3, s4
	v_addc_co_u32_e64 v2, vcc, v3, v2, s[0:1]
	s_nop 1
	v_add_u32_dpp v2, v4, v2 row_shr:2 row_mask:0xf bank_mask:0xf bound_ctrl:1
	v_cndmask_b32_e64 v1, v1, v2, s[0:1]
	v_cmp_ge_i32_e32 vcc, s8, v1
	s_and_b64 s[0:1], s[2:3], vcc
	v_cmp_gt_u32_e32 vcc, 4, v0
	s_and_b64 s[2:3], vcc, s[0:1]
	s_and_saveexec_b64 s[0:1], s[2:3]
	s_cbranch_execz .LBB218_2
; %bb.1:
	s_lshl_b32 s2, s7, 2
	s_add_i32 s2, s2, 0
	v_lshl_add_u32 v1, v1, 2, s2
	ds_write_b32 v1, v0 offset:12
.LBB218_2:
	s_or_b64 exec, exec, s[0:1]
	s_waitcnt lgkmcnt(0)
	s_barrier
	s_endpgm
	.section	.rodata,"a",@progbits
	.p2align	6, 0x0
	.amdhsa_kernel _ZN5aiter28grouped_topk_opt_sort_kernelIN3c104HalfEDv1_fLi4ELb1ELb1ELb0EEEvPT_PKS4_PfPimiiiif
		.amdhsa_group_segment_fixed_size 0
		.amdhsa_private_segment_fixed_size 0
		.amdhsa_kernarg_size 60
		.amdhsa_user_sgpr_count 6
		.amdhsa_user_sgpr_private_segment_buffer 1
		.amdhsa_user_sgpr_dispatch_ptr 0
		.amdhsa_user_sgpr_queue_ptr 0
		.amdhsa_user_sgpr_kernarg_segment_ptr 1
		.amdhsa_user_sgpr_dispatch_id 0
		.amdhsa_user_sgpr_flat_scratch_init 0
		.amdhsa_user_sgpr_kernarg_preload_length 0
		.amdhsa_user_sgpr_kernarg_preload_offset 0
		.amdhsa_user_sgpr_private_segment_size 0
		.amdhsa_uses_dynamic_stack 0
		.amdhsa_system_sgpr_private_segment_wavefront_offset 0
		.amdhsa_system_sgpr_workgroup_id_x 1
		.amdhsa_system_sgpr_workgroup_id_y 0
		.amdhsa_system_sgpr_workgroup_id_z 0
		.amdhsa_system_sgpr_workgroup_info 0
		.amdhsa_system_vgpr_workitem_id 0
		.amdhsa_next_free_vgpr 13
		.amdhsa_next_free_sgpr 9
		.amdhsa_accum_offset 16
		.amdhsa_reserve_vcc 1
		.amdhsa_reserve_flat_scratch 0
		.amdhsa_float_round_mode_32 0
		.amdhsa_float_round_mode_16_64 0
		.amdhsa_float_denorm_mode_32 3
		.amdhsa_float_denorm_mode_16_64 3
		.amdhsa_dx10_clamp 1
		.amdhsa_ieee_mode 1
		.amdhsa_fp16_overflow 0
		.amdhsa_tg_split 0
		.amdhsa_exception_fp_ieee_invalid_op 0
		.amdhsa_exception_fp_denorm_src 0
		.amdhsa_exception_fp_ieee_div_zero 0
		.amdhsa_exception_fp_ieee_overflow 0
		.amdhsa_exception_fp_ieee_underflow 0
		.amdhsa_exception_fp_ieee_inexact 0
		.amdhsa_exception_int_div_zero 0
	.end_amdhsa_kernel
	.section	.text._ZN5aiter28grouped_topk_opt_sort_kernelIN3c104HalfEDv1_fLi4ELb1ELb1ELb0EEEvPT_PKS4_PfPimiiiif,"axG",@progbits,_ZN5aiter28grouped_topk_opt_sort_kernelIN3c104HalfEDv1_fLi4ELb1ELb1ELb0EEEvPT_PKS4_PfPimiiiif,comdat
.Lfunc_end218:
	.size	_ZN5aiter28grouped_topk_opt_sort_kernelIN3c104HalfEDv1_fLi4ELb1ELb1ELb0EEEvPT_PKS4_PfPimiiiif, .Lfunc_end218-_ZN5aiter28grouped_topk_opt_sort_kernelIN3c104HalfEDv1_fLi4ELb1ELb1ELb0EEEvPT_PKS4_PfPimiiiif
                                        ; -- End function
	.section	.AMDGPU.csdata,"",@progbits
; Kernel info:
; codeLenInByte = 584
; NumSgprs: 13
; NumVgprs: 13
; NumAgprs: 0
; TotalNumVgprs: 13
; ScratchSize: 0
; MemoryBound: 0
; FloatMode: 240
; IeeeMode: 1
; LDSByteSize: 0 bytes/workgroup (compile time only)
; SGPRBlocks: 1
; VGPRBlocks: 1
; NumSGPRsForWavesPerEU: 13
; NumVGPRsForWavesPerEU: 13
; AccumOffset: 16
; Occupancy: 8
; WaveLimiterHint : 0
; COMPUTE_PGM_RSRC2:SCRATCH_EN: 0
; COMPUTE_PGM_RSRC2:USER_SGPR: 6
; COMPUTE_PGM_RSRC2:TRAP_HANDLER: 0
; COMPUTE_PGM_RSRC2:TGID_X_EN: 1
; COMPUTE_PGM_RSRC2:TGID_Y_EN: 0
; COMPUTE_PGM_RSRC2:TGID_Z_EN: 0
; COMPUTE_PGM_RSRC2:TIDIG_COMP_CNT: 0
; COMPUTE_PGM_RSRC3_GFX90A:ACCUM_OFFSET: 3
; COMPUTE_PGM_RSRC3_GFX90A:TG_SPLIT: 0
	.section	.text._ZN5aiter28grouped_topk_opt_sort_kernelIN3c108BFloat16EDv1_fLi4ELb1ELb1ELb0EEEvPT_PKS4_PfPimiiiif,"axG",@progbits,_ZN5aiter28grouped_topk_opt_sort_kernelIN3c108BFloat16EDv1_fLi4ELb1ELb1ELb0EEEvPT_PKS4_PfPimiiiif,comdat
	.protected	_ZN5aiter28grouped_topk_opt_sort_kernelIN3c108BFloat16EDv1_fLi4ELb1ELb1ELb0EEEvPT_PKS4_PfPimiiiif ; -- Begin function _ZN5aiter28grouped_topk_opt_sort_kernelIN3c108BFloat16EDv1_fLi4ELb1ELb1ELb0EEEvPT_PKS4_PfPimiiiif
	.globl	_ZN5aiter28grouped_topk_opt_sort_kernelIN3c108BFloat16EDv1_fLi4ELb1ELb1ELb0EEEvPT_PKS4_PfPimiiiif
	.p2align	8
	.type	_ZN5aiter28grouped_topk_opt_sort_kernelIN3c108BFloat16EDv1_fLi4ELb1ELb1ELb0EEEvPT_PKS4_PfPimiiiif,@function
_ZN5aiter28grouped_topk_opt_sort_kernelIN3c108BFloat16EDv1_fLi4ELb1ELb1ELb0EEEvPT_PKS4_PfPimiiiif: ; @_ZN5aiter28grouped_topk_opt_sort_kernelIN3c108BFloat16EDv1_fLi4ELb1ELb1ELb0EEEvPT_PKS4_PfPimiiiif
; %bb.0:
	s_load_dword s7, s[4:5], 0x28
	s_load_dwordx4 s[0:3], s[4:5], 0x0
	s_load_dword s8, s[4:5], 0x30
	v_lshlrev_b32_e32 v1, 1, v0
	v_mbcnt_lo_u32_b32 v3, -1, 0
	s_waitcnt lgkmcnt(0)
	s_mul_i32 s4, s6, s7
	s_ashr_i32 s5, s4, 31
	s_lshl_b64 s[4:5], s[4:5], 1
	s_add_u32 s0, s0, s4
	s_addc_u32 s1, s1, s5
	global_load_ushort v2, v1, s[0:1]
	global_load_ushort v4, v1, s[2:3]
	s_mov_b32 s0, 0x652b82fe
	v_mbcnt_hi_u32_b32 v3, -1, v3
	s_mov_b32 s1, 0xbff71547
	v_and_b32_e32 v12, 64, v3
	s_mov_b32 s2, 0xc2fc0000
	v_mov_b32_e32 v1, 0x42800000
	v_mov_b32_e32 v5, 0x1f800000
	v_and_b32_e32 v11, 1, v0
	v_mov_b32_e32 v6, 0xff800000
	v_mov_b32_e32 v7, 0x7f800000
	v_lshlrev_b32_e32 v8, 4, v0
	v_lshrrev_b32_e32 v9, 1, v0
	v_xor_b32_e32 v9, v9, v0
	v_and_b32_e32 v10, 2, v0
	s_waitcnt vmcnt(1)
	v_cvt_f64_u32_e32 v[2:3], v2
	v_mul_f64 v[2:3], v[2:3], s[0:1]
	v_cvt_f32_f64_e32 v2, v[2:3]
	v_cmp_gt_f32_e32 vcc, s2, v2
	v_cndmask_b32_e32 v1, 0, v1, vcc
	v_add_f32_e32 v1, v2, v1
	v_exp_f32_e32 v1, v1
	s_waitcnt vmcnt(0)
	v_cvt_f32_u32_e32 v3, v4
	v_cndmask_b32_e32 v4, 1.0, v5, vcc
	v_cmp_eq_u32_e32 vcc, 0, v11
	v_fma_f32 v1, v1, v4, 1.0
	v_rcp_f32_e32 v1, v1
	v_cndmask_b32_e32 v4, v6, v7, vcc
	v_and_or_b32 v5, v8, 48, v12
	v_lshlrev_b32_e32 v5, 2, v5
	v_add_f32_e32 v1, v1, v3
	v_cmp_o_f32_e32 vcc, v1, v1
	v_cndmask_b32_e32 v1, v6, v1, vcc
	v_add_f32_e32 v3, 0xff800000, v1
	ds_bpermute_b32 v3, v5, v3
	v_and_b32_e32 v5, 1, v9
	v_cmp_eq_u32_e64 s[0:1], 0, v10
	v_cmp_eq_u32_e32 vcc, 0, v5
	v_cndmask_b32_e64 v2, v6, v7, s[0:1]
	v_cndmask_b32_e32 v5, v6, v7, vcc
	s_waitcnt lgkmcnt(0)
	v_mov_b32_dpp v6, v3 quad_perm:[1,0,3,2] row_mask:0xf bank_mask:0xf bound_ctrl:1
	v_med3_f32 v5, v3, v6, v5
	v_lshlrev_b32_e32 v8, 2, v12
	s_nop 0
	v_mov_b32_dpp v6, v5 quad_perm:[2,3,0,1] row_mask:0xf bank_mask:0xf bound_ctrl:1
	v_med3_f32 v2, v5, v6, v2
	s_nop 1
	v_mov_b32_dpp v5, v2 quad_perm:[1,0,3,2] row_mask:0xf bank_mask:0xf bound_ctrl:1
	v_med3_f32 v2, v2, v5, v4
	ds_bpermute_b32 v2, v8, v2 offset:12
	v_lshl_add_u32 v4, v0, 2, 0
	ds_write_b32 v4, v1
	s_waitcnt lgkmcnt(1)
	v_cmp_gt_f32_e32 vcc, v3, v2
	v_cndmask_b32_e64 v1, 0, 1, vcc
	v_cmp_eq_f32_e64 s[0:1], v3, v2
	v_cndmask_b32_e64 v4, 0, 1, s[0:1]
	v_mov_b32_dpp v1, v1 row_shr:1 row_mask:0xf bank_mask:0xf bound_ctrl:1
	v_cmp_ge_f32_e64 s[2:3], v3, v2
	v_addc_co_u32_e64 v3, s[4:5], 0, v1, vcc
	v_mov_b32_dpp v2, v4 row_shr:1 row_mask:0xf bank_mask:0xf bound_ctrl:1
	s_nop 0
	v_mov_b32_dpp v3, v3 row_shr:2 row_mask:0xf bank_mask:0xf bound_ctrl:1
	v_addc_co_u32_e64 v4, s[4:5], 0, v2, s[0:1]
	v_addc_co_u32_e32 v1, vcc, v3, v1, vcc
	v_readlane_b32 s4, v1, 3
	v_mov_b32_e32 v3, s4
	v_addc_co_u32_e64 v2, vcc, v3, v2, s[0:1]
	s_nop 1
	v_add_u32_dpp v2, v4, v2 row_shr:2 row_mask:0xf bank_mask:0xf bound_ctrl:1
	v_cndmask_b32_e64 v1, v1, v2, s[0:1]
	v_cmp_ge_i32_e32 vcc, s8, v1
	s_and_b64 s[0:1], s[2:3], vcc
	v_cmp_gt_u32_e32 vcc, 4, v0
	s_and_b64 s[2:3], vcc, s[0:1]
	s_and_saveexec_b64 s[0:1], s[2:3]
	s_cbranch_execz .LBB219_2
; %bb.1:
	s_lshl_b32 s2, s7, 2
	s_add_i32 s2, s2, 0
	v_lshl_add_u32 v1, v1, 2, s2
	ds_write_b32 v1, v0 offset:12
.LBB219_2:
	s_or_b64 exec, exec, s[0:1]
	s_waitcnt lgkmcnt(0)
	s_barrier
	s_endpgm
	.section	.rodata,"a",@progbits
	.p2align	6, 0x0
	.amdhsa_kernel _ZN5aiter28grouped_topk_opt_sort_kernelIN3c108BFloat16EDv1_fLi4ELb1ELb1ELb0EEEvPT_PKS4_PfPimiiiif
		.amdhsa_group_segment_fixed_size 0
		.amdhsa_private_segment_fixed_size 0
		.amdhsa_kernarg_size 60
		.amdhsa_user_sgpr_count 6
		.amdhsa_user_sgpr_private_segment_buffer 1
		.amdhsa_user_sgpr_dispatch_ptr 0
		.amdhsa_user_sgpr_queue_ptr 0
		.amdhsa_user_sgpr_kernarg_segment_ptr 1
		.amdhsa_user_sgpr_dispatch_id 0
		.amdhsa_user_sgpr_flat_scratch_init 0
		.amdhsa_user_sgpr_kernarg_preload_length 0
		.amdhsa_user_sgpr_kernarg_preload_offset 0
		.amdhsa_user_sgpr_private_segment_size 0
		.amdhsa_uses_dynamic_stack 0
		.amdhsa_system_sgpr_private_segment_wavefront_offset 0
		.amdhsa_system_sgpr_workgroup_id_x 1
		.amdhsa_system_sgpr_workgroup_id_y 0
		.amdhsa_system_sgpr_workgroup_id_z 0
		.amdhsa_system_sgpr_workgroup_info 0
		.amdhsa_system_vgpr_workitem_id 0
		.amdhsa_next_free_vgpr 13
		.amdhsa_next_free_sgpr 9
		.amdhsa_accum_offset 16
		.amdhsa_reserve_vcc 1
		.amdhsa_reserve_flat_scratch 0
		.amdhsa_float_round_mode_32 0
		.amdhsa_float_round_mode_16_64 0
		.amdhsa_float_denorm_mode_32 3
		.amdhsa_float_denorm_mode_16_64 3
		.amdhsa_dx10_clamp 1
		.amdhsa_ieee_mode 1
		.amdhsa_fp16_overflow 0
		.amdhsa_tg_split 0
		.amdhsa_exception_fp_ieee_invalid_op 0
		.amdhsa_exception_fp_denorm_src 0
		.amdhsa_exception_fp_ieee_div_zero 0
		.amdhsa_exception_fp_ieee_overflow 0
		.amdhsa_exception_fp_ieee_underflow 0
		.amdhsa_exception_fp_ieee_inexact 0
		.amdhsa_exception_int_div_zero 0
	.end_amdhsa_kernel
	.section	.text._ZN5aiter28grouped_topk_opt_sort_kernelIN3c108BFloat16EDv1_fLi4ELb1ELb1ELb0EEEvPT_PKS4_PfPimiiiif,"axG",@progbits,_ZN5aiter28grouped_topk_opt_sort_kernelIN3c108BFloat16EDv1_fLi4ELb1ELb1ELb0EEEvPT_PKS4_PfPimiiiif,comdat
.Lfunc_end219:
	.size	_ZN5aiter28grouped_topk_opt_sort_kernelIN3c108BFloat16EDv1_fLi4ELb1ELb1ELb0EEEvPT_PKS4_PfPimiiiif, .Lfunc_end219-_ZN5aiter28grouped_topk_opt_sort_kernelIN3c108BFloat16EDv1_fLi4ELb1ELb1ELb0EEEvPT_PKS4_PfPimiiiif
                                        ; -- End function
	.section	.AMDGPU.csdata,"",@progbits
; Kernel info:
; codeLenInByte = 580
; NumSgprs: 13
; NumVgprs: 13
; NumAgprs: 0
; TotalNumVgprs: 13
; ScratchSize: 0
; MemoryBound: 0
; FloatMode: 240
; IeeeMode: 1
; LDSByteSize: 0 bytes/workgroup (compile time only)
; SGPRBlocks: 1
; VGPRBlocks: 1
; NumSGPRsForWavesPerEU: 13
; NumVGPRsForWavesPerEU: 13
; AccumOffset: 16
; Occupancy: 8
; WaveLimiterHint : 0
; COMPUTE_PGM_RSRC2:SCRATCH_EN: 0
; COMPUTE_PGM_RSRC2:USER_SGPR: 6
; COMPUTE_PGM_RSRC2:TRAP_HANDLER: 0
; COMPUTE_PGM_RSRC2:TGID_X_EN: 1
; COMPUTE_PGM_RSRC2:TGID_Y_EN: 0
; COMPUTE_PGM_RSRC2:TGID_Z_EN: 0
; COMPUTE_PGM_RSRC2:TIDIG_COMP_CNT: 0
; COMPUTE_PGM_RSRC3_GFX90A:ACCUM_OFFSET: 3
; COMPUTE_PGM_RSRC3_GFX90A:TG_SPLIT: 0
	.section	.text._ZN5aiter19grouped_topk_kernelIfDv1_fLi4ELb1ELb1ELb0EEEvPT_PKS2_PfPimiiiif,"axG",@progbits,_ZN5aiter19grouped_topk_kernelIfDv1_fLi4ELb1ELb1ELb0EEEvPT_PKS2_PfPimiiiif,comdat
	.protected	_ZN5aiter19grouped_topk_kernelIfDv1_fLi4ELb1ELb1ELb0EEEvPT_PKS2_PfPimiiiif ; -- Begin function _ZN5aiter19grouped_topk_kernelIfDv1_fLi4ELb1ELb1ELb0EEEvPT_PKS2_PfPimiiiif
	.globl	_ZN5aiter19grouped_topk_kernelIfDv1_fLi4ELb1ELb1ELb0EEEvPT_PKS2_PfPimiiiif
	.p2align	8
	.type	_ZN5aiter19grouped_topk_kernelIfDv1_fLi4ELb1ELb1ELb0EEEvPT_PKS2_PfPimiiiif,@function
_ZN5aiter19grouped_topk_kernelIfDv1_fLi4ELb1ELb1ELb0EEEvPT_PKS2_PfPimiiiif: ; @_ZN5aiter19grouped_topk_kernelIfDv1_fLi4ELb1ELb1ELb0EEEvPT_PKS2_PfPimiiiif
; %bb.0:
	s_load_dwordx4 s[12:15], s[4:5], 0x28
	s_load_dwordx4 s[16:19], s[4:5], 0x8
	s_load_dwordx2 s[10:11], s[4:5], 0x18
	v_lshl_add_u32 v1, v0, 2, 0
	s_waitcnt lgkmcnt(0)
	v_cmp_gt_i32_e64 s[0:1], s12, v0
	s_and_saveexec_b64 s[2:3], s[0:1]
	s_cbranch_execz .LBB220_3
; %bb.1:
	s_load_dwordx2 s[8:9], s[4:5], 0x0
	s_load_dword s15, s[4:5], 0x4c
	s_mul_i32 s20, s6, s12
	s_ashr_i32 s21, s20, 31
	s_lshl_b64 s[20:21], s[20:21], 2
	s_waitcnt lgkmcnt(0)
	s_add_u32 s7, s8, s20
	s_addc_u32 s21, s9, s21
	s_and_b32 s15, s15, 0xffff
	v_lshl_add_u32 v4, v0, 2, 0
	s_lshl_b32 s20, s15, 2
	s_mov_b64 s[8:9], 0
	v_mov_b32_e32 v5, s21
	v_mov_b32_e32 v6, s17
	s_mov_b32 s21, 0xbfb8aa3b
	s_mov_b32 s22, 0x42ce8ed0
	;; [unrolled: 1-line block ×3, first 2 shown]
	v_mov_b32_e32 v7, 0x7f800000
	v_mov_b32_e32 v2, v0
.LBB220_2:                              ; =>This Inner Loop Header: Depth=1
	v_ashrrev_i32_e32 v3, 31, v2
	v_lshlrev_b64 v[8:9], 2, v[2:3]
	v_add_co_u32_e32 v10, vcc, s7, v8
	v_addc_co_u32_e32 v11, vcc, v5, v9, vcc
	global_load_dword v3, v[10:11], off
	v_add_co_u32_e32 v8, vcc, s16, v8
	v_addc_co_u32_e32 v9, vcc, v6, v9, vcc
	global_load_dword v8, v[8:9], off
	v_add_u32_e32 v2, s15, v2
	v_cmp_le_i32_e32 vcc, s12, v2
	s_or_b64 s[8:9], vcc, s[8:9]
	s_waitcnt vmcnt(1)
	v_mul_f32_e32 v9, 0xbfb8aa3b, v3
	v_fma_f32 v10, v3, s21, -v9
	v_rndne_f32_e32 v11, v9
	v_fmac_f32_e32 v10, 0xb2a5705f, v3
	v_sub_f32_e32 v9, v9, v11
	v_add_f32_e32 v9, v9, v10
	v_cvt_i32_f32_e32 v11, v11
	v_exp_f32_e32 v9, v9
	v_cmp_nlt_f32_e32 vcc, s22, v3
	v_ldexp_f32 v9, v9, v11
	v_cndmask_b32_e32 v9, 0, v9, vcc
	v_cmp_ngt_f32_e32 vcc, s23, v3
	v_cndmask_b32_e32 v3, v7, v9, vcc
	v_add_f32_e32 v3, 1.0, v3
	v_div_scale_f32 v9, s[24:25], v3, v3, 1.0
	v_rcp_f32_e32 v10, v9
	v_div_scale_f32 v11, vcc, 1.0, v3, 1.0
	v_fma_f32 v12, -v9, v10, 1.0
	v_fmac_f32_e32 v10, v12, v10
	v_mul_f32_e32 v12, v11, v10
	v_fma_f32 v13, -v9, v12, v11
	v_fmac_f32_e32 v12, v13, v10
	v_fma_f32 v9, -v9, v12, v11
	v_div_fmas_f32 v9, v9, v10, v12
	v_div_fixup_f32 v3, v9, v3, 1.0
	s_waitcnt vmcnt(0)
	v_add_f32_e32 v3, v8, v3
	ds_write_b32 v4, v3
	v_add_u32_e32 v4, s20, v4
	s_andn2_b64 exec, exec, s[8:9]
	s_cbranch_execnz .LBB220_2
.LBB220_3:
	s_or_b64 exec, exec, s[2:3]
	s_ashr_i32 s2, s12, 31
	s_lshr_b32 s2, s2, 30
	s_add_i32 s2, s12, s2
	s_ashr_i32 s15, s2, 2
	s_lshl_b32 s2, s12, 2
	s_add_i32 s7, s2, 0
	v_cmp_gt_u32_e32 vcc, 64, v0
	s_waitcnt lgkmcnt(0)
	s_barrier
	s_and_saveexec_b64 s[20:21], vcc
	s_cbranch_execz .LBB220_12
; %bb.4:
	s_load_dword s8, s[4:5], 0x4c
	v_lshrrev_b32_e32 v3, 4, v0
	v_and_b32_e32 v2, 15, v0
	v_mul_lo_u32 v4, s15, v3
	v_lshlrev_b32_e32 v4, 2, v4
	s_waitcnt lgkmcnt(0)
	s_bfe_u32 s28, s8, 0xc0004
	v_lshlrev_b32_e32 v5, 2, v2
	s_mul_i32 s8, s15, s28
	v_cmp_gt_i32_e32 vcc, s15, v2
	v_cmp_eq_u32_e64 s[2:3], 0, v2
	v_add3_u32 v4, v4, v5, 0
	s_lshl_b32 s29, s8, 2
	s_mov_b64 s[22:23], 0
	s_branch .LBB220_6
.LBB220_5:                              ;   in Loop: Header=BB220_6 Depth=1
	s_or_b64 exec, exec, s[8:9]
	v_add_u32_e32 v3, s28, v3
	v_cmp_lt_u32_e64 s[8:9], 3, v3
	s_or_b64 s[22:23], s[8:9], s[22:23]
	v_add_u32_e32 v4, s29, v4
	s_andn2_b64 exec, exec, s[22:23]
	s_cbranch_execz .LBB220_12
.LBB220_6:                              ; =>This Loop Header: Depth=1
                                        ;     Child Loop BB220_8 Depth 2
	v_mov_b32_e32 v5, 0xff800000
	v_mov_b32_e32 v6, 0xff800000
	s_and_saveexec_b64 s[24:25], vcc
	s_cbranch_execz .LBB220_10
; %bb.7:                                ;   in Loop: Header=BB220_6 Depth=1
	s_mov_b64 s[26:27], 0
	v_mov_b32_e32 v5, 0xff800000
	v_mov_b32_e32 v7, v4
	;; [unrolled: 1-line block ×4, first 2 shown]
.LBB220_8:                              ;   Parent Loop BB220_6 Depth=1
                                        ; =>  This Inner Loop Header: Depth=2
	ds_read_b32 v9, v7
	v_add_u32_e32 v8, 16, v8
	v_max_f32_e32 v6, v6, v6
	v_cmp_le_i32_e64 s[8:9], s15, v8
	v_max_f32_e32 v10, v5, v5
	s_waitcnt lgkmcnt(0)
	v_max_f32_e32 v11, v9, v9
	s_or_b64 s[26:27], s[8:9], s[26:27]
	v_max_f32_e32 v6, v11, v6
	v_cmp_gt_f32_e64 s[8:9], v9, v5
	v_add_u32_e32 v7, 64, v7
	v_cndmask_b32_e64 v6, v6, v5, s[8:9]
	v_max_f32_e32 v5, v11, v10
	s_andn2_b64 exec, exec, s[26:27]
	s_cbranch_execnz .LBB220_8
; %bb.9:                                ;   in Loop: Header=BB220_6 Depth=1
	s_or_b64 exec, exec, s[26:27]
.LBB220_10:                             ;   in Loop: Header=BB220_6 Depth=1
	s_or_b64 exec, exec, s[24:25]
	s_and_saveexec_b64 s[8:9], s[2:3]
	s_cbranch_execz .LBB220_5
; %bb.11:                               ;   in Loop: Header=BB220_6 Depth=1
	v_lshl_add_u32 v7, v3, 2, s7
	v_add_f32_e32 v5, v6, v5
	ds_write_b32 v7, v5
	s_branch .LBB220_5
.LBB220_12:
	s_or_b64 exec, exec, s[20:21]
	s_cmp_lt_i32 s14, 1
	s_waitcnt lgkmcnt(0)
	s_barrier
	s_cbranch_scc1 .LBB220_15
; %bb.13:
	v_mov_b32_e32 v2, s7
	s_mov_b32 s2, 0xff800000
	v_mov_b32_e32 v3, 0xff800000
.LBB220_14:                             ; =>This Inner Loop Header: Depth=1
	ds_read2_b32 v[4:5], v2 offset1:1
	ds_read2_b32 v[6:7], v2 offset0:2 offset1:3
	s_waitcnt lgkmcnt(1)
	v_cmp_nlg_f32_e32 vcc, s2, v4
	v_cndmask_b32_e64 v8, 0, 1, vcc
	v_cmp_lg_f32_e32 vcc, s2, v4
	v_cndmask_b32_e32 v4, v3, v4, vcc
	v_readfirstlane_b32 s3, v8
	v_cmp_gt_f32_e32 vcc, v5, v4
	s_lshl_b32 s3, s3, 2
	v_cndmask_b32_e32 v4, v4, v5, vcc
	s_and_b64 s[8:9], vcc, exec
	s_waitcnt lgkmcnt(0)
	v_cmp_gt_f32_e32 vcc, v6, v4
	v_cndmask_b32_e32 v4, v4, v6, vcc
	s_cselect_b32 s3, 1, s3
	s_and_b64 s[8:9], vcc, exec
	v_cmp_ngt_f32_e32 vcc, v7, v4
	s_cselect_b32 s3, 2, s3
	s_and_b64 s[8:9], vcc, exec
	s_cselect_b32 s3, s3, 3
	s_lshl_b32 s3, s3, 2
	s_add_i32 s3, s7, s3
	s_add_i32 s14, s14, -1
	v_mov_b32_e32 v4, s3
	s_cmp_lg_u32 s14, 0
	ds_write_b32 v4, v3
	s_cbranch_scc1 .LBB220_14
.LBB220_15:
	s_and_saveexec_b64 s[2:3], s[0:1]
	s_cbranch_execz .LBB220_20
; %bb.16:
	s_abs_i32 s20, s15
	v_cvt_f32_u32_e32 v3, s20
	s_load_dword s14, s[4:5], 0x4c
	s_ashr_i32 s21, s15, 31
	s_sub_i32 s15, 0, s20
	v_rcp_iflag_f32_e32 v4, v3
	v_lshl_add_u32 v2, v0, 2, 0
	s_waitcnt lgkmcnt(0)
	s_and_b32 s23, s14, 0xffff
	s_mov_b64 s[8:9], 0
	v_mul_f32_e32 v4, 0x4f7ffffe, v4
	v_cvt_u32_f32_e32 v4, v4
	s_mov_b32 s22, 0xff800000
	v_mov_b32_e32 v3, 0xff800000
	s_lshl_b32 s24, s23, 2
	v_mul_lo_u32 v5, s15, v4
	v_mul_hi_u32 v5, v4, v5
	v_add_u32_e32 v4, v4, v5
	v_mov_b32_e32 v5, v0
	s_branch .LBB220_18
.LBB220_17:                             ;   in Loop: Header=BB220_18 Depth=1
	s_or_b64 exec, exec, s[14:15]
	v_add_u32_e32 v5, s23, v5
	v_cmp_le_i32_e32 vcc, s12, v5
	s_or_b64 s[8:9], vcc, s[8:9]
	v_add_u32_e32 v2, s24, v2
	s_andn2_b64 exec, exec, s[8:9]
	s_cbranch_execz .LBB220_20
.LBB220_18:                             ; =>This Inner Loop Header: Depth=1
	v_sub_u32_e32 v7, 0, v5
	v_max_i32_e32 v7, v5, v7
	v_mul_hi_u32 v8, v7, v4
	v_mul_lo_u32 v9, v8, s20
	v_sub_u32_e32 v7, v7, v9
	v_add_u32_e32 v9, 1, v8
	v_cmp_le_u32_e32 vcc, s20, v7
	v_cndmask_b32_e32 v8, v8, v9, vcc
	v_subrev_u32_e32 v9, s20, v7
	v_cndmask_b32_e32 v7, v7, v9, vcc
	v_ashrrev_i32_e32 v6, 31, v5
	v_add_u32_e32 v9, 1, v8
	v_cmp_le_u32_e32 vcc, s20, v7
	v_xor_b32_e32 v6, s21, v6
	v_cndmask_b32_e32 v7, v8, v9, vcc
	v_xor_b32_e32 v7, v7, v6
	v_sub_u32_e32 v6, v7, v6
	v_lshl_add_u32 v6, v6, 2, s7
	ds_read_b32 v6, v6
	s_waitcnt lgkmcnt(0)
	v_cmp_neq_f32_e32 vcc, s22, v6
	s_and_saveexec_b64 s[14:15], vcc
	s_cbranch_execz .LBB220_17
; %bb.19:                               ;   in Loop: Header=BB220_18 Depth=1
	ds_write_b32 v2, v3
	s_branch .LBB220_17
.LBB220_20:
	s_or_b64 exec, exec, s[2:3]
	s_cmp_lt_i32 s13, 1
	s_waitcnt lgkmcnt(0)
	s_barrier
	s_cbranch_scc1 .LBB220_27
; %bb.21:
	s_add_u32 s2, s4, 64
	s_addc_u32 s3, s5, 0
	s_mov_b32 s7, 0
	v_mov_b32_e32 v3, 0
	v_mov_b32_e32 v5, 0xff800000
                                        ; implicit-def: $vgpr4
                                        ; implicit-def: $vgpr2
	s_branch .LBB220_23
.LBB220_22:                             ;   in Loop: Header=BB220_23 Depth=1
	s_or_b64 exec, exec, s[8:9]
	v_mov_b32_dpp v9, v7 quad_perm:[1,0,3,2] row_mask:0xf bank_mask:0xf
	v_cmp_lt_f32_e32 vcc, v7, v9
	v_cndmask_b32_e32 v7, v7, v9, vcc
	v_mov_b32_dpp v8, v6 quad_perm:[1,0,3,2] row_mask:0xf bank_mask:0xf
	v_cndmask_b32_e32 v6, v6, v8, vcc
	v_mov_b32_dpp v9, v7 quad_perm:[2,3,0,1] row_mask:0xf bank_mask:0xf
	v_cmp_gt_f32_e32 vcc, v9, v7
	v_cndmask_b32_e32 v7, v7, v9, vcc
	v_mov_b32_dpp v8, v6 quad_perm:[2,3,0,1] row_mask:0xf bank_mask:0xf
	v_cndmask_b32_e32 v6, v6, v8, vcc
	v_mov_b32_dpp v9, v7 row_half_mirror row_mask:0xf bank_mask:0xf
	v_cmp_gt_f32_e32 vcc, v9, v7
	v_cndmask_b32_e32 v7, v7, v9, vcc
	v_mov_b32_dpp v8, v6 row_half_mirror row_mask:0xf bank_mask:0xf
	v_cndmask_b32_e32 v6, v6, v8, vcc
	v_mov_b32_dpp v9, v7 row_mirror row_mask:0xf bank_mask:0xf
	v_cmp_gt_f32_e32 vcc, v9, v7
	v_cndmask_b32_e32 v7, v7, v9, vcc
	v_mov_b32_dpp v8, v6 row_mirror row_mask:0xf bank_mask:0xf
	v_cndmask_b32_e32 v6, v6, v8, vcc
	v_mov_b32_dpp v9, v7 row_bcast:15 row_mask:0xf bank_mask:0xf
	v_cmp_gt_f32_e32 vcc, v9, v7
	v_mov_b32_dpp v8, v6 row_bcast:15 row_mask:0xf bank_mask:0xf
	v_cndmask_b32_e32 v7, v7, v9, vcc
	v_cndmask_b32_e32 v6, v6, v8, vcc
	s_nop 0
	v_mov_b32_dpp v9, v7 row_bcast:31 row_mask:0xf bank_mask:0xf
	v_mov_b32_dpp v8, v6 row_bcast:31 row_mask:0xf bank_mask:0xf
	v_cmp_gt_f32_e32 vcc, v9, v7
	v_cndmask_b32_e32 v6, v6, v8, vcc
	v_readlane_b32 s8, v6, 63
	s_ashr_i32 s9, s8, 31
	s_lshl_b64 s[14:15], s[8:9], 2
	s_add_u32 s14, s16, s14
	s_addc_u32 s15, s17, s15
	s_load_dword s9, s[14:15], 0x0
	v_cndmask_b32_e32 v6, v7, v9, vcc
	v_readlane_b32 s14, v6, 63
	v_cmp_eq_u32_e32 vcc, s7, v0
	s_add_i32 s7, s7, 1
	s_waitcnt lgkmcnt(0)
	v_mov_b32_e32 v6, s9
	s_lshl_b32 s9, s8, 2
	s_add_i32 s9, s9, 0
	v_mov_b32_e32 v7, s9
	v_sub_f32_e32 v6, s14, v6
	ds_write_b32 v7, v5
	v_mov_b32_e32 v7, s8
	v_cndmask_b32_e32 v2, v2, v7, vcc
	v_cndmask_b32_e32 v4, v4, v6, vcc
	s_cmp_eq_u32 s7, s13
	v_add_f32_e32 v3, v3, v6
	s_cbranch_scc1 .LBB220_28
.LBB220_23:                             ; =>This Loop Header: Depth=1
                                        ;     Child Loop BB220_25 Depth 2
	v_mov_b32_e32 v6, s7
	v_mov_b32_e32 v7, 0xff800000
	s_and_saveexec_b64 s[8:9], s[0:1]
	s_cbranch_execz .LBB220_22
; %bb.24:                               ;   in Loop: Header=BB220_23 Depth=1
	s_load_dword s20, s[2:3], 0xc
	s_mov_b64 s[14:15], 0
	v_mov_b32_e32 v6, s7
	v_mov_b32_e32 v7, 0xff800000
	;; [unrolled: 1-line block ×3, first 2 shown]
	s_waitcnt lgkmcnt(0)
	s_and_b32 s20, s20, 0xffff
	s_lshl_b32 s21, s20, 2
	v_mov_b32_e32 v9, v0
.LBB220_25:                             ;   Parent Loop BB220_23 Depth=1
                                        ; =>  This Inner Loop Header: Depth=2
	ds_read_b32 v10, v8
	v_add_u32_e32 v8, s21, v8
	s_waitcnt lgkmcnt(0)
	v_cmp_gt_f32_e32 vcc, v10, v7
	v_cndmask_b32_e32 v6, v6, v9, vcc
	v_add_u32_e32 v9, s20, v9
	v_cndmask_b32_e32 v7, v7, v10, vcc
	v_cmp_le_i32_e32 vcc, s12, v9
	s_or_b64 s[14:15], vcc, s[14:15]
	s_andn2_b64 exec, exec, s[14:15]
	s_cbranch_execnz .LBB220_25
; %bb.26:                               ;   in Loop: Header=BB220_23 Depth=1
	s_or_b64 exec, exec, s[14:15]
	s_branch .LBB220_22
.LBB220_27:
	v_mov_b32_e32 v3, 0
                                        ; implicit-def: $vgpr4
                                        ; implicit-def: $vgpr2
.LBB220_28:
	v_cmp_gt_i32_e32 vcc, s13, v0
	s_and_saveexec_b64 s[0:1], vcc
	s_cbranch_execz .LBB220_31
; %bb.29:
	s_load_dword s7, s[4:5], 0x38
	s_load_dwordx2 s[0:1], s[4:5], 0x20
	s_load_dword s8, s[4:5], 0x4c
	s_waitcnt lgkmcnt(0)
	v_div_scale_f32 v1, s[2:3], v3, v3, s7
	v_rcp_f32_e32 v5, v1
	v_div_scale_f32 v6, vcc, s7, v3, s7
	s_ashr_i32 s2, s6, 31
	v_fma_f32 v7, -v1, v5, 1.0
	v_fmac_f32_e32 v5, v7, v5
	v_mul_f32_e32 v7, v6, v5
	v_fma_f32 v8, -v1, v7, v6
	v_fmac_f32_e32 v7, v8, v5
	v_fma_f32 v1, -v1, v7, v6
	s_mul_i32 s1, s6, s1
	s_mul_hi_u32 s3, s6, s0
	v_div_fmas_f32 v1, v1, v5, v7
	s_add_i32 s1, s3, s1
	s_mul_i32 s2, s2, s0
	v_div_fixup_f32 v1, v1, v3, s7
	s_add_i32 s4, s1, s2
	v_mul_f32_e32 v1, v1, v4
	s_mul_i32 s2, s6, s0
	s_and_b32 s3, s8, 0xffff
	s_mov_b64 s[0:1], 0
	v_mov_b32_e32 v3, s4
	v_mov_b32_e32 v4, s19
	;; [unrolled: 1-line block ×3, first 2 shown]
.LBB220_30:                             ; =>This Inner Loop Header: Depth=1
	v_ashrrev_i32_e32 v7, 31, v0
	v_add_co_u32_e32 v6, vcc, s2, v0
	v_addc_co_u32_e32 v7, vcc, v3, v7, vcc
	v_add_u32_e32 v0, s3, v0
	v_cmp_le_i32_e32 vcc, s13, v0
	v_lshlrev_b64 v[6:7], 2, v[6:7]
	s_or_b64 s[0:1], vcc, s[0:1]
	v_add_co_u32_e32 v8, vcc, s18, v6
	v_addc_co_u32_e32 v9, vcc, v4, v7, vcc
	v_add_co_u32_e32 v6, vcc, s10, v6
	v_addc_co_u32_e32 v7, vcc, v5, v7, vcc
	global_store_dword v[8:9], v1, off
	global_store_dword v[6:7], v2, off
	s_andn2_b64 exec, exec, s[0:1]
	s_cbranch_execnz .LBB220_30
.LBB220_31:
	s_endpgm
	.section	.rodata,"a",@progbits
	.p2align	6, 0x0
	.amdhsa_kernel _ZN5aiter19grouped_topk_kernelIfDv1_fLi4ELb1ELb1ELb0EEEvPT_PKS2_PfPimiiiif
		.amdhsa_group_segment_fixed_size 0
		.amdhsa_private_segment_fixed_size 0
		.amdhsa_kernarg_size 320
		.amdhsa_user_sgpr_count 6
		.amdhsa_user_sgpr_private_segment_buffer 1
		.amdhsa_user_sgpr_dispatch_ptr 0
		.amdhsa_user_sgpr_queue_ptr 0
		.amdhsa_user_sgpr_kernarg_segment_ptr 1
		.amdhsa_user_sgpr_dispatch_id 0
		.amdhsa_user_sgpr_flat_scratch_init 0
		.amdhsa_user_sgpr_kernarg_preload_length 0
		.amdhsa_user_sgpr_kernarg_preload_offset 0
		.amdhsa_user_sgpr_private_segment_size 0
		.amdhsa_uses_dynamic_stack 0
		.amdhsa_system_sgpr_private_segment_wavefront_offset 0
		.amdhsa_system_sgpr_workgroup_id_x 1
		.amdhsa_system_sgpr_workgroup_id_y 0
		.amdhsa_system_sgpr_workgroup_id_z 0
		.amdhsa_system_sgpr_workgroup_info 0
		.amdhsa_system_vgpr_workitem_id 0
		.amdhsa_next_free_vgpr 14
		.amdhsa_next_free_sgpr 30
		.amdhsa_accum_offset 16
		.amdhsa_reserve_vcc 1
		.amdhsa_reserve_flat_scratch 0
		.amdhsa_float_round_mode_32 0
		.amdhsa_float_round_mode_16_64 0
		.amdhsa_float_denorm_mode_32 3
		.amdhsa_float_denorm_mode_16_64 3
		.amdhsa_dx10_clamp 1
		.amdhsa_ieee_mode 1
		.amdhsa_fp16_overflow 0
		.amdhsa_tg_split 0
		.amdhsa_exception_fp_ieee_invalid_op 0
		.amdhsa_exception_fp_denorm_src 0
		.amdhsa_exception_fp_ieee_div_zero 0
		.amdhsa_exception_fp_ieee_overflow 0
		.amdhsa_exception_fp_ieee_underflow 0
		.amdhsa_exception_fp_ieee_inexact 0
		.amdhsa_exception_int_div_zero 0
	.end_amdhsa_kernel
	.section	.text._ZN5aiter19grouped_topk_kernelIfDv1_fLi4ELb1ELb1ELb0EEEvPT_PKS2_PfPimiiiif,"axG",@progbits,_ZN5aiter19grouped_topk_kernelIfDv1_fLi4ELb1ELb1ELb0EEEvPT_PKS2_PfPimiiiif,comdat
.Lfunc_end220:
	.size	_ZN5aiter19grouped_topk_kernelIfDv1_fLi4ELb1ELb1ELb0EEEvPT_PKS2_PfPimiiiif, .Lfunc_end220-_ZN5aiter19grouped_topk_kernelIfDv1_fLi4ELb1ELb1ELb0EEEvPT_PKS2_PfPimiiiif
                                        ; -- End function
	.section	.AMDGPU.csdata,"",@progbits
; Kernel info:
; codeLenInByte = 1856
; NumSgprs: 34
; NumVgprs: 14
; NumAgprs: 0
; TotalNumVgprs: 14
; ScratchSize: 0
; MemoryBound: 0
; FloatMode: 240
; IeeeMode: 1
; LDSByteSize: 0 bytes/workgroup (compile time only)
; SGPRBlocks: 4
; VGPRBlocks: 1
; NumSGPRsForWavesPerEU: 34
; NumVGPRsForWavesPerEU: 14
; AccumOffset: 16
; Occupancy: 8
; WaveLimiterHint : 0
; COMPUTE_PGM_RSRC2:SCRATCH_EN: 0
; COMPUTE_PGM_RSRC2:USER_SGPR: 6
; COMPUTE_PGM_RSRC2:TRAP_HANDLER: 0
; COMPUTE_PGM_RSRC2:TGID_X_EN: 1
; COMPUTE_PGM_RSRC2:TGID_Y_EN: 0
; COMPUTE_PGM_RSRC2:TGID_Z_EN: 0
; COMPUTE_PGM_RSRC2:TIDIG_COMP_CNT: 0
; COMPUTE_PGM_RSRC3_GFX90A:ACCUM_OFFSET: 3
; COMPUTE_PGM_RSRC3_GFX90A:TG_SPLIT: 0
	.section	.text._ZN5aiter19grouped_topk_kernelIN3c104HalfEDv1_fLi4ELb1ELb1ELb0EEEvPT_PKS4_PfPimiiiif,"axG",@progbits,_ZN5aiter19grouped_topk_kernelIN3c104HalfEDv1_fLi4ELb1ELb1ELb0EEEvPT_PKS4_PfPimiiiif,comdat
	.protected	_ZN5aiter19grouped_topk_kernelIN3c104HalfEDv1_fLi4ELb1ELb1ELb0EEEvPT_PKS4_PfPimiiiif ; -- Begin function _ZN5aiter19grouped_topk_kernelIN3c104HalfEDv1_fLi4ELb1ELb1ELb0EEEvPT_PKS4_PfPimiiiif
	.globl	_ZN5aiter19grouped_topk_kernelIN3c104HalfEDv1_fLi4ELb1ELb1ELb0EEEvPT_PKS4_PfPimiiiif
	.p2align	8
	.type	_ZN5aiter19grouped_topk_kernelIN3c104HalfEDv1_fLi4ELb1ELb1ELb0EEEvPT_PKS4_PfPimiiiif,@function
_ZN5aiter19grouped_topk_kernelIN3c104HalfEDv1_fLi4ELb1ELb1ELb0EEEvPT_PKS4_PfPimiiiif: ; @_ZN5aiter19grouped_topk_kernelIN3c104HalfEDv1_fLi4ELb1ELb1ELb0EEEvPT_PKS4_PfPimiiiif
; %bb.0:
	s_load_dwordx4 s[12:15], s[4:5], 0x28
	s_load_dwordx4 s[16:19], s[4:5], 0x8
	s_load_dwordx2 s[10:11], s[4:5], 0x18
	v_lshl_add_u32 v1, v0, 2, 0
	s_waitcnt lgkmcnt(0)
	v_cmp_gt_i32_e64 s[0:1], s12, v0
	s_and_saveexec_b64 s[2:3], s[0:1]
	s_cbranch_execz .LBB221_3
; %bb.1:
	s_load_dwordx2 s[8:9], s[4:5], 0x0
	s_load_dword s15, s[4:5], 0x4c
	s_mul_i32 s20, s6, s12
	s_ashr_i32 s21, s20, 31
	s_lshl_b64 s[20:21], s[20:21], 1
	s_waitcnt lgkmcnt(0)
	s_add_u32 s7, s8, s20
	s_addc_u32 s21, s9, s21
	s_and_b32 s15, s15, 0xffff
	v_lshl_add_u32 v4, v0, 2, 0
	s_lshl_b32 s20, s15, 2
	s_mov_b64 s[8:9], 0
	v_mov_b32_e32 v5, s21
	v_mov_b32_e32 v6, s17
	s_mov_b32 s21, 0x3fb8aa3b
	s_mov_b32 s22, 0x32a5705f
	;; [unrolled: 1-line block ×4, first 2 shown]
	v_mov_b32_e32 v7, 0x7f800000
	v_mov_b32_e32 v2, v0
.LBB221_2:                              ; =>This Inner Loop Header: Depth=1
	v_ashrrev_i32_e32 v3, 31, v2
	v_lshlrev_b64 v[8:9], 1, v[2:3]
	v_add_co_u32_e32 v10, vcc, s7, v8
	v_addc_co_u32_e32 v11, vcc, v5, v9, vcc
	v_add_co_u32_e32 v8, vcc, s16, v8
	v_addc_co_u32_e32 v9, vcc, v6, v9, vcc
	global_load_ushort v3, v[10:11], off
	global_load_ushort v12, v[8:9], off
	v_add_u32_e32 v2, s15, v2
	v_cmp_le_i32_e32 vcc, s12, v2
	s_or_b64 s[8:9], vcc, s[8:9]
	s_waitcnt vmcnt(1)
	v_cvt_f32_f16_e64 v8, -v3
	s_waitcnt vmcnt(0)
	v_cvt_f32_f16_e32 v9, v12
	v_mul_f32_e32 v10, 0x3fb8aa3b, v8
	v_fma_mix_f32 v11, -v3, s21, -v10 op_sel_hi:[1,0,0]
	v_rndne_f32_e32 v12, v10
	v_fma_mix_f32 v3, -v3, s22, v11 op_sel_hi:[1,0,0]
	v_sub_f32_e32 v10, v10, v12
	v_add_f32_e32 v3, v10, v3
	v_cvt_i32_f32_e32 v11, v12
	v_exp_f32_e32 v3, v3
	v_cmp_ngt_f32_e32 vcc, s23, v8
	v_ldexp_f32 v3, v3, v11
	v_cndmask_b32_e32 v3, 0, v3, vcc
	v_cmp_nlt_f32_e32 vcc, s24, v8
	v_cndmask_b32_e32 v3, v7, v3, vcc
	v_add_f32_e32 v3, 1.0, v3
	v_div_scale_f32 v8, s[26:27], v3, v3, 1.0
	v_rcp_f32_e32 v10, v8
	v_div_scale_f32 v11, vcc, 1.0, v3, 1.0
	v_fma_f32 v12, -v8, v10, 1.0
	v_fmac_f32_e32 v10, v12, v10
	v_mul_f32_e32 v12, v11, v10
	v_fma_f32 v13, -v8, v12, v11
	v_fmac_f32_e32 v12, v13, v10
	v_fma_f32 v8, -v8, v12, v11
	v_div_fmas_f32 v8, v8, v10, v12
	v_div_fixup_f32 v3, v8, v3, 1.0
	v_add_f32_e32 v3, v3, v9
	ds_write_b32 v4, v3
	v_add_u32_e32 v4, s20, v4
	s_andn2_b64 exec, exec, s[8:9]
	s_cbranch_execnz .LBB221_2
.LBB221_3:
	s_or_b64 exec, exec, s[2:3]
	s_ashr_i32 s2, s12, 31
	s_lshr_b32 s2, s2, 30
	s_add_i32 s2, s12, s2
	s_ashr_i32 s15, s2, 2
	s_lshl_b32 s2, s12, 2
	s_add_i32 s7, s2, 0
	v_cmp_gt_u32_e32 vcc, 64, v0
	s_waitcnt lgkmcnt(0)
	s_barrier
	s_and_saveexec_b64 s[20:21], vcc
	s_cbranch_execz .LBB221_12
; %bb.4:
	s_load_dword s8, s[4:5], 0x4c
	v_lshrrev_b32_e32 v3, 4, v0
	v_and_b32_e32 v2, 15, v0
	v_mul_lo_u32 v4, s15, v3
	v_lshlrev_b32_e32 v4, 2, v4
	s_waitcnt lgkmcnt(0)
	s_bfe_u32 s28, s8, 0xc0004
	v_lshlrev_b32_e32 v5, 2, v2
	s_mul_i32 s8, s15, s28
	v_cmp_gt_i32_e32 vcc, s15, v2
	v_cmp_eq_u32_e64 s[2:3], 0, v2
	v_add3_u32 v4, v4, v5, 0
	s_lshl_b32 s29, s8, 2
	s_mov_b64 s[22:23], 0
	s_branch .LBB221_6
.LBB221_5:                              ;   in Loop: Header=BB221_6 Depth=1
	s_or_b64 exec, exec, s[8:9]
	v_add_u32_e32 v3, s28, v3
	v_cmp_lt_u32_e64 s[8:9], 3, v3
	s_or_b64 s[22:23], s[8:9], s[22:23]
	v_add_u32_e32 v4, s29, v4
	s_andn2_b64 exec, exec, s[22:23]
	s_cbranch_execz .LBB221_12
.LBB221_6:                              ; =>This Loop Header: Depth=1
                                        ;     Child Loop BB221_8 Depth 2
	v_mov_b32_e32 v5, 0xff800000
	v_mov_b32_e32 v6, 0xff800000
	s_and_saveexec_b64 s[24:25], vcc
	s_cbranch_execz .LBB221_10
; %bb.7:                                ;   in Loop: Header=BB221_6 Depth=1
	s_mov_b64 s[26:27], 0
	v_mov_b32_e32 v5, 0xff800000
	v_mov_b32_e32 v7, v4
	;; [unrolled: 1-line block ×4, first 2 shown]
.LBB221_8:                              ;   Parent Loop BB221_6 Depth=1
                                        ; =>  This Inner Loop Header: Depth=2
	ds_read_b32 v9, v7
	v_add_u32_e32 v8, 16, v8
	v_max_f32_e32 v6, v6, v6
	v_cmp_le_i32_e64 s[8:9], s15, v8
	v_max_f32_e32 v10, v5, v5
	s_waitcnt lgkmcnt(0)
	v_max_f32_e32 v11, v9, v9
	s_or_b64 s[26:27], s[8:9], s[26:27]
	v_max_f32_e32 v6, v11, v6
	v_cmp_gt_f32_e64 s[8:9], v9, v5
	v_add_u32_e32 v7, 64, v7
	v_cndmask_b32_e64 v6, v6, v5, s[8:9]
	v_max_f32_e32 v5, v11, v10
	s_andn2_b64 exec, exec, s[26:27]
	s_cbranch_execnz .LBB221_8
; %bb.9:                                ;   in Loop: Header=BB221_6 Depth=1
	s_or_b64 exec, exec, s[26:27]
.LBB221_10:                             ;   in Loop: Header=BB221_6 Depth=1
	s_or_b64 exec, exec, s[24:25]
	s_and_saveexec_b64 s[8:9], s[2:3]
	s_cbranch_execz .LBB221_5
; %bb.11:                               ;   in Loop: Header=BB221_6 Depth=1
	v_lshl_add_u32 v7, v3, 2, s7
	v_add_f32_e32 v5, v6, v5
	ds_write_b32 v7, v5
	s_branch .LBB221_5
.LBB221_12:
	s_or_b64 exec, exec, s[20:21]
	s_cmp_lt_i32 s14, 1
	s_waitcnt lgkmcnt(0)
	s_barrier
	s_cbranch_scc1 .LBB221_15
; %bb.13:
	v_mov_b32_e32 v2, s7
	s_mov_b32 s2, 0xff800000
	v_mov_b32_e32 v3, 0xff800000
.LBB221_14:                             ; =>This Inner Loop Header: Depth=1
	ds_read2_b32 v[4:5], v2 offset1:1
	ds_read2_b32 v[6:7], v2 offset0:2 offset1:3
	s_waitcnt lgkmcnt(1)
	v_cmp_nlg_f32_e32 vcc, s2, v4
	v_cndmask_b32_e64 v8, 0, 1, vcc
	v_cmp_lg_f32_e32 vcc, s2, v4
	v_cndmask_b32_e32 v4, v3, v4, vcc
	v_readfirstlane_b32 s3, v8
	v_cmp_gt_f32_e32 vcc, v5, v4
	s_lshl_b32 s3, s3, 2
	v_cndmask_b32_e32 v4, v4, v5, vcc
	s_and_b64 s[8:9], vcc, exec
	s_waitcnt lgkmcnt(0)
	v_cmp_gt_f32_e32 vcc, v6, v4
	v_cndmask_b32_e32 v4, v4, v6, vcc
	s_cselect_b32 s3, 1, s3
	s_and_b64 s[8:9], vcc, exec
	v_cmp_ngt_f32_e32 vcc, v7, v4
	s_cselect_b32 s3, 2, s3
	s_and_b64 s[8:9], vcc, exec
	s_cselect_b32 s3, s3, 3
	s_lshl_b32 s3, s3, 2
	s_add_i32 s3, s7, s3
	s_add_i32 s14, s14, -1
	v_mov_b32_e32 v4, s3
	s_cmp_lg_u32 s14, 0
	ds_write_b32 v4, v3
	s_cbranch_scc1 .LBB221_14
.LBB221_15:
	s_and_saveexec_b64 s[2:3], s[0:1]
	s_cbranch_execz .LBB221_20
; %bb.16:
	s_abs_i32 s20, s15
	v_cvt_f32_u32_e32 v3, s20
	s_load_dword s14, s[4:5], 0x4c
	s_ashr_i32 s21, s15, 31
	s_sub_i32 s15, 0, s20
	v_rcp_iflag_f32_e32 v4, v3
	v_lshl_add_u32 v2, v0, 2, 0
	s_waitcnt lgkmcnt(0)
	s_and_b32 s23, s14, 0xffff
	s_mov_b64 s[8:9], 0
	v_mul_f32_e32 v4, 0x4f7ffffe, v4
	v_cvt_u32_f32_e32 v4, v4
	s_mov_b32 s22, 0xff800000
	v_mov_b32_e32 v3, 0xff800000
	s_lshl_b32 s24, s23, 2
	v_mul_lo_u32 v5, s15, v4
	v_mul_hi_u32 v5, v4, v5
	v_add_u32_e32 v4, v4, v5
	v_mov_b32_e32 v5, v0
	s_branch .LBB221_18
.LBB221_17:                             ;   in Loop: Header=BB221_18 Depth=1
	s_or_b64 exec, exec, s[14:15]
	v_add_u32_e32 v5, s23, v5
	v_cmp_le_i32_e32 vcc, s12, v5
	s_or_b64 s[8:9], vcc, s[8:9]
	v_add_u32_e32 v2, s24, v2
	s_andn2_b64 exec, exec, s[8:9]
	s_cbranch_execz .LBB221_20
.LBB221_18:                             ; =>This Inner Loop Header: Depth=1
	v_sub_u32_e32 v7, 0, v5
	v_max_i32_e32 v7, v5, v7
	v_mul_hi_u32 v8, v7, v4
	v_mul_lo_u32 v9, v8, s20
	v_sub_u32_e32 v7, v7, v9
	v_add_u32_e32 v9, 1, v8
	v_cmp_le_u32_e32 vcc, s20, v7
	v_cndmask_b32_e32 v8, v8, v9, vcc
	v_subrev_u32_e32 v9, s20, v7
	v_cndmask_b32_e32 v7, v7, v9, vcc
	v_ashrrev_i32_e32 v6, 31, v5
	v_add_u32_e32 v9, 1, v8
	v_cmp_le_u32_e32 vcc, s20, v7
	v_xor_b32_e32 v6, s21, v6
	v_cndmask_b32_e32 v7, v8, v9, vcc
	v_xor_b32_e32 v7, v7, v6
	v_sub_u32_e32 v6, v7, v6
	v_lshl_add_u32 v6, v6, 2, s7
	ds_read_b32 v6, v6
	s_waitcnt lgkmcnt(0)
	v_cmp_neq_f32_e32 vcc, s22, v6
	s_and_saveexec_b64 s[14:15], vcc
	s_cbranch_execz .LBB221_17
; %bb.19:                               ;   in Loop: Header=BB221_18 Depth=1
	ds_write_b32 v2, v3
	s_branch .LBB221_17
.LBB221_20:
	s_or_b64 exec, exec, s[2:3]
	s_cmp_lt_i32 s13, 1
	s_waitcnt lgkmcnt(0)
	s_barrier
	s_cbranch_scc1 .LBB221_27
; %bb.21:
	s_add_u32 s2, s4, 64
	s_addc_u32 s3, s5, 0
	s_mov_b32 s7, 0
	v_mov_b32_e32 v5, 0
	v_mov_b32_e32 v6, 0xff800000
	;; [unrolled: 1-line block ×3, first 2 shown]
                                        ; implicit-def: $vgpr3
                                        ; implicit-def: $vgpr2
	s_branch .LBB221_23
.LBB221_22:                             ;   in Loop: Header=BB221_23 Depth=1
	s_or_b64 exec, exec, s[8:9]
	v_mov_b32_dpp v10, v8 quad_perm:[1,0,3,2] row_mask:0xf bank_mask:0xf
	v_cmp_lt_f32_e32 vcc, v8, v10
	v_cndmask_b32_e32 v8, v8, v10, vcc
	v_mov_b32_dpp v9, v7 quad_perm:[1,0,3,2] row_mask:0xf bank_mask:0xf
	v_cndmask_b32_e32 v7, v7, v9, vcc
	v_mov_b32_dpp v10, v8 quad_perm:[2,3,0,1] row_mask:0xf bank_mask:0xf
	v_cmp_gt_f32_e32 vcc, v10, v8
	v_cndmask_b32_e32 v8, v8, v10, vcc
	v_mov_b32_dpp v9, v7 quad_perm:[2,3,0,1] row_mask:0xf bank_mask:0xf
	v_cndmask_b32_e32 v7, v7, v9, vcc
	v_mov_b32_dpp v10, v8 row_half_mirror row_mask:0xf bank_mask:0xf
	v_cmp_gt_f32_e32 vcc, v10, v8
	v_cndmask_b32_e32 v8, v8, v10, vcc
	v_mov_b32_dpp v9, v7 row_half_mirror row_mask:0xf bank_mask:0xf
	v_cndmask_b32_e32 v7, v7, v9, vcc
	v_mov_b32_dpp v10, v8 row_mirror row_mask:0xf bank_mask:0xf
	v_cmp_gt_f32_e32 vcc, v10, v8
	v_cndmask_b32_e32 v8, v8, v10, vcc
	v_mov_b32_dpp v9, v7 row_mirror row_mask:0xf bank_mask:0xf
	v_cndmask_b32_e32 v7, v7, v9, vcc
	v_mov_b32_dpp v10, v8 row_bcast:15 row_mask:0xf bank_mask:0xf
	v_cmp_gt_f32_e32 vcc, v10, v8
	v_mov_b32_dpp v9, v7 row_bcast:15 row_mask:0xf bank_mask:0xf
	v_cndmask_b32_e32 v8, v8, v10, vcc
	v_cndmask_b32_e32 v7, v7, v9, vcc
	s_nop 0
	v_mov_b32_dpp v10, v8 row_bcast:31 row_mask:0xf bank_mask:0xf
	v_mov_b32_dpp v9, v7 row_bcast:31 row_mask:0xf bank_mask:0xf
	v_cmp_gt_f32_e32 vcc, v10, v8
	v_cndmask_b32_e32 v7, v7, v9, vcc
	v_readlane_b32 s8, v7, 63
	s_ashr_i32 s9, s8, 31
	s_lshl_b64 s[14:15], s[8:9], 1
	s_add_u32 s14, s16, s14
	s_addc_u32 s15, s17, s15
	global_load_ushort v7, v5, s[14:15]
	v_cndmask_b32_e32 v8, v8, v10, vcc
	v_readlane_b32 s9, v8, 63
	v_mov_b32_e32 v8, s8
	s_lshl_b32 s8, s8, 2
	v_cmp_eq_u32_e32 vcc, s7, v0
	s_add_i32 s7, s7, 1
	s_add_i32 s8, s8, 0
	v_cndmask_b32_e32 v2, v2, v8, vcc
	v_mov_b32_e32 v8, s8
	s_cmp_eq_u32 s7, s13
	ds_write_b32 v8, v6
	s_waitcnt vmcnt(0)
	v_cvt_f32_f16_e32 v7, v7
	v_sub_f32_e32 v7, s9, v7
	v_cndmask_b32_e32 v3, v3, v7, vcc
	v_add_f32_e32 v4, v4, v7
	s_cbranch_scc1 .LBB221_28
.LBB221_23:                             ; =>This Loop Header: Depth=1
                                        ;     Child Loop BB221_25 Depth 2
	v_mov_b32_e32 v7, s7
	v_mov_b32_e32 v8, 0xff800000
	s_and_saveexec_b64 s[8:9], s[0:1]
	s_cbranch_execz .LBB221_22
; %bb.24:                               ;   in Loop: Header=BB221_23 Depth=1
	s_load_dword s20, s[2:3], 0xc
	s_mov_b64 s[14:15], 0
	v_mov_b32_e32 v7, s7
	v_mov_b32_e32 v8, 0xff800000
	;; [unrolled: 1-line block ×3, first 2 shown]
	s_waitcnt lgkmcnt(0)
	s_and_b32 s20, s20, 0xffff
	s_lshl_b32 s21, s20, 2
	v_mov_b32_e32 v10, v0
.LBB221_25:                             ;   Parent Loop BB221_23 Depth=1
                                        ; =>  This Inner Loop Header: Depth=2
	ds_read_b32 v11, v9
	v_add_u32_e32 v9, s21, v9
	s_waitcnt lgkmcnt(0)
	v_cmp_gt_f32_e32 vcc, v11, v8
	v_cndmask_b32_e32 v7, v7, v10, vcc
	v_add_u32_e32 v10, s20, v10
	v_cndmask_b32_e32 v8, v8, v11, vcc
	v_cmp_le_i32_e32 vcc, s12, v10
	s_or_b64 s[14:15], vcc, s[14:15]
	s_andn2_b64 exec, exec, s[14:15]
	s_cbranch_execnz .LBB221_25
; %bb.26:                               ;   in Loop: Header=BB221_23 Depth=1
	s_or_b64 exec, exec, s[14:15]
	s_branch .LBB221_22
.LBB221_27:
	v_mov_b32_e32 v4, 0
                                        ; implicit-def: $vgpr3
                                        ; implicit-def: $vgpr2
.LBB221_28:
	v_cmp_gt_i32_e32 vcc, s13, v0
	s_and_saveexec_b64 s[0:1], vcc
	s_cbranch_execz .LBB221_31
; %bb.29:
	s_load_dword s7, s[4:5], 0x38
	s_load_dwordx2 s[0:1], s[4:5], 0x20
	s_load_dword s8, s[4:5], 0x4c
	s_waitcnt lgkmcnt(0)
	v_div_scale_f32 v1, s[2:3], v4, v4, s7
	v_rcp_f32_e32 v5, v1
	v_div_scale_f32 v6, vcc, s7, v4, s7
	s_ashr_i32 s2, s6, 31
	v_fma_f32 v7, -v1, v5, 1.0
	v_fmac_f32_e32 v5, v7, v5
	v_mul_f32_e32 v7, v6, v5
	v_fma_f32 v8, -v1, v7, v6
	v_fmac_f32_e32 v7, v8, v5
	v_fma_f32 v1, -v1, v7, v6
	s_mul_i32 s1, s6, s1
	s_mul_hi_u32 s3, s6, s0
	v_div_fmas_f32 v1, v1, v5, v7
	s_add_i32 s1, s3, s1
	s_mul_i32 s2, s2, s0
	v_div_fixup_f32 v1, v1, v4, s7
	s_add_i32 s4, s1, s2
	v_mul_f32_e32 v1, v1, v3
	s_mul_i32 s2, s6, s0
	s_and_b32 s3, s8, 0xffff
	s_mov_b64 s[0:1], 0
	v_mov_b32_e32 v3, s4
	v_mov_b32_e32 v4, s19
	;; [unrolled: 1-line block ×3, first 2 shown]
.LBB221_30:                             ; =>This Inner Loop Header: Depth=1
	v_ashrrev_i32_e32 v7, 31, v0
	v_add_co_u32_e32 v6, vcc, s2, v0
	v_addc_co_u32_e32 v7, vcc, v3, v7, vcc
	v_add_u32_e32 v0, s3, v0
	v_cmp_le_i32_e32 vcc, s13, v0
	v_lshlrev_b64 v[6:7], 2, v[6:7]
	s_or_b64 s[0:1], vcc, s[0:1]
	v_add_co_u32_e32 v8, vcc, s18, v6
	v_addc_co_u32_e32 v9, vcc, v4, v7, vcc
	v_add_co_u32_e32 v6, vcc, s10, v6
	v_addc_co_u32_e32 v7, vcc, v5, v7, vcc
	global_store_dword v[8:9], v1, off
	global_store_dword v[6:7], v2, off
	s_andn2_b64 exec, exec, s[0:1]
	s_cbranch_execnz .LBB221_30
.LBB221_31:
	s_endpgm
	.section	.rodata,"a",@progbits
	.p2align	6, 0x0
	.amdhsa_kernel _ZN5aiter19grouped_topk_kernelIN3c104HalfEDv1_fLi4ELb1ELb1ELb0EEEvPT_PKS4_PfPimiiiif
		.amdhsa_group_segment_fixed_size 0
		.amdhsa_private_segment_fixed_size 0
		.amdhsa_kernarg_size 320
		.amdhsa_user_sgpr_count 6
		.amdhsa_user_sgpr_private_segment_buffer 1
		.amdhsa_user_sgpr_dispatch_ptr 0
		.amdhsa_user_sgpr_queue_ptr 0
		.amdhsa_user_sgpr_kernarg_segment_ptr 1
		.amdhsa_user_sgpr_dispatch_id 0
		.amdhsa_user_sgpr_flat_scratch_init 0
		.amdhsa_user_sgpr_kernarg_preload_length 0
		.amdhsa_user_sgpr_kernarg_preload_offset 0
		.amdhsa_user_sgpr_private_segment_size 0
		.amdhsa_uses_dynamic_stack 0
		.amdhsa_system_sgpr_private_segment_wavefront_offset 0
		.amdhsa_system_sgpr_workgroup_id_x 1
		.amdhsa_system_sgpr_workgroup_id_y 0
		.amdhsa_system_sgpr_workgroup_id_z 0
		.amdhsa_system_sgpr_workgroup_info 0
		.amdhsa_system_vgpr_workitem_id 0
		.amdhsa_next_free_vgpr 14
		.amdhsa_next_free_sgpr 30
		.amdhsa_accum_offset 16
		.amdhsa_reserve_vcc 1
		.amdhsa_reserve_flat_scratch 0
		.amdhsa_float_round_mode_32 0
		.amdhsa_float_round_mode_16_64 0
		.amdhsa_float_denorm_mode_32 3
		.amdhsa_float_denorm_mode_16_64 3
		.amdhsa_dx10_clamp 1
		.amdhsa_ieee_mode 1
		.amdhsa_fp16_overflow 0
		.amdhsa_tg_split 0
		.amdhsa_exception_fp_ieee_invalid_op 0
		.amdhsa_exception_fp_denorm_src 0
		.amdhsa_exception_fp_ieee_div_zero 0
		.amdhsa_exception_fp_ieee_overflow 0
		.amdhsa_exception_fp_ieee_underflow 0
		.amdhsa_exception_fp_ieee_inexact 0
		.amdhsa_exception_int_div_zero 0
	.end_amdhsa_kernel
	.section	.text._ZN5aiter19grouped_topk_kernelIN3c104HalfEDv1_fLi4ELb1ELb1ELb0EEEvPT_PKS4_PfPimiiiif,"axG",@progbits,_ZN5aiter19grouped_topk_kernelIN3c104HalfEDv1_fLi4ELb1ELb1ELb0EEEvPT_PKS4_PfPimiiiif,comdat
.Lfunc_end221:
	.size	_ZN5aiter19grouped_topk_kernelIN3c104HalfEDv1_fLi4ELb1ELb1ELb0EEEvPT_PKS4_PfPimiiiif, .Lfunc_end221-_ZN5aiter19grouped_topk_kernelIN3c104HalfEDv1_fLi4ELb1ELb1ELb0EEEvPT_PKS4_PfPimiiiif
                                        ; -- End function
	.section	.AMDGPU.csdata,"",@progbits
; Kernel info:
; codeLenInByte = 1880
; NumSgprs: 34
; NumVgprs: 14
; NumAgprs: 0
; TotalNumVgprs: 14
; ScratchSize: 0
; MemoryBound: 0
; FloatMode: 240
; IeeeMode: 1
; LDSByteSize: 0 bytes/workgroup (compile time only)
; SGPRBlocks: 4
; VGPRBlocks: 1
; NumSGPRsForWavesPerEU: 34
; NumVGPRsForWavesPerEU: 14
; AccumOffset: 16
; Occupancy: 8
; WaveLimiterHint : 0
; COMPUTE_PGM_RSRC2:SCRATCH_EN: 0
; COMPUTE_PGM_RSRC2:USER_SGPR: 6
; COMPUTE_PGM_RSRC2:TRAP_HANDLER: 0
; COMPUTE_PGM_RSRC2:TGID_X_EN: 1
; COMPUTE_PGM_RSRC2:TGID_Y_EN: 0
; COMPUTE_PGM_RSRC2:TGID_Z_EN: 0
; COMPUTE_PGM_RSRC2:TIDIG_COMP_CNT: 0
; COMPUTE_PGM_RSRC3_GFX90A:ACCUM_OFFSET: 3
; COMPUTE_PGM_RSRC3_GFX90A:TG_SPLIT: 0
	.section	.text._ZN5aiter19grouped_topk_kernelIN3c108BFloat16EDv1_fLi4ELb1ELb1ELb0EEEvPT_PKS4_PfPimiiiif,"axG",@progbits,_ZN5aiter19grouped_topk_kernelIN3c108BFloat16EDv1_fLi4ELb1ELb1ELb0EEEvPT_PKS4_PfPimiiiif,comdat
	.protected	_ZN5aiter19grouped_topk_kernelIN3c108BFloat16EDv1_fLi4ELb1ELb1ELb0EEEvPT_PKS4_PfPimiiiif ; -- Begin function _ZN5aiter19grouped_topk_kernelIN3c108BFloat16EDv1_fLi4ELb1ELb1ELb0EEEvPT_PKS4_PfPimiiiif
	.globl	_ZN5aiter19grouped_topk_kernelIN3c108BFloat16EDv1_fLi4ELb1ELb1ELb0EEEvPT_PKS4_PfPimiiiif
	.p2align	8
	.type	_ZN5aiter19grouped_topk_kernelIN3c108BFloat16EDv1_fLi4ELb1ELb1ELb0EEEvPT_PKS4_PfPimiiiif,@function
_ZN5aiter19grouped_topk_kernelIN3c108BFloat16EDv1_fLi4ELb1ELb1ELb0EEEvPT_PKS4_PfPimiiiif: ; @_ZN5aiter19grouped_topk_kernelIN3c108BFloat16EDv1_fLi4ELb1ELb1ELb0EEEvPT_PKS4_PfPimiiiif
; %bb.0:
	s_load_dwordx4 s[12:15], s[4:5], 0x28
	s_load_dwordx4 s[16:19], s[4:5], 0x8
	s_load_dwordx2 s[10:11], s[4:5], 0x18
	v_lshl_add_u32 v1, v0, 2, 0
	s_waitcnt lgkmcnt(0)
	v_cmp_gt_i32_e64 s[0:1], s12, v0
	s_and_saveexec_b64 s[2:3], s[0:1]
	s_cbranch_execz .LBB222_3
; %bb.1:
	s_load_dwordx2 s[8:9], s[4:5], 0x0
	s_load_dword s15, s[4:5], 0x4c
	s_mul_i32 s20, s6, s12
	s_ashr_i32 s21, s20, 31
	s_lshl_b64 s[20:21], s[20:21], 1
	s_waitcnt lgkmcnt(0)
	s_add_u32 s7, s8, s20
	s_addc_u32 s21, s9, s21
	s_and_b32 s15, s15, 0xffff
	v_lshl_add_u32 v4, v0, 2, 0
	s_lshl_b32 s20, s15, 2
	s_mov_b64 s[8:9], 0
	v_mov_b32_e32 v5, s21
	v_mov_b32_e32 v6, s17
	s_mov_b32 s21, 0xbfb8aa3b
	s_mov_b32 s22, 0x42ce8ed0
	;; [unrolled: 1-line block ×3, first 2 shown]
	v_mov_b32_e32 v7, 0x7f800000
	v_mov_b32_e32 v2, v0
.LBB222_2:                              ; =>This Inner Loop Header: Depth=1
	v_ashrrev_i32_e32 v3, 31, v2
	v_lshlrev_b64 v[8:9], 1, v[2:3]
	v_add_co_u32_e32 v10, vcc, s7, v8
	v_addc_co_u32_e32 v11, vcc, v5, v9, vcc
	v_add_co_u32_e32 v8, vcc, s16, v8
	v_addc_co_u32_e32 v9, vcc, v6, v9, vcc
	global_load_ushort v3, v[10:11], off
	global_load_ushort v12, v[8:9], off
	v_add_u32_e32 v2, s15, v2
	v_cmp_le_i32_e32 vcc, s12, v2
	s_or_b64 s[8:9], vcc, s[8:9]
	s_waitcnt vmcnt(1)
	v_cvt_f32_u32_e32 v3, v3
	s_waitcnt vmcnt(0)
	v_cvt_f32_u32_e32 v8, v12
	v_mul_f32_e32 v9, 0xbfb8aa3b, v3
	v_fma_f32 v10, v3, s21, -v9
	v_rndne_f32_e32 v11, v9
	v_fmac_f32_e32 v10, 0xb2a5705f, v3
	v_sub_f32_e32 v9, v9, v11
	v_add_f32_e32 v9, v9, v10
	v_cvt_i32_f32_e32 v11, v11
	v_exp_f32_e32 v9, v9
	v_cmp_nlt_f32_e32 vcc, s22, v3
	v_ldexp_f32 v9, v9, v11
	v_cndmask_b32_e32 v9, 0, v9, vcc
	v_cmp_ngt_f32_e32 vcc, s23, v3
	v_cndmask_b32_e32 v3, v7, v9, vcc
	v_add_f32_e32 v3, 1.0, v3
	v_div_scale_f32 v9, s[24:25], v3, v3, 1.0
	v_rcp_f32_e32 v10, v9
	v_div_scale_f32 v11, vcc, 1.0, v3, 1.0
	v_fma_f32 v12, -v9, v10, 1.0
	v_fmac_f32_e32 v10, v12, v10
	v_mul_f32_e32 v12, v11, v10
	v_fma_f32 v13, -v9, v12, v11
	v_fmac_f32_e32 v12, v13, v10
	v_fma_f32 v9, -v9, v12, v11
	v_div_fmas_f32 v9, v9, v10, v12
	v_div_fixup_f32 v3, v9, v3, 1.0
	v_add_f32_e32 v3, v3, v8
	ds_write_b32 v4, v3
	v_add_u32_e32 v4, s20, v4
	s_andn2_b64 exec, exec, s[8:9]
	s_cbranch_execnz .LBB222_2
.LBB222_3:
	s_or_b64 exec, exec, s[2:3]
	s_ashr_i32 s2, s12, 31
	s_lshr_b32 s2, s2, 30
	s_add_i32 s2, s12, s2
	s_ashr_i32 s15, s2, 2
	s_lshl_b32 s2, s12, 2
	s_add_i32 s7, s2, 0
	v_cmp_gt_u32_e32 vcc, 64, v0
	s_waitcnt lgkmcnt(0)
	s_barrier
	s_and_saveexec_b64 s[20:21], vcc
	s_cbranch_execz .LBB222_12
; %bb.4:
	s_load_dword s8, s[4:5], 0x4c
	v_lshrrev_b32_e32 v3, 4, v0
	v_and_b32_e32 v2, 15, v0
	v_mul_lo_u32 v4, s15, v3
	v_lshlrev_b32_e32 v4, 2, v4
	s_waitcnt lgkmcnt(0)
	s_bfe_u32 s28, s8, 0xc0004
	v_lshlrev_b32_e32 v5, 2, v2
	s_mul_i32 s8, s15, s28
	v_cmp_gt_i32_e32 vcc, s15, v2
	v_cmp_eq_u32_e64 s[2:3], 0, v2
	v_add3_u32 v4, v4, v5, 0
	s_lshl_b32 s29, s8, 2
	s_mov_b64 s[22:23], 0
	s_branch .LBB222_6
.LBB222_5:                              ;   in Loop: Header=BB222_6 Depth=1
	s_or_b64 exec, exec, s[8:9]
	v_add_u32_e32 v3, s28, v3
	v_cmp_lt_u32_e64 s[8:9], 3, v3
	s_or_b64 s[22:23], s[8:9], s[22:23]
	v_add_u32_e32 v4, s29, v4
	s_andn2_b64 exec, exec, s[22:23]
	s_cbranch_execz .LBB222_12
.LBB222_6:                              ; =>This Loop Header: Depth=1
                                        ;     Child Loop BB222_8 Depth 2
	v_mov_b32_e32 v5, 0xff800000
	v_mov_b32_e32 v6, 0xff800000
	s_and_saveexec_b64 s[24:25], vcc
	s_cbranch_execz .LBB222_10
; %bb.7:                                ;   in Loop: Header=BB222_6 Depth=1
	s_mov_b64 s[26:27], 0
	v_mov_b32_e32 v5, 0xff800000
	v_mov_b32_e32 v7, v4
	v_mov_b32_e32 v8, v2
	v_mov_b32_e32 v6, 0xff800000
.LBB222_8:                              ;   Parent Loop BB222_6 Depth=1
                                        ; =>  This Inner Loop Header: Depth=2
	ds_read_b32 v9, v7
	v_add_u32_e32 v8, 16, v8
	v_max_f32_e32 v6, v6, v6
	v_cmp_le_i32_e64 s[8:9], s15, v8
	v_max_f32_e32 v10, v5, v5
	s_waitcnt lgkmcnt(0)
	v_max_f32_e32 v11, v9, v9
	s_or_b64 s[26:27], s[8:9], s[26:27]
	v_max_f32_e32 v6, v11, v6
	v_cmp_gt_f32_e64 s[8:9], v9, v5
	v_add_u32_e32 v7, 64, v7
	v_cndmask_b32_e64 v6, v6, v5, s[8:9]
	v_max_f32_e32 v5, v11, v10
	s_andn2_b64 exec, exec, s[26:27]
	s_cbranch_execnz .LBB222_8
; %bb.9:                                ;   in Loop: Header=BB222_6 Depth=1
	s_or_b64 exec, exec, s[26:27]
.LBB222_10:                             ;   in Loop: Header=BB222_6 Depth=1
	s_or_b64 exec, exec, s[24:25]
	s_and_saveexec_b64 s[8:9], s[2:3]
	s_cbranch_execz .LBB222_5
; %bb.11:                               ;   in Loop: Header=BB222_6 Depth=1
	v_lshl_add_u32 v7, v3, 2, s7
	v_add_f32_e32 v5, v6, v5
	ds_write_b32 v7, v5
	s_branch .LBB222_5
.LBB222_12:
	s_or_b64 exec, exec, s[20:21]
	s_cmp_lt_i32 s14, 1
	s_waitcnt lgkmcnt(0)
	s_barrier
	s_cbranch_scc1 .LBB222_15
; %bb.13:
	v_mov_b32_e32 v2, s7
	s_mov_b32 s2, 0xff800000
	v_mov_b32_e32 v3, 0xff800000
.LBB222_14:                             ; =>This Inner Loop Header: Depth=1
	ds_read2_b32 v[4:5], v2 offset1:1
	ds_read2_b32 v[6:7], v2 offset0:2 offset1:3
	s_waitcnt lgkmcnt(1)
	v_cmp_nlg_f32_e32 vcc, s2, v4
	v_cndmask_b32_e64 v8, 0, 1, vcc
	v_cmp_lg_f32_e32 vcc, s2, v4
	v_cndmask_b32_e32 v4, v3, v4, vcc
	v_readfirstlane_b32 s3, v8
	v_cmp_gt_f32_e32 vcc, v5, v4
	s_lshl_b32 s3, s3, 2
	v_cndmask_b32_e32 v4, v4, v5, vcc
	s_and_b64 s[8:9], vcc, exec
	s_waitcnt lgkmcnt(0)
	v_cmp_gt_f32_e32 vcc, v6, v4
	v_cndmask_b32_e32 v4, v4, v6, vcc
	s_cselect_b32 s3, 1, s3
	s_and_b64 s[8:9], vcc, exec
	v_cmp_ngt_f32_e32 vcc, v7, v4
	s_cselect_b32 s3, 2, s3
	s_and_b64 s[8:9], vcc, exec
	s_cselect_b32 s3, s3, 3
	s_lshl_b32 s3, s3, 2
	s_add_i32 s3, s7, s3
	s_add_i32 s14, s14, -1
	v_mov_b32_e32 v4, s3
	s_cmp_lg_u32 s14, 0
	ds_write_b32 v4, v3
	s_cbranch_scc1 .LBB222_14
.LBB222_15:
	s_and_saveexec_b64 s[2:3], s[0:1]
	s_cbranch_execz .LBB222_20
; %bb.16:
	s_abs_i32 s20, s15
	v_cvt_f32_u32_e32 v3, s20
	s_load_dword s14, s[4:5], 0x4c
	s_ashr_i32 s21, s15, 31
	s_sub_i32 s15, 0, s20
	v_rcp_iflag_f32_e32 v4, v3
	v_lshl_add_u32 v2, v0, 2, 0
	s_waitcnt lgkmcnt(0)
	s_and_b32 s23, s14, 0xffff
	s_mov_b64 s[8:9], 0
	v_mul_f32_e32 v4, 0x4f7ffffe, v4
	v_cvt_u32_f32_e32 v4, v4
	s_mov_b32 s22, 0xff800000
	v_mov_b32_e32 v3, 0xff800000
	s_lshl_b32 s24, s23, 2
	v_mul_lo_u32 v5, s15, v4
	v_mul_hi_u32 v5, v4, v5
	v_add_u32_e32 v4, v4, v5
	v_mov_b32_e32 v5, v0
	s_branch .LBB222_18
.LBB222_17:                             ;   in Loop: Header=BB222_18 Depth=1
	s_or_b64 exec, exec, s[14:15]
	v_add_u32_e32 v5, s23, v5
	v_cmp_le_i32_e32 vcc, s12, v5
	s_or_b64 s[8:9], vcc, s[8:9]
	v_add_u32_e32 v2, s24, v2
	s_andn2_b64 exec, exec, s[8:9]
	s_cbranch_execz .LBB222_20
.LBB222_18:                             ; =>This Inner Loop Header: Depth=1
	v_sub_u32_e32 v7, 0, v5
	v_max_i32_e32 v7, v5, v7
	v_mul_hi_u32 v8, v7, v4
	v_mul_lo_u32 v9, v8, s20
	v_sub_u32_e32 v7, v7, v9
	v_add_u32_e32 v9, 1, v8
	v_cmp_le_u32_e32 vcc, s20, v7
	v_cndmask_b32_e32 v8, v8, v9, vcc
	v_subrev_u32_e32 v9, s20, v7
	v_cndmask_b32_e32 v7, v7, v9, vcc
	v_ashrrev_i32_e32 v6, 31, v5
	v_add_u32_e32 v9, 1, v8
	v_cmp_le_u32_e32 vcc, s20, v7
	v_xor_b32_e32 v6, s21, v6
	v_cndmask_b32_e32 v7, v8, v9, vcc
	v_xor_b32_e32 v7, v7, v6
	v_sub_u32_e32 v6, v7, v6
	v_lshl_add_u32 v6, v6, 2, s7
	ds_read_b32 v6, v6
	s_waitcnt lgkmcnt(0)
	v_cmp_neq_f32_e32 vcc, s22, v6
	s_and_saveexec_b64 s[14:15], vcc
	s_cbranch_execz .LBB222_17
; %bb.19:                               ;   in Loop: Header=BB222_18 Depth=1
	ds_write_b32 v2, v3
	s_branch .LBB222_17
.LBB222_20:
	s_or_b64 exec, exec, s[2:3]
	s_cmp_lt_i32 s13, 1
	s_waitcnt lgkmcnt(0)
	s_barrier
	s_cbranch_scc1 .LBB222_27
; %bb.21:
	s_add_u32 s2, s4, 64
	s_addc_u32 s3, s5, 0
	s_mov_b32 s7, 0
	v_mov_b32_e32 v5, 0
	v_mov_b32_e32 v6, 0xff800000
	;; [unrolled: 1-line block ×3, first 2 shown]
                                        ; implicit-def: $vgpr3
                                        ; implicit-def: $vgpr2
	s_branch .LBB222_23
.LBB222_22:                             ;   in Loop: Header=BB222_23 Depth=1
	s_or_b64 exec, exec, s[8:9]
	v_mov_b32_dpp v10, v8 quad_perm:[1,0,3,2] row_mask:0xf bank_mask:0xf
	v_cmp_lt_f32_e32 vcc, v8, v10
	v_cndmask_b32_e32 v8, v8, v10, vcc
	v_mov_b32_dpp v9, v7 quad_perm:[1,0,3,2] row_mask:0xf bank_mask:0xf
	v_cndmask_b32_e32 v7, v7, v9, vcc
	v_mov_b32_dpp v10, v8 quad_perm:[2,3,0,1] row_mask:0xf bank_mask:0xf
	v_cmp_gt_f32_e32 vcc, v10, v8
	v_cndmask_b32_e32 v8, v8, v10, vcc
	v_mov_b32_dpp v9, v7 quad_perm:[2,3,0,1] row_mask:0xf bank_mask:0xf
	v_cndmask_b32_e32 v7, v7, v9, vcc
	v_mov_b32_dpp v10, v8 row_half_mirror row_mask:0xf bank_mask:0xf
	v_cmp_gt_f32_e32 vcc, v10, v8
	v_cndmask_b32_e32 v8, v8, v10, vcc
	v_mov_b32_dpp v9, v7 row_half_mirror row_mask:0xf bank_mask:0xf
	v_cndmask_b32_e32 v7, v7, v9, vcc
	v_mov_b32_dpp v10, v8 row_mirror row_mask:0xf bank_mask:0xf
	v_cmp_gt_f32_e32 vcc, v10, v8
	v_cndmask_b32_e32 v8, v8, v10, vcc
	v_mov_b32_dpp v9, v7 row_mirror row_mask:0xf bank_mask:0xf
	v_cndmask_b32_e32 v7, v7, v9, vcc
	v_mov_b32_dpp v10, v8 row_bcast:15 row_mask:0xf bank_mask:0xf
	v_cmp_gt_f32_e32 vcc, v10, v8
	v_mov_b32_dpp v9, v7 row_bcast:15 row_mask:0xf bank_mask:0xf
	v_cndmask_b32_e32 v8, v8, v10, vcc
	v_cndmask_b32_e32 v7, v7, v9, vcc
	s_nop 0
	v_mov_b32_dpp v10, v8 row_bcast:31 row_mask:0xf bank_mask:0xf
	v_mov_b32_dpp v9, v7 row_bcast:31 row_mask:0xf bank_mask:0xf
	v_cmp_gt_f32_e32 vcc, v10, v8
	v_cndmask_b32_e32 v7, v7, v9, vcc
	v_readlane_b32 s8, v7, 63
	s_ashr_i32 s9, s8, 31
	s_lshl_b64 s[14:15], s[8:9], 1
	s_add_u32 s14, s16, s14
	s_addc_u32 s15, s17, s15
	global_load_ushort v7, v5, s[14:15]
	v_cndmask_b32_e32 v8, v8, v10, vcc
	v_readlane_b32 s9, v8, 63
	v_mov_b32_e32 v8, s8
	s_lshl_b32 s8, s8, 2
	v_cmp_eq_u32_e32 vcc, s7, v0
	s_add_i32 s8, s8, 0
	v_cndmask_b32_e32 v2, v2, v8, vcc
	v_mov_b32_e32 v8, s8
	ds_write_b32 v8, v6
	s_add_i32 s7, s7, 1
	s_cmp_eq_u32 s7, s13
	s_waitcnt vmcnt(0)
	v_and_b32_e32 v8, 0xff, v7
	v_lshlrev_b32_e32 v7, 16, v7
	v_lshlrev_b32_e32 v8, 16, v8
	v_and_b32_e32 v7, 0xff000000, v7
	v_or_b32_e32 v7, v8, v7
	v_sub_f32_e32 v7, s9, v7
	v_cndmask_b32_e32 v3, v3, v7, vcc
	v_add_f32_e32 v4, v4, v7
	s_cbranch_scc1 .LBB222_28
.LBB222_23:                             ; =>This Loop Header: Depth=1
                                        ;     Child Loop BB222_25 Depth 2
	v_mov_b32_e32 v7, s7
	v_mov_b32_e32 v8, 0xff800000
	s_and_saveexec_b64 s[8:9], s[0:1]
	s_cbranch_execz .LBB222_22
; %bb.24:                               ;   in Loop: Header=BB222_23 Depth=1
	s_load_dword s20, s[2:3], 0xc
	s_mov_b64 s[14:15], 0
	v_mov_b32_e32 v7, s7
	v_mov_b32_e32 v8, 0xff800000
	v_mov_b32_e32 v9, v1
	s_waitcnt lgkmcnt(0)
	s_and_b32 s20, s20, 0xffff
	s_lshl_b32 s21, s20, 2
	v_mov_b32_e32 v10, v0
.LBB222_25:                             ;   Parent Loop BB222_23 Depth=1
                                        ; =>  This Inner Loop Header: Depth=2
	ds_read_b32 v11, v9
	v_add_u32_e32 v9, s21, v9
	s_waitcnt lgkmcnt(0)
	v_cmp_gt_f32_e32 vcc, v11, v8
	v_cndmask_b32_e32 v7, v7, v10, vcc
	v_add_u32_e32 v10, s20, v10
	v_cndmask_b32_e32 v8, v8, v11, vcc
	v_cmp_le_i32_e32 vcc, s12, v10
	s_or_b64 s[14:15], vcc, s[14:15]
	s_andn2_b64 exec, exec, s[14:15]
	s_cbranch_execnz .LBB222_25
; %bb.26:                               ;   in Loop: Header=BB222_23 Depth=1
	s_or_b64 exec, exec, s[14:15]
	s_branch .LBB222_22
.LBB222_27:
	v_mov_b32_e32 v4, 0
                                        ; implicit-def: $vgpr3
                                        ; implicit-def: $vgpr2
.LBB222_28:
	v_cmp_gt_i32_e32 vcc, s13, v0
	s_and_saveexec_b64 s[0:1], vcc
	s_cbranch_execz .LBB222_31
; %bb.29:
	s_load_dword s7, s[4:5], 0x38
	s_load_dwordx2 s[0:1], s[4:5], 0x20
	s_load_dword s8, s[4:5], 0x4c
	s_waitcnt lgkmcnt(0)
	v_div_scale_f32 v1, s[2:3], v4, v4, s7
	v_rcp_f32_e32 v5, v1
	v_div_scale_f32 v6, vcc, s7, v4, s7
	s_ashr_i32 s2, s6, 31
	v_fma_f32 v7, -v1, v5, 1.0
	v_fmac_f32_e32 v5, v7, v5
	v_mul_f32_e32 v7, v6, v5
	v_fma_f32 v8, -v1, v7, v6
	v_fmac_f32_e32 v7, v8, v5
	v_fma_f32 v1, -v1, v7, v6
	s_mul_i32 s1, s6, s1
	s_mul_hi_u32 s3, s6, s0
	v_div_fmas_f32 v1, v1, v5, v7
	s_add_i32 s1, s3, s1
	s_mul_i32 s2, s2, s0
	v_div_fixup_f32 v1, v1, v4, s7
	s_add_i32 s4, s1, s2
	v_mul_f32_e32 v1, v1, v3
	s_mul_i32 s2, s6, s0
	s_and_b32 s3, s8, 0xffff
	s_mov_b64 s[0:1], 0
	v_mov_b32_e32 v3, s4
	v_mov_b32_e32 v4, s19
	;; [unrolled: 1-line block ×3, first 2 shown]
.LBB222_30:                             ; =>This Inner Loop Header: Depth=1
	v_ashrrev_i32_e32 v7, 31, v0
	v_add_co_u32_e32 v6, vcc, s2, v0
	v_addc_co_u32_e32 v7, vcc, v3, v7, vcc
	v_add_u32_e32 v0, s3, v0
	v_cmp_le_i32_e32 vcc, s13, v0
	v_lshlrev_b64 v[6:7], 2, v[6:7]
	s_or_b64 s[0:1], vcc, s[0:1]
	v_add_co_u32_e32 v8, vcc, s18, v6
	v_addc_co_u32_e32 v9, vcc, v4, v7, vcc
	v_add_co_u32_e32 v6, vcc, s10, v6
	v_addc_co_u32_e32 v7, vcc, v5, v7, vcc
	global_store_dword v[8:9], v1, off
	global_store_dword v[6:7], v2, off
	s_andn2_b64 exec, exec, s[0:1]
	s_cbranch_execnz .LBB222_30
.LBB222_31:
	s_endpgm
	.section	.rodata,"a",@progbits
	.p2align	6, 0x0
	.amdhsa_kernel _ZN5aiter19grouped_topk_kernelIN3c108BFloat16EDv1_fLi4ELb1ELb1ELb0EEEvPT_PKS4_PfPimiiiif
		.amdhsa_group_segment_fixed_size 0
		.amdhsa_private_segment_fixed_size 0
		.amdhsa_kernarg_size 320
		.amdhsa_user_sgpr_count 6
		.amdhsa_user_sgpr_private_segment_buffer 1
		.amdhsa_user_sgpr_dispatch_ptr 0
		.amdhsa_user_sgpr_queue_ptr 0
		.amdhsa_user_sgpr_kernarg_segment_ptr 1
		.amdhsa_user_sgpr_dispatch_id 0
		.amdhsa_user_sgpr_flat_scratch_init 0
		.amdhsa_user_sgpr_kernarg_preload_length 0
		.amdhsa_user_sgpr_kernarg_preload_offset 0
		.amdhsa_user_sgpr_private_segment_size 0
		.amdhsa_uses_dynamic_stack 0
		.amdhsa_system_sgpr_private_segment_wavefront_offset 0
		.amdhsa_system_sgpr_workgroup_id_x 1
		.amdhsa_system_sgpr_workgroup_id_y 0
		.amdhsa_system_sgpr_workgroup_id_z 0
		.amdhsa_system_sgpr_workgroup_info 0
		.amdhsa_system_vgpr_workitem_id 0
		.amdhsa_next_free_vgpr 14
		.amdhsa_next_free_sgpr 30
		.amdhsa_accum_offset 16
		.amdhsa_reserve_vcc 1
		.amdhsa_reserve_flat_scratch 0
		.amdhsa_float_round_mode_32 0
		.amdhsa_float_round_mode_16_64 0
		.amdhsa_float_denorm_mode_32 3
		.amdhsa_float_denorm_mode_16_64 3
		.amdhsa_dx10_clamp 1
		.amdhsa_ieee_mode 1
		.amdhsa_fp16_overflow 0
		.amdhsa_tg_split 0
		.amdhsa_exception_fp_ieee_invalid_op 0
		.amdhsa_exception_fp_denorm_src 0
		.amdhsa_exception_fp_ieee_div_zero 0
		.amdhsa_exception_fp_ieee_overflow 0
		.amdhsa_exception_fp_ieee_underflow 0
		.amdhsa_exception_fp_ieee_inexact 0
		.amdhsa_exception_int_div_zero 0
	.end_amdhsa_kernel
	.section	.text._ZN5aiter19grouped_topk_kernelIN3c108BFloat16EDv1_fLi4ELb1ELb1ELb0EEEvPT_PKS4_PfPimiiiif,"axG",@progbits,_ZN5aiter19grouped_topk_kernelIN3c108BFloat16EDv1_fLi4ELb1ELb1ELb0EEEvPT_PKS4_PfPimiiiif,comdat
.Lfunc_end222:
	.size	_ZN5aiter19grouped_topk_kernelIN3c108BFloat16EDv1_fLi4ELb1ELb1ELb0EEEvPT_PKS4_PfPimiiiif, .Lfunc_end222-_ZN5aiter19grouped_topk_kernelIN3c108BFloat16EDv1_fLi4ELb1ELb1ELb0EEEvPT_PKS4_PfPimiiiif
                                        ; -- End function
	.section	.AMDGPU.csdata,"",@progbits
; Kernel info:
; codeLenInByte = 1892
; NumSgprs: 34
; NumVgprs: 14
; NumAgprs: 0
; TotalNumVgprs: 14
; ScratchSize: 0
; MemoryBound: 0
; FloatMode: 240
; IeeeMode: 1
; LDSByteSize: 0 bytes/workgroup (compile time only)
; SGPRBlocks: 4
; VGPRBlocks: 1
; NumSGPRsForWavesPerEU: 34
; NumVGPRsForWavesPerEU: 14
; AccumOffset: 16
; Occupancy: 8
; WaveLimiterHint : 0
; COMPUTE_PGM_RSRC2:SCRATCH_EN: 0
; COMPUTE_PGM_RSRC2:USER_SGPR: 6
; COMPUTE_PGM_RSRC2:TRAP_HANDLER: 0
; COMPUTE_PGM_RSRC2:TGID_X_EN: 1
; COMPUTE_PGM_RSRC2:TGID_Y_EN: 0
; COMPUTE_PGM_RSRC2:TGID_Z_EN: 0
; COMPUTE_PGM_RSRC2:TIDIG_COMP_CNT: 0
; COMPUTE_PGM_RSRC3_GFX90A:ACCUM_OFFSET: 3
; COMPUTE_PGM_RSRC3_GFX90A:TG_SPLIT: 0
	.section	.text._ZN5aiter19grouped_topk_kernelIfDv1_fLi4ELb1ELb0ELb1EEEvPT_PKS2_PfPimiiiif,"axG",@progbits,_ZN5aiter19grouped_topk_kernelIfDv1_fLi4ELb1ELb0ELb1EEEvPT_PKS2_PfPimiiiif,comdat
	.protected	_ZN5aiter19grouped_topk_kernelIfDv1_fLi4ELb1ELb0ELb1EEEvPT_PKS2_PfPimiiiif ; -- Begin function _ZN5aiter19grouped_topk_kernelIfDv1_fLi4ELb1ELb0ELb1EEEvPT_PKS2_PfPimiiiif
	.globl	_ZN5aiter19grouped_topk_kernelIfDv1_fLi4ELb1ELb0ELb1EEEvPT_PKS2_PfPimiiiif
	.p2align	8
	.type	_ZN5aiter19grouped_topk_kernelIfDv1_fLi4ELb1ELb0ELb1EEEvPT_PKS2_PfPimiiiif,@function
_ZN5aiter19grouped_topk_kernelIfDv1_fLi4ELb1ELb0ELb1EEEvPT_PKS2_PfPimiiiif: ; @_ZN5aiter19grouped_topk_kernelIfDv1_fLi4ELb1ELb0ELb1EEEvPT_PKS2_PfPimiiiif
; %bb.0:
	s_load_dwordx4 s[8:11], s[4:5], 0x28
	s_load_dwordx4 s[12:15], s[4:5], 0x10
	v_mov_b32_e32 v2, 0xff800000
	v_lshl_add_u32 v1, v0, 2, 0
	s_waitcnt lgkmcnt(0)
	v_cmp_gt_i32_e64 s[0:1], s8, v0
	s_and_saveexec_b64 s[2:3], s[0:1]
	s_cbranch_execz .LBB223_4
; %bb.1:
	s_load_dword s11, s[4:5], 0x4c
	s_load_dwordx2 s[16:17], s[4:5], 0x0
	s_mul_i32 s7, s6, s8
	v_lshl_add_u32 v3, v0, 2, 0
	s_mov_b64 s[18:19], 0
	s_waitcnt lgkmcnt(0)
	s_and_b32 s11, s11, 0xffff
	s_lshl_b32 s20, s11, 2
	v_mov_b32_e32 v2, 0xff800000
	v_mov_b32_e32 v4, s17
	;; [unrolled: 1-line block ×3, first 2 shown]
.LBB223_2:                              ; =>This Inner Loop Header: Depth=1
	v_add_u32_e32 v6, s7, v5
	v_ashrrev_i32_e32 v7, 31, v6
	v_lshlrev_b64 v[6:7], 2, v[6:7]
	v_add_co_u32_e32 v6, vcc, s16, v6
	v_addc_co_u32_e32 v7, vcc, v4, v7, vcc
	global_load_dword v6, v[6:7], off
	v_add_u32_e32 v5, s11, v5
	v_cmp_le_i32_e32 vcc, s8, v5
	s_or_b64 s[18:19], vcc, s[18:19]
	s_waitcnt vmcnt(0)
	v_cmp_gt_f32_e32 vcc, v6, v2
	ds_write_b32 v3, v6
	v_cndmask_b32_e32 v2, v2, v6, vcc
	v_add_u32_e32 v3, s20, v3
	s_andn2_b64 exec, exec, s[18:19]
	s_cbranch_execnz .LBB223_2
; %bb.3:
	s_or_b64 exec, exec, s[18:19]
.LBB223_4:
	s_or_b64 exec, exec, s[2:3]
	v_mov_b32_dpp v3, v2 quad_perm:[1,0,3,2] row_mask:0xf bank_mask:0xf
	v_cmp_lt_f32_e32 vcc, v2, v3
	v_cndmask_b32_e32 v2, v2, v3, vcc
	v_bfrev_b32_e32 v4, 0.5
	s_waitcnt lgkmcnt(0)
	v_mov_b32_dpp v3, v2 quad_perm:[2,3,0,1] row_mask:0xf bank_mask:0xf
	v_cmp_lt_f32_e32 vcc, v2, v3
	v_cndmask_b32_e32 v2, v2, v3, vcc
	s_barrier
	s_nop 0
	v_mov_b32_dpp v3, v2 row_half_mirror row_mask:0xf bank_mask:0xf
	v_cmp_lt_f32_e32 vcc, v2, v3
	v_cndmask_b32_e32 v2, v2, v3, vcc
	s_nop 1
	v_mov_b32_dpp v3, v2 row_mirror row_mask:0xf bank_mask:0xf
	v_cmp_lt_f32_e32 vcc, v2, v3
	v_cndmask_b32_e32 v2, v2, v3, vcc
	s_nop 1
	v_mov_b32_dpp v3, v2 row_bcast:15 row_mask:0xf bank_mask:0xf
	v_cmp_lt_f32_e32 vcc, v2, v3
	v_cndmask_b32_e32 v2, v2, v3, vcc
	s_nop 1
	v_mov_b32_dpp v3, v2 row_bcast:31 row_mask:0xf bank_mask:0xf
	v_cmp_lt_f32_e32 vcc, v2, v3
	v_cndmask_b32_e32 v3, v2, v3, vcc
	v_mbcnt_lo_u32_b32 v2, -1, 0
	v_mbcnt_hi_u32_b32 v2, -1, v2
	v_lshl_or_b32 v2, v2, 2, v4
	ds_bpermute_b32 v4, v2, v3
	v_mov_b32_e32 v3, 0
	s_and_saveexec_b64 s[2:3], s[0:1]
	s_cbranch_execz .LBB223_8
; %bb.5:
	s_load_dword s11, s[4:5], 0x4c
	v_lshl_add_u32 v5, v0, 2, 0
	s_mov_b64 s[16:17], 0
	v_mov_b32_e32 v3, 0
	s_mov_b32 s7, 0x3fb8aa3b
	s_waitcnt lgkmcnt(0)
	s_and_b32 s11, s11, 0xffff
	s_lshl_b32 s18, s11, 2
	s_mov_b32 s19, 0xc2ce8ed0
	s_mov_b32 s20, 0x42b17218
	v_mov_b32_e32 v6, 0x7f800000
	v_mov_b32_e32 v7, v0
.LBB223_6:                              ; =>This Inner Loop Header: Depth=1
	ds_read_b32 v8, v5
	v_add_u32_e32 v7, s11, v7
	s_waitcnt lgkmcnt(0)
	v_sub_f32_e32 v8, v8, v4
	v_mul_f32_e32 v9, 0x3fb8aa3b, v8
	v_fma_f32 v10, v8, s7, -v9
	v_rndne_f32_e32 v11, v9
	v_fmac_f32_e32 v10, 0x32a5705f, v8
	v_sub_f32_e32 v9, v9, v11
	v_add_f32_e32 v9, v9, v10
	v_cvt_i32_f32_e32 v11, v11
	v_exp_f32_e32 v9, v9
	v_cmp_ngt_f32_e32 vcc, s19, v8
	v_ldexp_f32 v9, v9, v11
	v_cndmask_b32_e32 v9, 0, v9, vcc
	v_cmp_nlt_f32_e32 vcc, s20, v8
	v_cndmask_b32_e32 v8, v6, v9, vcc
	v_cmp_le_i32_e32 vcc, s8, v7
	ds_write_b32 v5, v8
	v_add_f32_e32 v3, v3, v8
	s_or_b64 s[16:17], vcc, s[16:17]
	v_add_u32_e32 v5, s18, v5
	s_andn2_b64 exec, exec, s[16:17]
	s_cbranch_execnz .LBB223_6
; %bb.7:
	s_or_b64 exec, exec, s[16:17]
.LBB223_8:
	s_or_b64 exec, exec, s[2:3]
	s_waitcnt lgkmcnt(0)
	v_mov_b32_dpp v4, v3 quad_perm:[1,0,3,2] row_mask:0xf bank_mask:0xf
	v_add_f32_e32 v3, v3, v4
	s_barrier
	s_nop 0
	v_mov_b32_dpp v4, v3 quad_perm:[2,3,0,1] row_mask:0xf bank_mask:0xf
	v_add_f32_e32 v3, v3, v4
	s_nop 1
	v_mov_b32_dpp v4, v3 row_half_mirror row_mask:0xf bank_mask:0xf
	v_add_f32_e32 v3, v3, v4
	s_nop 1
	v_mov_b32_dpp v4, v3 row_mirror row_mask:0xf bank_mask:0xf
	v_add_f32_e32 v3, v3, v4
	s_nop 1
	v_mov_b32_dpp v4, v3 row_bcast:15 row_mask:0xf bank_mask:0xf
	v_add_f32_e32 v3, v3, v4
	s_nop 1
	v_mov_b32_dpp v4, v3 row_bcast:31 row_mask:0xf bank_mask:0xf
	v_add_f32_e32 v3, v3, v4
	ds_bpermute_b32 v2, v2, v3
	s_and_saveexec_b64 s[2:3], s[0:1]
	s_cbranch_execz .LBB223_11
; %bb.9:
	s_load_dword s7, s[4:5], 0x4c
	v_lshl_add_u32 v3, v0, 2, 0
	s_mov_b64 s[16:17], 0
	v_mov_b32_e32 v4, v0
	s_waitcnt lgkmcnt(0)
	s_and_b32 s7, s7, 0xffff
	s_lshl_b32 s11, s7, 2
.LBB223_10:                             ; =>This Inner Loop Header: Depth=1
	ds_read_b32 v5, v3
	v_add_u32_e32 v4, s7, v4
	v_cmp_le_i32_e32 vcc, s8, v4
	s_or_b64 s[16:17], vcc, s[16:17]
	s_waitcnt lgkmcnt(0)
	v_div_scale_f32 v6, s[18:19], v2, v2, v5
	v_rcp_f32_e32 v7, v6
	v_div_scale_f32 v8, vcc, v5, v2, v5
	v_fma_f32 v9, -v6, v7, 1.0
	v_fmac_f32_e32 v7, v9, v7
	v_mul_f32_e32 v9, v8, v7
	v_fma_f32 v10, -v6, v9, v8
	v_fmac_f32_e32 v9, v10, v7
	v_fma_f32 v6, -v6, v9, v8
	v_div_fmas_f32 v6, v6, v7, v9
	v_div_fixup_f32 v5, v6, v2, v5
	ds_write_b32 v3, v5
	v_add_u32_e32 v3, s11, v3
	s_andn2_b64 exec, exec, s[16:17]
	s_cbranch_execnz .LBB223_10
.LBB223_11:
	s_or_b64 exec, exec, s[2:3]
	s_ashr_i32 s2, s8, 31
	s_lshr_b32 s2, s2, 30
	s_add_i32 s2, s8, s2
	s_ashr_i32 s11, s2, 2
	s_lshl_b32 s2, s8, 2
	s_add_i32 s7, s2, 0
	v_cmp_gt_u32_e32 vcc, 4, v0
	s_waitcnt lgkmcnt(0)
	s_barrier
	s_and_saveexec_b64 s[16:17], vcc
	s_cbranch_execz .LBB223_18
; %bb.12:
	s_load_dword s2, s[4:5], 0x4c
	v_mul_lo_u32 v2, v0, s11
	v_lshl_add_u32 v2, v2, 2, 0
	s_waitcnt lgkmcnt(0)
	s_and_b32 s22, s2, 0xffff
	s_cmp_gt_i32 s8, 3
	s_cselect_b64 s[2:3], -1, 0
	s_mul_i32 s18, s11, s22
	v_cndmask_b32_e64 v3, 0, 1, s[2:3]
	s_lshl_b32 s23, s18, 2
	s_mov_b64 s[18:19], 0
	v_cmp_ne_u32_e64 s[2:3], 1, v3
	v_mov_b32_e32 v3, v0
	s_branch .LBB223_14
.LBB223_13:                             ;   in Loop: Header=BB223_14 Depth=1
	v_lshl_add_u32 v5, v3, 2, s7
	v_add_u32_e32 v3, s22, v3
	v_cmp_lt_u32_e32 vcc, 3, v3
	s_or_b64 s[18:19], vcc, s[18:19]
	v_add_u32_e32 v2, s23, v2
	ds_write_b32 v5, v4
	s_andn2_b64 exec, exec, s[18:19]
	s_cbranch_execz .LBB223_18
.LBB223_14:                             ; =>This Loop Header: Depth=1
                                        ;     Child Loop BB223_16 Depth 2
	s_and_b64 vcc, exec, s[2:3]
	v_mov_b32_e32 v4, 0xff800000
	s_cbranch_vccnz .LBB223_13
; %bb.15:                               ;   in Loop: Header=BB223_14 Depth=1
	v_mul_lo_u32 v5, v3, s11
	v_add_u32_e32 v6, s11, v5
	s_mov_b64 s[20:21], 0
	v_mov_b32_e32 v4, 0xff800000
	v_mov_b32_e32 v7, v2
.LBB223_16:                             ;   Parent Loop BB223_14 Depth=1
                                        ; =>  This Inner Loop Header: Depth=2
	ds_read_b32 v8, v7
	v_add_u32_e32 v5, 1, v5
	v_cmp_ge_i32_e32 vcc, v5, v6
	s_or_b64 s[20:21], vcc, s[20:21]
	v_add_u32_e32 v7, 4, v7
	s_waitcnt lgkmcnt(0)
	v_cmp_gt_f32_e32 vcc, v8, v4
	v_cndmask_b32_e32 v4, v4, v8, vcc
	s_andn2_b64 exec, exec, s[20:21]
	s_cbranch_execnz .LBB223_16
; %bb.17:                               ;   in Loop: Header=BB223_14 Depth=1
	s_or_b64 exec, exec, s[20:21]
	s_branch .LBB223_13
.LBB223_18:
	s_or_b64 exec, exec, s[16:17]
	s_cmp_lt_i32 s10, 1
	s_waitcnt lgkmcnt(0)
	s_barrier
	s_cbranch_scc1 .LBB223_21
; %bb.19:
	v_mov_b32_e32 v2, s7
	s_mov_b32 s2, 0xff800000
	v_mov_b32_e32 v3, 0xff800000
.LBB223_20:                             ; =>This Inner Loop Header: Depth=1
	ds_read2_b32 v[4:5], v2 offset1:1
	ds_read2_b32 v[6:7], v2 offset0:2 offset1:3
	s_waitcnt lgkmcnt(1)
	v_cmp_nlg_f32_e32 vcc, s2, v4
	v_cndmask_b32_e64 v8, 0, 1, vcc
	v_cmp_lg_f32_e32 vcc, s2, v4
	v_cndmask_b32_e32 v4, v3, v4, vcc
	v_readfirstlane_b32 s3, v8
	v_cmp_gt_f32_e32 vcc, v5, v4
	s_lshl_b32 s3, s3, 2
	v_cndmask_b32_e32 v4, v4, v5, vcc
	s_and_b64 s[16:17], vcc, exec
	s_waitcnt lgkmcnt(0)
	v_cmp_gt_f32_e32 vcc, v6, v4
	v_cndmask_b32_e32 v4, v4, v6, vcc
	s_cselect_b32 s3, 1, s3
	s_and_b64 s[16:17], vcc, exec
	v_cmp_ngt_f32_e32 vcc, v7, v4
	s_cselect_b32 s3, 2, s3
	s_and_b64 s[16:17], vcc, exec
	s_cselect_b32 s3, s3, 3
	s_lshl_b32 s3, s3, 2
	s_add_i32 s3, s7, s3
	s_add_i32 s10, s10, -1
	v_mov_b32_e32 v4, s3
	s_cmp_lg_u32 s10, 0
	ds_write_b32 v4, v3
	s_cbranch_scc1 .LBB223_20
.LBB223_21:
	s_and_saveexec_b64 s[2:3], s[0:1]
	s_cbranch_execz .LBB223_26
; %bb.22:
	s_abs_i32 s18, s11
	v_cvt_f32_u32_e32 v3, s18
	s_load_dword s16, s[4:5], 0x4c
	s_sub_i32 s17, 0, s18
	s_ashr_i32 s19, s11, 31
	v_rcp_iflag_f32_e32 v4, v3
	v_lshl_add_u32 v2, v0, 2, 0
	s_waitcnt lgkmcnt(0)
	s_and_b32 s21, s16, 0xffff
	s_mov_b64 s[10:11], 0
	v_mul_f32_e32 v4, 0x4f7ffffe, v4
	v_cvt_u32_f32_e32 v4, v4
	s_mov_b32 s20, 0xff800000
	v_mov_b32_e32 v3, 0xff800000
	s_lshl_b32 s22, s21, 2
	v_mul_lo_u32 v5, s17, v4
	v_mul_hi_u32 v5, v4, v5
	v_add_u32_e32 v4, v4, v5
	v_mov_b32_e32 v5, v0
	s_branch .LBB223_24
.LBB223_23:                             ;   in Loop: Header=BB223_24 Depth=1
	s_or_b64 exec, exec, s[16:17]
	v_add_u32_e32 v5, s21, v5
	v_cmp_le_i32_e32 vcc, s8, v5
	s_or_b64 s[10:11], vcc, s[10:11]
	v_add_u32_e32 v2, s22, v2
	s_andn2_b64 exec, exec, s[10:11]
	s_cbranch_execz .LBB223_26
.LBB223_24:                             ; =>This Inner Loop Header: Depth=1
	v_sub_u32_e32 v7, 0, v5
	v_max_i32_e32 v7, v5, v7
	v_mul_hi_u32 v8, v7, v4
	v_mul_lo_u32 v9, v8, s18
	v_sub_u32_e32 v7, v7, v9
	v_add_u32_e32 v9, 1, v8
	v_cmp_le_u32_e32 vcc, s18, v7
	v_cndmask_b32_e32 v8, v8, v9, vcc
	v_subrev_u32_e32 v9, s18, v7
	v_cndmask_b32_e32 v7, v7, v9, vcc
	v_ashrrev_i32_e32 v6, 31, v5
	v_add_u32_e32 v9, 1, v8
	v_cmp_le_u32_e32 vcc, s18, v7
	v_xor_b32_e32 v6, s19, v6
	v_cndmask_b32_e32 v7, v8, v9, vcc
	v_xor_b32_e32 v7, v7, v6
	v_sub_u32_e32 v6, v7, v6
	v_lshl_add_u32 v6, v6, 2, s7
	ds_read_b32 v6, v6
	s_waitcnt lgkmcnt(0)
	v_cmp_neq_f32_e32 vcc, s20, v6
	s_and_saveexec_b64 s[16:17], vcc
	s_cbranch_execz .LBB223_23
; %bb.25:                               ;   in Loop: Header=BB223_24 Depth=1
	ds_write_b32 v2, v3
	s_branch .LBB223_23
.LBB223_26:
	s_or_b64 exec, exec, s[2:3]
	s_cmp_lt_i32 s9, 1
	s_waitcnt lgkmcnt(0)
	s_barrier
	s_cbranch_scc1 .LBB223_33
; %bb.27:
	s_add_u32 s2, s4, 64
	s_addc_u32 s3, s5, 0
	s_mov_b32 s7, 0
	v_mov_b32_e32 v3, 0
	v_mov_b32_e32 v5, 0xff800000
                                        ; implicit-def: $vgpr4
                                        ; implicit-def: $vgpr2
	s_branch .LBB223_29
.LBB223_28:                             ;   in Loop: Header=BB223_29 Depth=1
	s_or_b64 exec, exec, s[10:11]
	v_mov_b32_dpp v9, v7 quad_perm:[1,0,3,2] row_mask:0xf bank_mask:0xf
	v_cmp_lt_f32_e32 vcc, v7, v9
	v_cndmask_b32_e32 v7, v7, v9, vcc
	v_mov_b32_dpp v8, v6 quad_perm:[1,0,3,2] row_mask:0xf bank_mask:0xf
	v_cndmask_b32_e32 v6, v6, v8, vcc
	v_mov_b32_dpp v9, v7 quad_perm:[2,3,0,1] row_mask:0xf bank_mask:0xf
	v_cmp_gt_f32_e32 vcc, v9, v7
	v_cndmask_b32_e32 v7, v7, v9, vcc
	v_mov_b32_dpp v8, v6 quad_perm:[2,3,0,1] row_mask:0xf bank_mask:0xf
	v_cndmask_b32_e32 v6, v6, v8, vcc
	v_mov_b32_dpp v9, v7 row_half_mirror row_mask:0xf bank_mask:0xf
	v_cmp_gt_f32_e32 vcc, v9, v7
	v_cndmask_b32_e32 v7, v7, v9, vcc
	v_mov_b32_dpp v8, v6 row_half_mirror row_mask:0xf bank_mask:0xf
	v_cndmask_b32_e32 v6, v6, v8, vcc
	v_mov_b32_dpp v9, v7 row_mirror row_mask:0xf bank_mask:0xf
	v_cmp_gt_f32_e32 vcc, v9, v7
	v_cndmask_b32_e32 v7, v7, v9, vcc
	v_mov_b32_dpp v8, v6 row_mirror row_mask:0xf bank_mask:0xf
	v_cndmask_b32_e32 v6, v6, v8, vcc
	v_mov_b32_dpp v9, v7 row_bcast:15 row_mask:0xf bank_mask:0xf
	v_cmp_gt_f32_e32 vcc, v9, v7
	v_mov_b32_dpp v8, v6 row_bcast:15 row_mask:0xf bank_mask:0xf
	v_cndmask_b32_e32 v7, v7, v9, vcc
	v_cndmask_b32_e32 v6, v6, v8, vcc
	s_nop 0
	v_mov_b32_dpp v9, v7 row_bcast:31 row_mask:0xf bank_mask:0xf
	v_mov_b32_dpp v8, v6 row_bcast:31 row_mask:0xf bank_mask:0xf
	v_cmp_gt_f32_e32 vcc, v9, v7
	v_cndmask_b32_e32 v6, v6, v8, vcc
	v_readlane_b32 s11, v6, 63
	s_lshl_b32 s16, s11, 2
	s_add_i32 s16, s16, 0
	v_cndmask_b32_e32 v7, v7, v9, vcc
	v_mov_b32_e32 v6, s16
	v_readlane_b32 s10, v7, 63
	ds_write_b32 v6, v5
	v_mov_b32_e32 v6, s11
	v_cmp_eq_u32_e32 vcc, s7, v0
	v_cndmask_b32_e32 v2, v2, v6, vcc
	v_mov_b32_e32 v6, s10
	s_add_i32 s7, s7, 1
	v_cndmask_b32_e32 v4, v4, v6, vcc
	s_cmp_eq_u32 s7, s9
	v_add_f32_e32 v3, s10, v3
	s_cbranch_scc1 .LBB223_34
.LBB223_29:                             ; =>This Loop Header: Depth=1
                                        ;     Child Loop BB223_31 Depth 2
	v_mov_b32_e32 v6, s7
	v_mov_b32_e32 v7, 0xff800000
	s_and_saveexec_b64 s[10:11], s[0:1]
	s_cbranch_execz .LBB223_28
; %bb.30:                               ;   in Loop: Header=BB223_29 Depth=1
	s_load_dword s18, s[2:3], 0xc
	s_mov_b64 s[16:17], 0
	v_mov_b32_e32 v6, s7
	v_mov_b32_e32 v7, 0xff800000
	;; [unrolled: 1-line block ×3, first 2 shown]
	s_waitcnt lgkmcnt(0)
	s_and_b32 s18, s18, 0xffff
	s_lshl_b32 s19, s18, 2
	v_mov_b32_e32 v9, v0
.LBB223_31:                             ;   Parent Loop BB223_29 Depth=1
                                        ; =>  This Inner Loop Header: Depth=2
	ds_read_b32 v10, v8
	v_add_u32_e32 v8, s19, v8
	s_waitcnt lgkmcnt(0)
	v_cmp_gt_f32_e32 vcc, v10, v7
	v_cndmask_b32_e32 v6, v6, v9, vcc
	v_add_u32_e32 v9, s18, v9
	v_cndmask_b32_e32 v7, v7, v10, vcc
	v_cmp_le_i32_e32 vcc, s8, v9
	s_or_b64 s[16:17], vcc, s[16:17]
	s_andn2_b64 exec, exec, s[16:17]
	s_cbranch_execnz .LBB223_31
; %bb.32:                               ;   in Loop: Header=BB223_29 Depth=1
	s_or_b64 exec, exec, s[16:17]
	s_branch .LBB223_28
.LBB223_33:
	v_mov_b32_e32 v3, 0
                                        ; implicit-def: $vgpr4
                                        ; implicit-def: $vgpr2
.LBB223_34:
	v_cmp_gt_i32_e32 vcc, s9, v0
	s_and_saveexec_b64 s[0:1], vcc
	s_cbranch_execz .LBB223_37
; %bb.35:
	s_load_dword s7, s[4:5], 0x38
	s_load_dwordx2 s[0:1], s[4:5], 0x20
	s_load_dword s8, s[4:5], 0x4c
	s_waitcnt lgkmcnt(0)
	v_div_scale_f32 v1, s[2:3], v3, v3, s7
	v_rcp_f32_e32 v5, v1
	v_div_scale_f32 v6, vcc, s7, v3, s7
	s_ashr_i32 s2, s6, 31
	v_fma_f32 v7, -v1, v5, 1.0
	v_fmac_f32_e32 v5, v7, v5
	v_mul_f32_e32 v7, v6, v5
	v_fma_f32 v8, -v1, v7, v6
	v_fmac_f32_e32 v7, v8, v5
	v_fma_f32 v1, -v1, v7, v6
	s_mul_i32 s1, s6, s1
	s_mul_hi_u32 s3, s6, s0
	v_div_fmas_f32 v1, v1, v5, v7
	s_add_i32 s1, s3, s1
	s_mul_i32 s2, s2, s0
	v_div_fixup_f32 v1, v1, v3, s7
	s_add_i32 s4, s1, s2
	v_mul_f32_e32 v1, v1, v4
	s_mul_i32 s2, s6, s0
	s_and_b32 s3, s8, 0xffff
	s_mov_b64 s[0:1], 0
	v_mov_b32_e32 v3, s4
	v_mov_b32_e32 v4, s13
	;; [unrolled: 1-line block ×3, first 2 shown]
.LBB223_36:                             ; =>This Inner Loop Header: Depth=1
	v_ashrrev_i32_e32 v7, 31, v0
	v_add_co_u32_e32 v6, vcc, s2, v0
	v_addc_co_u32_e32 v7, vcc, v3, v7, vcc
	v_add_u32_e32 v0, s3, v0
	v_cmp_le_i32_e32 vcc, s9, v0
	v_lshlrev_b64 v[6:7], 2, v[6:7]
	s_or_b64 s[0:1], vcc, s[0:1]
	v_add_co_u32_e32 v8, vcc, s12, v6
	v_addc_co_u32_e32 v9, vcc, v4, v7, vcc
	v_add_co_u32_e32 v6, vcc, s14, v6
	v_addc_co_u32_e32 v7, vcc, v5, v7, vcc
	global_store_dword v[8:9], v1, off
	global_store_dword v[6:7], v2, off
	s_andn2_b64 exec, exec, s[0:1]
	s_cbranch_execnz .LBB223_36
.LBB223_37:
	s_endpgm
	.section	.rodata,"a",@progbits
	.p2align	6, 0x0
	.amdhsa_kernel _ZN5aiter19grouped_topk_kernelIfDv1_fLi4ELb1ELb0ELb1EEEvPT_PKS2_PfPimiiiif
		.amdhsa_group_segment_fixed_size 0
		.amdhsa_private_segment_fixed_size 0
		.amdhsa_kernarg_size 320
		.amdhsa_user_sgpr_count 6
		.amdhsa_user_sgpr_private_segment_buffer 1
		.amdhsa_user_sgpr_dispatch_ptr 0
		.amdhsa_user_sgpr_queue_ptr 0
		.amdhsa_user_sgpr_kernarg_segment_ptr 1
		.amdhsa_user_sgpr_dispatch_id 0
		.amdhsa_user_sgpr_flat_scratch_init 0
		.amdhsa_user_sgpr_kernarg_preload_length 0
		.amdhsa_user_sgpr_kernarg_preload_offset 0
		.amdhsa_user_sgpr_private_segment_size 0
		.amdhsa_uses_dynamic_stack 0
		.amdhsa_system_sgpr_private_segment_wavefront_offset 0
		.amdhsa_system_sgpr_workgroup_id_x 1
		.amdhsa_system_sgpr_workgroup_id_y 0
		.amdhsa_system_sgpr_workgroup_id_z 0
		.amdhsa_system_sgpr_workgroup_info 0
		.amdhsa_system_vgpr_workitem_id 0
		.amdhsa_next_free_vgpr 12
		.amdhsa_next_free_sgpr 24
		.amdhsa_accum_offset 12
		.amdhsa_reserve_vcc 1
		.amdhsa_reserve_flat_scratch 0
		.amdhsa_float_round_mode_32 0
		.amdhsa_float_round_mode_16_64 0
		.amdhsa_float_denorm_mode_32 3
		.amdhsa_float_denorm_mode_16_64 3
		.amdhsa_dx10_clamp 1
		.amdhsa_ieee_mode 1
		.amdhsa_fp16_overflow 0
		.amdhsa_tg_split 0
		.amdhsa_exception_fp_ieee_invalid_op 0
		.amdhsa_exception_fp_denorm_src 0
		.amdhsa_exception_fp_ieee_div_zero 0
		.amdhsa_exception_fp_ieee_overflow 0
		.amdhsa_exception_fp_ieee_underflow 0
		.amdhsa_exception_fp_ieee_inexact 0
		.amdhsa_exception_int_div_zero 0
	.end_amdhsa_kernel
	.section	.text._ZN5aiter19grouped_topk_kernelIfDv1_fLi4ELb1ELb0ELb1EEEvPT_PKS2_PfPimiiiif,"axG",@progbits,_ZN5aiter19grouped_topk_kernelIfDv1_fLi4ELb1ELb0ELb1EEEvPT_PKS2_PfPimiiiif,comdat
.Lfunc_end223:
	.size	_ZN5aiter19grouped_topk_kernelIfDv1_fLi4ELb1ELb0ELb1EEEvPT_PKS2_PfPimiiiif, .Lfunc_end223-_ZN5aiter19grouped_topk_kernelIfDv1_fLi4ELb1ELb0ELb1EEEvPT_PKS2_PfPimiiiif
                                        ; -- End function
	.section	.AMDGPU.csdata,"",@progbits
; Kernel info:
; codeLenInByte = 2212
; NumSgprs: 28
; NumVgprs: 12
; NumAgprs: 0
; TotalNumVgprs: 12
; ScratchSize: 0
; MemoryBound: 0
; FloatMode: 240
; IeeeMode: 1
; LDSByteSize: 0 bytes/workgroup (compile time only)
; SGPRBlocks: 3
; VGPRBlocks: 1
; NumSGPRsForWavesPerEU: 28
; NumVGPRsForWavesPerEU: 12
; AccumOffset: 12
; Occupancy: 8
; WaveLimiterHint : 0
; COMPUTE_PGM_RSRC2:SCRATCH_EN: 0
; COMPUTE_PGM_RSRC2:USER_SGPR: 6
; COMPUTE_PGM_RSRC2:TRAP_HANDLER: 0
; COMPUTE_PGM_RSRC2:TGID_X_EN: 1
; COMPUTE_PGM_RSRC2:TGID_Y_EN: 0
; COMPUTE_PGM_RSRC2:TGID_Z_EN: 0
; COMPUTE_PGM_RSRC2:TIDIG_COMP_CNT: 0
; COMPUTE_PGM_RSRC3_GFX90A:ACCUM_OFFSET: 2
; COMPUTE_PGM_RSRC3_GFX90A:TG_SPLIT: 0
	.section	.text._ZN5aiter19grouped_topk_kernelIN3c104HalfEDv1_fLi4ELb1ELb0ELb1EEEvPT_PKS4_PfPimiiiif,"axG",@progbits,_ZN5aiter19grouped_topk_kernelIN3c104HalfEDv1_fLi4ELb1ELb0ELb1EEEvPT_PKS4_PfPimiiiif,comdat
	.protected	_ZN5aiter19grouped_topk_kernelIN3c104HalfEDv1_fLi4ELb1ELb0ELb1EEEvPT_PKS4_PfPimiiiif ; -- Begin function _ZN5aiter19grouped_topk_kernelIN3c104HalfEDv1_fLi4ELb1ELb0ELb1EEEvPT_PKS4_PfPimiiiif
	.globl	_ZN5aiter19grouped_topk_kernelIN3c104HalfEDv1_fLi4ELb1ELb0ELb1EEEvPT_PKS4_PfPimiiiif
	.p2align	8
	.type	_ZN5aiter19grouped_topk_kernelIN3c104HalfEDv1_fLi4ELb1ELb0ELb1EEEvPT_PKS4_PfPimiiiif,@function
_ZN5aiter19grouped_topk_kernelIN3c104HalfEDv1_fLi4ELb1ELb0ELb1EEEvPT_PKS4_PfPimiiiif: ; @_ZN5aiter19grouped_topk_kernelIN3c104HalfEDv1_fLi4ELb1ELb0ELb1EEEvPT_PKS4_PfPimiiiif
; %bb.0:
	s_load_dwordx4 s[8:11], s[4:5], 0x28
	s_load_dwordx4 s[12:15], s[4:5], 0x10
	v_mov_b32_e32 v2, 0xff800000
	v_lshl_add_u32 v1, v0, 2, 0
	s_waitcnt lgkmcnt(0)
	v_cmp_gt_i32_e64 s[0:1], s8, v0
	s_and_saveexec_b64 s[2:3], s[0:1]
	s_cbranch_execz .LBB224_4
; %bb.1:
	s_load_dword s11, s[4:5], 0x4c
	s_load_dwordx2 s[16:17], s[4:5], 0x0
	s_mul_i32 s7, s6, s8
	v_lshl_add_u32 v3, v0, 2, 0
	s_mov_b64 s[18:19], 0
	s_waitcnt lgkmcnt(0)
	s_and_b32 s11, s11, 0xffff
	s_lshl_b32 s20, s11, 2
	v_mov_b32_e32 v2, 0xff800000
	v_mov_b32_e32 v4, s17
	;; [unrolled: 1-line block ×3, first 2 shown]
.LBB224_2:                              ; =>This Inner Loop Header: Depth=1
	v_add_u32_e32 v6, s7, v5
	v_ashrrev_i32_e32 v7, 31, v6
	v_lshlrev_b64 v[6:7], 1, v[6:7]
	v_add_co_u32_e32 v6, vcc, s16, v6
	v_addc_co_u32_e32 v7, vcc, v4, v7, vcc
	global_load_ushort v6, v[6:7], off
	v_add_u32_e32 v5, s11, v5
	v_cmp_le_i32_e32 vcc, s8, v5
	s_or_b64 s[18:19], vcc, s[18:19]
	s_waitcnt vmcnt(0)
	v_cvt_f32_f16_e32 v6, v6
	v_cmp_lt_f32_e32 vcc, v2, v6
	ds_write_b32 v3, v6
	v_cndmask_b32_e32 v2, v2, v6, vcc
	v_add_u32_e32 v3, s20, v3
	s_andn2_b64 exec, exec, s[18:19]
	s_cbranch_execnz .LBB224_2
; %bb.3:
	s_or_b64 exec, exec, s[18:19]
.LBB224_4:
	s_or_b64 exec, exec, s[2:3]
	v_mov_b32_dpp v3, v2 quad_perm:[1,0,3,2] row_mask:0xf bank_mask:0xf
	v_cmp_lt_f32_e32 vcc, v2, v3
	v_cndmask_b32_e32 v2, v2, v3, vcc
	v_bfrev_b32_e32 v4, 0.5
	s_waitcnt lgkmcnt(0)
	v_mov_b32_dpp v3, v2 quad_perm:[2,3,0,1] row_mask:0xf bank_mask:0xf
	v_cmp_lt_f32_e32 vcc, v2, v3
	v_cndmask_b32_e32 v2, v2, v3, vcc
	s_barrier
	s_nop 0
	v_mov_b32_dpp v3, v2 row_half_mirror row_mask:0xf bank_mask:0xf
	v_cmp_lt_f32_e32 vcc, v2, v3
	v_cndmask_b32_e32 v2, v2, v3, vcc
	s_nop 1
	v_mov_b32_dpp v3, v2 row_mirror row_mask:0xf bank_mask:0xf
	v_cmp_lt_f32_e32 vcc, v2, v3
	v_cndmask_b32_e32 v2, v2, v3, vcc
	s_nop 1
	v_mov_b32_dpp v3, v2 row_bcast:15 row_mask:0xf bank_mask:0xf
	v_cmp_lt_f32_e32 vcc, v2, v3
	v_cndmask_b32_e32 v2, v2, v3, vcc
	s_nop 1
	v_mov_b32_dpp v3, v2 row_bcast:31 row_mask:0xf bank_mask:0xf
	v_cmp_lt_f32_e32 vcc, v2, v3
	v_cndmask_b32_e32 v3, v2, v3, vcc
	v_mbcnt_lo_u32_b32 v2, -1, 0
	v_mbcnt_hi_u32_b32 v2, -1, v2
	v_lshl_or_b32 v2, v2, 2, v4
	ds_bpermute_b32 v4, v2, v3
	v_mov_b32_e32 v3, 0
	s_and_saveexec_b64 s[2:3], s[0:1]
	s_cbranch_execz .LBB224_8
; %bb.5:
	s_load_dword s11, s[4:5], 0x4c
	v_lshl_add_u32 v5, v0, 2, 0
	s_mov_b64 s[16:17], 0
	v_mov_b32_e32 v3, 0
	s_mov_b32 s7, 0x3fb8aa3b
	s_waitcnt lgkmcnt(0)
	s_and_b32 s11, s11, 0xffff
	s_lshl_b32 s18, s11, 2
	s_mov_b32 s19, 0xc2ce8ed0
	s_mov_b32 s20, 0x42b17218
	v_mov_b32_e32 v6, 0x7f800000
	v_mov_b32_e32 v7, v0
.LBB224_6:                              ; =>This Inner Loop Header: Depth=1
	ds_read_b32 v8, v5
	v_add_u32_e32 v7, s11, v7
	s_waitcnt lgkmcnt(0)
	v_sub_f32_e32 v8, v8, v4
	v_mul_f32_e32 v9, 0x3fb8aa3b, v8
	v_fma_f32 v10, v8, s7, -v9
	v_rndne_f32_e32 v11, v9
	v_fmac_f32_e32 v10, 0x32a5705f, v8
	v_sub_f32_e32 v9, v9, v11
	v_add_f32_e32 v9, v9, v10
	v_cvt_i32_f32_e32 v11, v11
	v_exp_f32_e32 v9, v9
	v_cmp_ngt_f32_e32 vcc, s19, v8
	v_ldexp_f32 v9, v9, v11
	v_cndmask_b32_e32 v9, 0, v9, vcc
	v_cmp_nlt_f32_e32 vcc, s20, v8
	v_cndmask_b32_e32 v8, v6, v9, vcc
	v_cmp_le_i32_e32 vcc, s8, v7
	ds_write_b32 v5, v8
	v_add_f32_e32 v3, v3, v8
	s_or_b64 s[16:17], vcc, s[16:17]
	v_add_u32_e32 v5, s18, v5
	s_andn2_b64 exec, exec, s[16:17]
	s_cbranch_execnz .LBB224_6
; %bb.7:
	s_or_b64 exec, exec, s[16:17]
.LBB224_8:
	s_or_b64 exec, exec, s[2:3]
	s_waitcnt lgkmcnt(0)
	v_mov_b32_dpp v4, v3 quad_perm:[1,0,3,2] row_mask:0xf bank_mask:0xf
	v_add_f32_e32 v3, v3, v4
	s_barrier
	s_nop 0
	v_mov_b32_dpp v4, v3 quad_perm:[2,3,0,1] row_mask:0xf bank_mask:0xf
	v_add_f32_e32 v3, v3, v4
	s_nop 1
	v_mov_b32_dpp v4, v3 row_half_mirror row_mask:0xf bank_mask:0xf
	v_add_f32_e32 v3, v3, v4
	s_nop 1
	v_mov_b32_dpp v4, v3 row_mirror row_mask:0xf bank_mask:0xf
	v_add_f32_e32 v3, v3, v4
	s_nop 1
	v_mov_b32_dpp v4, v3 row_bcast:15 row_mask:0xf bank_mask:0xf
	v_add_f32_e32 v3, v3, v4
	s_nop 1
	v_mov_b32_dpp v4, v3 row_bcast:31 row_mask:0xf bank_mask:0xf
	v_add_f32_e32 v3, v3, v4
	ds_bpermute_b32 v2, v2, v3
	s_and_saveexec_b64 s[2:3], s[0:1]
	s_cbranch_execz .LBB224_11
; %bb.9:
	s_load_dword s7, s[4:5], 0x4c
	v_lshl_add_u32 v3, v0, 2, 0
	s_mov_b64 s[16:17], 0
	v_mov_b32_e32 v4, v0
	s_waitcnt lgkmcnt(0)
	s_and_b32 s7, s7, 0xffff
	s_lshl_b32 s11, s7, 2
.LBB224_10:                             ; =>This Inner Loop Header: Depth=1
	ds_read_b32 v5, v3
	v_add_u32_e32 v4, s7, v4
	v_cmp_le_i32_e32 vcc, s8, v4
	s_or_b64 s[16:17], vcc, s[16:17]
	s_waitcnt lgkmcnt(0)
	v_div_scale_f32 v6, s[18:19], v2, v2, v5
	v_rcp_f32_e32 v7, v6
	v_div_scale_f32 v8, vcc, v5, v2, v5
	v_fma_f32 v9, -v6, v7, 1.0
	v_fmac_f32_e32 v7, v9, v7
	v_mul_f32_e32 v9, v8, v7
	v_fma_f32 v10, -v6, v9, v8
	v_fmac_f32_e32 v9, v10, v7
	v_fma_f32 v6, -v6, v9, v8
	v_div_fmas_f32 v6, v6, v7, v9
	v_div_fixup_f32 v5, v6, v2, v5
	ds_write_b32 v3, v5
	v_add_u32_e32 v3, s11, v3
	s_andn2_b64 exec, exec, s[16:17]
	s_cbranch_execnz .LBB224_10
.LBB224_11:
	s_or_b64 exec, exec, s[2:3]
	s_ashr_i32 s2, s8, 31
	s_lshr_b32 s2, s2, 30
	s_add_i32 s2, s8, s2
	s_ashr_i32 s11, s2, 2
	s_lshl_b32 s2, s8, 2
	s_add_i32 s7, s2, 0
	v_cmp_gt_u32_e32 vcc, 4, v0
	s_waitcnt lgkmcnt(0)
	s_barrier
	s_and_saveexec_b64 s[16:17], vcc
	s_cbranch_execz .LBB224_18
; %bb.12:
	s_load_dword s2, s[4:5], 0x4c
	v_mul_lo_u32 v2, v0, s11
	v_lshl_add_u32 v2, v2, 2, 0
	s_waitcnt lgkmcnt(0)
	s_and_b32 s22, s2, 0xffff
	s_cmp_gt_i32 s8, 3
	s_cselect_b64 s[2:3], -1, 0
	s_mul_i32 s18, s11, s22
	v_cndmask_b32_e64 v3, 0, 1, s[2:3]
	s_lshl_b32 s23, s18, 2
	s_mov_b64 s[18:19], 0
	v_cmp_ne_u32_e64 s[2:3], 1, v3
	v_mov_b32_e32 v3, v0
	s_branch .LBB224_14
.LBB224_13:                             ;   in Loop: Header=BB224_14 Depth=1
	v_lshl_add_u32 v5, v3, 2, s7
	v_add_u32_e32 v3, s22, v3
	v_cmp_lt_u32_e32 vcc, 3, v3
	s_or_b64 s[18:19], vcc, s[18:19]
	v_add_u32_e32 v2, s23, v2
	ds_write_b32 v5, v4
	s_andn2_b64 exec, exec, s[18:19]
	s_cbranch_execz .LBB224_18
.LBB224_14:                             ; =>This Loop Header: Depth=1
                                        ;     Child Loop BB224_16 Depth 2
	s_and_b64 vcc, exec, s[2:3]
	v_mov_b32_e32 v4, 0xff800000
	s_cbranch_vccnz .LBB224_13
; %bb.15:                               ;   in Loop: Header=BB224_14 Depth=1
	v_mul_lo_u32 v5, v3, s11
	v_add_u32_e32 v6, s11, v5
	s_mov_b64 s[20:21], 0
	v_mov_b32_e32 v4, 0xff800000
	v_mov_b32_e32 v7, v2
.LBB224_16:                             ;   Parent Loop BB224_14 Depth=1
                                        ; =>  This Inner Loop Header: Depth=2
	ds_read_b32 v8, v7
	v_add_u32_e32 v5, 1, v5
	v_cmp_ge_i32_e32 vcc, v5, v6
	s_or_b64 s[20:21], vcc, s[20:21]
	v_add_u32_e32 v7, 4, v7
	s_waitcnt lgkmcnt(0)
	v_cmp_gt_f32_e32 vcc, v8, v4
	v_cndmask_b32_e32 v4, v4, v8, vcc
	s_andn2_b64 exec, exec, s[20:21]
	s_cbranch_execnz .LBB224_16
; %bb.17:                               ;   in Loop: Header=BB224_14 Depth=1
	s_or_b64 exec, exec, s[20:21]
	s_branch .LBB224_13
.LBB224_18:
	s_or_b64 exec, exec, s[16:17]
	s_cmp_lt_i32 s10, 1
	s_waitcnt lgkmcnt(0)
	s_barrier
	s_cbranch_scc1 .LBB224_21
; %bb.19:
	v_mov_b32_e32 v2, s7
	s_mov_b32 s2, 0xff800000
	v_mov_b32_e32 v3, 0xff800000
.LBB224_20:                             ; =>This Inner Loop Header: Depth=1
	ds_read2_b32 v[4:5], v2 offset1:1
	ds_read2_b32 v[6:7], v2 offset0:2 offset1:3
	s_waitcnt lgkmcnt(1)
	v_cmp_nlg_f32_e32 vcc, s2, v4
	v_cndmask_b32_e64 v8, 0, 1, vcc
	v_cmp_lg_f32_e32 vcc, s2, v4
	v_cndmask_b32_e32 v4, v3, v4, vcc
	v_readfirstlane_b32 s3, v8
	v_cmp_gt_f32_e32 vcc, v5, v4
	s_lshl_b32 s3, s3, 2
	v_cndmask_b32_e32 v4, v4, v5, vcc
	s_and_b64 s[16:17], vcc, exec
	s_waitcnt lgkmcnt(0)
	v_cmp_gt_f32_e32 vcc, v6, v4
	v_cndmask_b32_e32 v4, v4, v6, vcc
	s_cselect_b32 s3, 1, s3
	s_and_b64 s[16:17], vcc, exec
	v_cmp_ngt_f32_e32 vcc, v7, v4
	s_cselect_b32 s3, 2, s3
	s_and_b64 s[16:17], vcc, exec
	s_cselect_b32 s3, s3, 3
	s_lshl_b32 s3, s3, 2
	s_add_i32 s3, s7, s3
	s_add_i32 s10, s10, -1
	v_mov_b32_e32 v4, s3
	s_cmp_lg_u32 s10, 0
	ds_write_b32 v4, v3
	s_cbranch_scc1 .LBB224_20
.LBB224_21:
	s_and_saveexec_b64 s[2:3], s[0:1]
	s_cbranch_execz .LBB224_26
; %bb.22:
	s_abs_i32 s18, s11
	v_cvt_f32_u32_e32 v3, s18
	s_load_dword s16, s[4:5], 0x4c
	s_sub_i32 s17, 0, s18
	s_ashr_i32 s19, s11, 31
	v_rcp_iflag_f32_e32 v4, v3
	v_lshl_add_u32 v2, v0, 2, 0
	s_waitcnt lgkmcnt(0)
	s_and_b32 s21, s16, 0xffff
	s_mov_b64 s[10:11], 0
	v_mul_f32_e32 v4, 0x4f7ffffe, v4
	v_cvt_u32_f32_e32 v4, v4
	s_mov_b32 s20, 0xff800000
	v_mov_b32_e32 v3, 0xff800000
	s_lshl_b32 s22, s21, 2
	v_mul_lo_u32 v5, s17, v4
	v_mul_hi_u32 v5, v4, v5
	v_add_u32_e32 v4, v4, v5
	v_mov_b32_e32 v5, v0
	s_branch .LBB224_24
.LBB224_23:                             ;   in Loop: Header=BB224_24 Depth=1
	s_or_b64 exec, exec, s[16:17]
	v_add_u32_e32 v5, s21, v5
	v_cmp_le_i32_e32 vcc, s8, v5
	s_or_b64 s[10:11], vcc, s[10:11]
	v_add_u32_e32 v2, s22, v2
	s_andn2_b64 exec, exec, s[10:11]
	s_cbranch_execz .LBB224_26
.LBB224_24:                             ; =>This Inner Loop Header: Depth=1
	v_sub_u32_e32 v7, 0, v5
	v_max_i32_e32 v7, v5, v7
	v_mul_hi_u32 v8, v7, v4
	v_mul_lo_u32 v9, v8, s18
	v_sub_u32_e32 v7, v7, v9
	v_add_u32_e32 v9, 1, v8
	v_cmp_le_u32_e32 vcc, s18, v7
	v_cndmask_b32_e32 v8, v8, v9, vcc
	v_subrev_u32_e32 v9, s18, v7
	v_cndmask_b32_e32 v7, v7, v9, vcc
	v_ashrrev_i32_e32 v6, 31, v5
	v_add_u32_e32 v9, 1, v8
	v_cmp_le_u32_e32 vcc, s18, v7
	v_xor_b32_e32 v6, s19, v6
	v_cndmask_b32_e32 v7, v8, v9, vcc
	v_xor_b32_e32 v7, v7, v6
	v_sub_u32_e32 v6, v7, v6
	v_lshl_add_u32 v6, v6, 2, s7
	ds_read_b32 v6, v6
	s_waitcnt lgkmcnt(0)
	v_cmp_neq_f32_e32 vcc, s20, v6
	s_and_saveexec_b64 s[16:17], vcc
	s_cbranch_execz .LBB224_23
; %bb.25:                               ;   in Loop: Header=BB224_24 Depth=1
	ds_write_b32 v2, v3
	s_branch .LBB224_23
.LBB224_26:
	s_or_b64 exec, exec, s[2:3]
	s_cmp_lt_i32 s9, 1
	s_waitcnt lgkmcnt(0)
	s_barrier
	s_cbranch_scc1 .LBB224_33
; %bb.27:
	s_add_u32 s2, s4, 64
	s_addc_u32 s3, s5, 0
	s_mov_b32 s7, 0
	v_mov_b32_e32 v3, 0
	v_mov_b32_e32 v5, 0xff800000
                                        ; implicit-def: $vgpr4
                                        ; implicit-def: $vgpr2
	s_branch .LBB224_29
.LBB224_28:                             ;   in Loop: Header=BB224_29 Depth=1
	s_or_b64 exec, exec, s[10:11]
	v_mov_b32_dpp v9, v7 quad_perm:[1,0,3,2] row_mask:0xf bank_mask:0xf
	v_cmp_lt_f32_e32 vcc, v7, v9
	v_cndmask_b32_e32 v7, v7, v9, vcc
	v_mov_b32_dpp v8, v6 quad_perm:[1,0,3,2] row_mask:0xf bank_mask:0xf
	v_cndmask_b32_e32 v6, v6, v8, vcc
	v_mov_b32_dpp v9, v7 quad_perm:[2,3,0,1] row_mask:0xf bank_mask:0xf
	v_cmp_gt_f32_e32 vcc, v9, v7
	v_cndmask_b32_e32 v7, v7, v9, vcc
	v_mov_b32_dpp v8, v6 quad_perm:[2,3,0,1] row_mask:0xf bank_mask:0xf
	v_cndmask_b32_e32 v6, v6, v8, vcc
	v_mov_b32_dpp v9, v7 row_half_mirror row_mask:0xf bank_mask:0xf
	v_cmp_gt_f32_e32 vcc, v9, v7
	v_cndmask_b32_e32 v7, v7, v9, vcc
	v_mov_b32_dpp v8, v6 row_half_mirror row_mask:0xf bank_mask:0xf
	v_cndmask_b32_e32 v6, v6, v8, vcc
	v_mov_b32_dpp v9, v7 row_mirror row_mask:0xf bank_mask:0xf
	v_cmp_gt_f32_e32 vcc, v9, v7
	v_cndmask_b32_e32 v7, v7, v9, vcc
	v_mov_b32_dpp v8, v6 row_mirror row_mask:0xf bank_mask:0xf
	v_cndmask_b32_e32 v6, v6, v8, vcc
	v_mov_b32_dpp v9, v7 row_bcast:15 row_mask:0xf bank_mask:0xf
	v_cmp_gt_f32_e32 vcc, v9, v7
	v_mov_b32_dpp v8, v6 row_bcast:15 row_mask:0xf bank_mask:0xf
	v_cndmask_b32_e32 v7, v7, v9, vcc
	v_cndmask_b32_e32 v6, v6, v8, vcc
	s_nop 0
	v_mov_b32_dpp v9, v7 row_bcast:31 row_mask:0xf bank_mask:0xf
	v_mov_b32_dpp v8, v6 row_bcast:31 row_mask:0xf bank_mask:0xf
	v_cmp_gt_f32_e32 vcc, v9, v7
	v_cndmask_b32_e32 v6, v6, v8, vcc
	v_readlane_b32 s11, v6, 63
	s_lshl_b32 s16, s11, 2
	s_add_i32 s16, s16, 0
	v_cndmask_b32_e32 v7, v7, v9, vcc
	v_mov_b32_e32 v6, s16
	v_readlane_b32 s10, v7, 63
	ds_write_b32 v6, v5
	v_mov_b32_e32 v6, s11
	v_cmp_eq_u32_e32 vcc, s7, v0
	v_cndmask_b32_e32 v2, v2, v6, vcc
	v_mov_b32_e32 v6, s10
	s_add_i32 s7, s7, 1
	v_cndmask_b32_e32 v4, v4, v6, vcc
	s_cmp_eq_u32 s7, s9
	v_add_f32_e32 v3, s10, v3
	s_cbranch_scc1 .LBB224_34
.LBB224_29:                             ; =>This Loop Header: Depth=1
                                        ;     Child Loop BB224_31 Depth 2
	v_mov_b32_e32 v6, s7
	v_mov_b32_e32 v7, 0xff800000
	s_and_saveexec_b64 s[10:11], s[0:1]
	s_cbranch_execz .LBB224_28
; %bb.30:                               ;   in Loop: Header=BB224_29 Depth=1
	s_load_dword s18, s[2:3], 0xc
	s_mov_b64 s[16:17], 0
	v_mov_b32_e32 v6, s7
	v_mov_b32_e32 v7, 0xff800000
	;; [unrolled: 1-line block ×3, first 2 shown]
	s_waitcnt lgkmcnt(0)
	s_and_b32 s18, s18, 0xffff
	s_lshl_b32 s19, s18, 2
	v_mov_b32_e32 v9, v0
.LBB224_31:                             ;   Parent Loop BB224_29 Depth=1
                                        ; =>  This Inner Loop Header: Depth=2
	ds_read_b32 v10, v8
	v_add_u32_e32 v8, s19, v8
	s_waitcnt lgkmcnt(0)
	v_cmp_gt_f32_e32 vcc, v10, v7
	v_cndmask_b32_e32 v6, v6, v9, vcc
	v_add_u32_e32 v9, s18, v9
	v_cndmask_b32_e32 v7, v7, v10, vcc
	v_cmp_le_i32_e32 vcc, s8, v9
	s_or_b64 s[16:17], vcc, s[16:17]
	s_andn2_b64 exec, exec, s[16:17]
	s_cbranch_execnz .LBB224_31
; %bb.32:                               ;   in Loop: Header=BB224_29 Depth=1
	s_or_b64 exec, exec, s[16:17]
	s_branch .LBB224_28
.LBB224_33:
	v_mov_b32_e32 v3, 0
                                        ; implicit-def: $vgpr4
                                        ; implicit-def: $vgpr2
.LBB224_34:
	v_cmp_gt_i32_e32 vcc, s9, v0
	s_and_saveexec_b64 s[0:1], vcc
	s_cbranch_execz .LBB224_37
; %bb.35:
	s_load_dword s7, s[4:5], 0x38
	s_load_dwordx2 s[0:1], s[4:5], 0x20
	s_load_dword s8, s[4:5], 0x4c
	s_waitcnt lgkmcnt(0)
	v_div_scale_f32 v1, s[2:3], v3, v3, s7
	v_rcp_f32_e32 v5, v1
	v_div_scale_f32 v6, vcc, s7, v3, s7
	s_ashr_i32 s2, s6, 31
	v_fma_f32 v7, -v1, v5, 1.0
	v_fmac_f32_e32 v5, v7, v5
	v_mul_f32_e32 v7, v6, v5
	v_fma_f32 v8, -v1, v7, v6
	v_fmac_f32_e32 v7, v8, v5
	v_fma_f32 v1, -v1, v7, v6
	s_mul_i32 s1, s6, s1
	s_mul_hi_u32 s3, s6, s0
	v_div_fmas_f32 v1, v1, v5, v7
	s_add_i32 s1, s3, s1
	s_mul_i32 s2, s2, s0
	v_div_fixup_f32 v1, v1, v3, s7
	s_add_i32 s4, s1, s2
	v_mul_f32_e32 v1, v1, v4
	s_mul_i32 s2, s6, s0
	s_and_b32 s3, s8, 0xffff
	s_mov_b64 s[0:1], 0
	v_mov_b32_e32 v3, s4
	v_mov_b32_e32 v4, s13
	;; [unrolled: 1-line block ×3, first 2 shown]
.LBB224_36:                             ; =>This Inner Loop Header: Depth=1
	v_ashrrev_i32_e32 v7, 31, v0
	v_add_co_u32_e32 v6, vcc, s2, v0
	v_addc_co_u32_e32 v7, vcc, v3, v7, vcc
	v_add_u32_e32 v0, s3, v0
	v_cmp_le_i32_e32 vcc, s9, v0
	v_lshlrev_b64 v[6:7], 2, v[6:7]
	s_or_b64 s[0:1], vcc, s[0:1]
	v_add_co_u32_e32 v8, vcc, s12, v6
	v_addc_co_u32_e32 v9, vcc, v4, v7, vcc
	v_add_co_u32_e32 v6, vcc, s14, v6
	v_addc_co_u32_e32 v7, vcc, v5, v7, vcc
	global_store_dword v[8:9], v1, off
	global_store_dword v[6:7], v2, off
	s_andn2_b64 exec, exec, s[0:1]
	s_cbranch_execnz .LBB224_36
.LBB224_37:
	s_endpgm
	.section	.rodata,"a",@progbits
	.p2align	6, 0x0
	.amdhsa_kernel _ZN5aiter19grouped_topk_kernelIN3c104HalfEDv1_fLi4ELb1ELb0ELb1EEEvPT_PKS4_PfPimiiiif
		.amdhsa_group_segment_fixed_size 0
		.amdhsa_private_segment_fixed_size 0
		.amdhsa_kernarg_size 320
		.amdhsa_user_sgpr_count 6
		.amdhsa_user_sgpr_private_segment_buffer 1
		.amdhsa_user_sgpr_dispatch_ptr 0
		.amdhsa_user_sgpr_queue_ptr 0
		.amdhsa_user_sgpr_kernarg_segment_ptr 1
		.amdhsa_user_sgpr_dispatch_id 0
		.amdhsa_user_sgpr_flat_scratch_init 0
		.amdhsa_user_sgpr_kernarg_preload_length 0
		.amdhsa_user_sgpr_kernarg_preload_offset 0
		.amdhsa_user_sgpr_private_segment_size 0
		.amdhsa_uses_dynamic_stack 0
		.amdhsa_system_sgpr_private_segment_wavefront_offset 0
		.amdhsa_system_sgpr_workgroup_id_x 1
		.amdhsa_system_sgpr_workgroup_id_y 0
		.amdhsa_system_sgpr_workgroup_id_z 0
		.amdhsa_system_sgpr_workgroup_info 0
		.amdhsa_system_vgpr_workitem_id 0
		.amdhsa_next_free_vgpr 12
		.amdhsa_next_free_sgpr 24
		.amdhsa_accum_offset 12
		.amdhsa_reserve_vcc 1
		.amdhsa_reserve_flat_scratch 0
		.amdhsa_float_round_mode_32 0
		.amdhsa_float_round_mode_16_64 0
		.amdhsa_float_denorm_mode_32 3
		.amdhsa_float_denorm_mode_16_64 3
		.amdhsa_dx10_clamp 1
		.amdhsa_ieee_mode 1
		.amdhsa_fp16_overflow 0
		.amdhsa_tg_split 0
		.amdhsa_exception_fp_ieee_invalid_op 0
		.amdhsa_exception_fp_denorm_src 0
		.amdhsa_exception_fp_ieee_div_zero 0
		.amdhsa_exception_fp_ieee_overflow 0
		.amdhsa_exception_fp_ieee_underflow 0
		.amdhsa_exception_fp_ieee_inexact 0
		.amdhsa_exception_int_div_zero 0
	.end_amdhsa_kernel
	.section	.text._ZN5aiter19grouped_topk_kernelIN3c104HalfEDv1_fLi4ELb1ELb0ELb1EEEvPT_PKS4_PfPimiiiif,"axG",@progbits,_ZN5aiter19grouped_topk_kernelIN3c104HalfEDv1_fLi4ELb1ELb0ELb1EEEvPT_PKS4_PfPimiiiif,comdat
.Lfunc_end224:
	.size	_ZN5aiter19grouped_topk_kernelIN3c104HalfEDv1_fLi4ELb1ELb0ELb1EEEvPT_PKS4_PfPimiiiif, .Lfunc_end224-_ZN5aiter19grouped_topk_kernelIN3c104HalfEDv1_fLi4ELb1ELb0ELb1EEEvPT_PKS4_PfPimiiiif
                                        ; -- End function
	.section	.AMDGPU.csdata,"",@progbits
; Kernel info:
; codeLenInByte = 2216
; NumSgprs: 28
; NumVgprs: 12
; NumAgprs: 0
; TotalNumVgprs: 12
; ScratchSize: 0
; MemoryBound: 0
; FloatMode: 240
; IeeeMode: 1
; LDSByteSize: 0 bytes/workgroup (compile time only)
; SGPRBlocks: 3
; VGPRBlocks: 1
; NumSGPRsForWavesPerEU: 28
; NumVGPRsForWavesPerEU: 12
; AccumOffset: 12
; Occupancy: 8
; WaveLimiterHint : 0
; COMPUTE_PGM_RSRC2:SCRATCH_EN: 0
; COMPUTE_PGM_RSRC2:USER_SGPR: 6
; COMPUTE_PGM_RSRC2:TRAP_HANDLER: 0
; COMPUTE_PGM_RSRC2:TGID_X_EN: 1
; COMPUTE_PGM_RSRC2:TGID_Y_EN: 0
; COMPUTE_PGM_RSRC2:TGID_Z_EN: 0
; COMPUTE_PGM_RSRC2:TIDIG_COMP_CNT: 0
; COMPUTE_PGM_RSRC3_GFX90A:ACCUM_OFFSET: 2
; COMPUTE_PGM_RSRC3_GFX90A:TG_SPLIT: 0
	.section	.text._ZN5aiter19grouped_topk_kernelIN3c108BFloat16EDv1_fLi4ELb1ELb0ELb1EEEvPT_PKS4_PfPimiiiif,"axG",@progbits,_ZN5aiter19grouped_topk_kernelIN3c108BFloat16EDv1_fLi4ELb1ELb0ELb1EEEvPT_PKS4_PfPimiiiif,comdat
	.protected	_ZN5aiter19grouped_topk_kernelIN3c108BFloat16EDv1_fLi4ELb1ELb0ELb1EEEvPT_PKS4_PfPimiiiif ; -- Begin function _ZN5aiter19grouped_topk_kernelIN3c108BFloat16EDv1_fLi4ELb1ELb0ELb1EEEvPT_PKS4_PfPimiiiif
	.globl	_ZN5aiter19grouped_topk_kernelIN3c108BFloat16EDv1_fLi4ELb1ELb0ELb1EEEvPT_PKS4_PfPimiiiif
	.p2align	8
	.type	_ZN5aiter19grouped_topk_kernelIN3c108BFloat16EDv1_fLi4ELb1ELb0ELb1EEEvPT_PKS4_PfPimiiiif,@function
_ZN5aiter19grouped_topk_kernelIN3c108BFloat16EDv1_fLi4ELb1ELb0ELb1EEEvPT_PKS4_PfPimiiiif: ; @_ZN5aiter19grouped_topk_kernelIN3c108BFloat16EDv1_fLi4ELb1ELb0ELb1EEEvPT_PKS4_PfPimiiiif
; %bb.0:
	s_load_dwordx4 s[8:11], s[4:5], 0x28
	s_load_dwordx4 s[12:15], s[4:5], 0x10
	v_mov_b32_e32 v2, 0xff800000
	v_lshl_add_u32 v1, v0, 2, 0
	s_waitcnt lgkmcnt(0)
	v_cmp_gt_i32_e64 s[0:1], s8, v0
	s_and_saveexec_b64 s[2:3], s[0:1]
	s_cbranch_execz .LBB225_4
; %bb.1:
	s_load_dword s11, s[4:5], 0x4c
	s_load_dwordx2 s[16:17], s[4:5], 0x0
	s_mul_i32 s7, s6, s8
	v_lshl_add_u32 v3, v0, 2, 0
	s_mov_b64 s[18:19], 0
	s_waitcnt lgkmcnt(0)
	s_and_b32 s11, s11, 0xffff
	s_lshl_b32 s20, s11, 2
	v_mov_b32_e32 v2, 0xff800000
	v_mov_b32_e32 v4, s17
	;; [unrolled: 1-line block ×3, first 2 shown]
.LBB225_2:                              ; =>This Inner Loop Header: Depth=1
	v_add_u32_e32 v6, s7, v5
	v_ashrrev_i32_e32 v7, 31, v6
	v_lshlrev_b64 v[6:7], 1, v[6:7]
	v_add_co_u32_e32 v6, vcc, s16, v6
	v_addc_co_u32_e32 v7, vcc, v4, v7, vcc
	global_load_ushort v6, v[6:7], off
	v_add_u32_e32 v5, s11, v5
	v_cmp_le_i32_e32 vcc, s8, v5
	s_or_b64 s[18:19], vcc, s[18:19]
	s_waitcnt vmcnt(0)
	v_lshrrev_b16_e32 v7, 8, v6
	v_and_b32_e32 v6, 0xff, v6
	v_lshlrev_b32_e32 v6, 16, v6
	v_lshl_or_b32 v6, v7, 24, v6
	v_cmp_lt_f32_e32 vcc, v2, v6
	ds_write_b32 v3, v6
	v_cndmask_b32_e32 v2, v2, v6, vcc
	v_add_u32_e32 v3, s20, v3
	s_andn2_b64 exec, exec, s[18:19]
	s_cbranch_execnz .LBB225_2
; %bb.3:
	s_or_b64 exec, exec, s[18:19]
.LBB225_4:
	s_or_b64 exec, exec, s[2:3]
	v_mov_b32_dpp v3, v2 quad_perm:[1,0,3,2] row_mask:0xf bank_mask:0xf
	v_cmp_lt_f32_e32 vcc, v2, v3
	v_cndmask_b32_e32 v2, v2, v3, vcc
	v_bfrev_b32_e32 v4, 0.5
	s_waitcnt lgkmcnt(0)
	v_mov_b32_dpp v3, v2 quad_perm:[2,3,0,1] row_mask:0xf bank_mask:0xf
	v_cmp_lt_f32_e32 vcc, v2, v3
	v_cndmask_b32_e32 v2, v2, v3, vcc
	s_barrier
	s_nop 0
	v_mov_b32_dpp v3, v2 row_half_mirror row_mask:0xf bank_mask:0xf
	v_cmp_lt_f32_e32 vcc, v2, v3
	v_cndmask_b32_e32 v2, v2, v3, vcc
	s_nop 1
	v_mov_b32_dpp v3, v2 row_mirror row_mask:0xf bank_mask:0xf
	v_cmp_lt_f32_e32 vcc, v2, v3
	v_cndmask_b32_e32 v2, v2, v3, vcc
	s_nop 1
	v_mov_b32_dpp v3, v2 row_bcast:15 row_mask:0xf bank_mask:0xf
	v_cmp_lt_f32_e32 vcc, v2, v3
	v_cndmask_b32_e32 v2, v2, v3, vcc
	s_nop 1
	v_mov_b32_dpp v3, v2 row_bcast:31 row_mask:0xf bank_mask:0xf
	v_cmp_lt_f32_e32 vcc, v2, v3
	v_cndmask_b32_e32 v3, v2, v3, vcc
	v_mbcnt_lo_u32_b32 v2, -1, 0
	v_mbcnt_hi_u32_b32 v2, -1, v2
	v_lshl_or_b32 v2, v2, 2, v4
	ds_bpermute_b32 v4, v2, v3
	v_mov_b32_e32 v3, 0
	s_and_saveexec_b64 s[2:3], s[0:1]
	s_cbranch_execz .LBB225_8
; %bb.5:
	s_load_dword s11, s[4:5], 0x4c
	v_lshl_add_u32 v5, v0, 2, 0
	s_mov_b64 s[16:17], 0
	v_mov_b32_e32 v3, 0
	s_mov_b32 s7, 0x3fb8aa3b
	s_waitcnt lgkmcnt(0)
	s_and_b32 s11, s11, 0xffff
	s_lshl_b32 s18, s11, 2
	s_mov_b32 s19, 0xc2ce8ed0
	s_mov_b32 s20, 0x42b17218
	v_mov_b32_e32 v6, 0x7f800000
	v_mov_b32_e32 v7, v0
.LBB225_6:                              ; =>This Inner Loop Header: Depth=1
	ds_read_b32 v8, v5
	v_add_u32_e32 v7, s11, v7
	s_waitcnt lgkmcnt(0)
	v_sub_f32_e32 v8, v8, v4
	v_mul_f32_e32 v9, 0x3fb8aa3b, v8
	v_fma_f32 v10, v8, s7, -v9
	v_rndne_f32_e32 v11, v9
	v_fmac_f32_e32 v10, 0x32a5705f, v8
	v_sub_f32_e32 v9, v9, v11
	v_add_f32_e32 v9, v9, v10
	v_cvt_i32_f32_e32 v11, v11
	v_exp_f32_e32 v9, v9
	v_cmp_ngt_f32_e32 vcc, s19, v8
	v_ldexp_f32 v9, v9, v11
	v_cndmask_b32_e32 v9, 0, v9, vcc
	v_cmp_nlt_f32_e32 vcc, s20, v8
	v_cndmask_b32_e32 v8, v6, v9, vcc
	v_cmp_le_i32_e32 vcc, s8, v7
	ds_write_b32 v5, v8
	v_add_f32_e32 v3, v3, v8
	s_or_b64 s[16:17], vcc, s[16:17]
	v_add_u32_e32 v5, s18, v5
	s_andn2_b64 exec, exec, s[16:17]
	s_cbranch_execnz .LBB225_6
; %bb.7:
	s_or_b64 exec, exec, s[16:17]
.LBB225_8:
	s_or_b64 exec, exec, s[2:3]
	s_waitcnt lgkmcnt(0)
	v_mov_b32_dpp v4, v3 quad_perm:[1,0,3,2] row_mask:0xf bank_mask:0xf
	v_add_f32_e32 v3, v3, v4
	s_barrier
	s_nop 0
	v_mov_b32_dpp v4, v3 quad_perm:[2,3,0,1] row_mask:0xf bank_mask:0xf
	v_add_f32_e32 v3, v3, v4
	s_nop 1
	v_mov_b32_dpp v4, v3 row_half_mirror row_mask:0xf bank_mask:0xf
	v_add_f32_e32 v3, v3, v4
	s_nop 1
	v_mov_b32_dpp v4, v3 row_mirror row_mask:0xf bank_mask:0xf
	v_add_f32_e32 v3, v3, v4
	s_nop 1
	v_mov_b32_dpp v4, v3 row_bcast:15 row_mask:0xf bank_mask:0xf
	v_add_f32_e32 v3, v3, v4
	s_nop 1
	v_mov_b32_dpp v4, v3 row_bcast:31 row_mask:0xf bank_mask:0xf
	v_add_f32_e32 v3, v3, v4
	ds_bpermute_b32 v2, v2, v3
	s_and_saveexec_b64 s[2:3], s[0:1]
	s_cbranch_execz .LBB225_11
; %bb.9:
	s_load_dword s7, s[4:5], 0x4c
	v_lshl_add_u32 v3, v0, 2, 0
	s_mov_b64 s[16:17], 0
	v_mov_b32_e32 v4, v0
	s_waitcnt lgkmcnt(0)
	s_and_b32 s7, s7, 0xffff
	s_lshl_b32 s11, s7, 2
.LBB225_10:                             ; =>This Inner Loop Header: Depth=1
	ds_read_b32 v5, v3
	v_add_u32_e32 v4, s7, v4
	v_cmp_le_i32_e32 vcc, s8, v4
	s_or_b64 s[16:17], vcc, s[16:17]
	s_waitcnt lgkmcnt(0)
	v_div_scale_f32 v6, s[18:19], v2, v2, v5
	v_rcp_f32_e32 v7, v6
	v_div_scale_f32 v8, vcc, v5, v2, v5
	v_fma_f32 v9, -v6, v7, 1.0
	v_fmac_f32_e32 v7, v9, v7
	v_mul_f32_e32 v9, v8, v7
	v_fma_f32 v10, -v6, v9, v8
	v_fmac_f32_e32 v9, v10, v7
	v_fma_f32 v6, -v6, v9, v8
	v_div_fmas_f32 v6, v6, v7, v9
	v_div_fixup_f32 v5, v6, v2, v5
	ds_write_b32 v3, v5
	v_add_u32_e32 v3, s11, v3
	s_andn2_b64 exec, exec, s[16:17]
	s_cbranch_execnz .LBB225_10
.LBB225_11:
	s_or_b64 exec, exec, s[2:3]
	s_ashr_i32 s2, s8, 31
	s_lshr_b32 s2, s2, 30
	s_add_i32 s2, s8, s2
	s_ashr_i32 s11, s2, 2
	s_lshl_b32 s2, s8, 2
	s_add_i32 s7, s2, 0
	v_cmp_gt_u32_e32 vcc, 4, v0
	s_waitcnt lgkmcnt(0)
	s_barrier
	s_and_saveexec_b64 s[16:17], vcc
	s_cbranch_execz .LBB225_18
; %bb.12:
	s_load_dword s2, s[4:5], 0x4c
	v_mul_lo_u32 v2, v0, s11
	v_lshl_add_u32 v2, v2, 2, 0
	s_waitcnt lgkmcnt(0)
	s_and_b32 s22, s2, 0xffff
	s_cmp_gt_i32 s8, 3
	s_cselect_b64 s[2:3], -1, 0
	s_mul_i32 s18, s11, s22
	v_cndmask_b32_e64 v3, 0, 1, s[2:3]
	s_lshl_b32 s23, s18, 2
	s_mov_b64 s[18:19], 0
	v_cmp_ne_u32_e64 s[2:3], 1, v3
	v_mov_b32_e32 v3, v0
	s_branch .LBB225_14
.LBB225_13:                             ;   in Loop: Header=BB225_14 Depth=1
	v_lshl_add_u32 v5, v3, 2, s7
	v_add_u32_e32 v3, s22, v3
	v_cmp_lt_u32_e32 vcc, 3, v3
	s_or_b64 s[18:19], vcc, s[18:19]
	v_add_u32_e32 v2, s23, v2
	ds_write_b32 v5, v4
	s_andn2_b64 exec, exec, s[18:19]
	s_cbranch_execz .LBB225_18
.LBB225_14:                             ; =>This Loop Header: Depth=1
                                        ;     Child Loop BB225_16 Depth 2
	s_and_b64 vcc, exec, s[2:3]
	v_mov_b32_e32 v4, 0xff800000
	s_cbranch_vccnz .LBB225_13
; %bb.15:                               ;   in Loop: Header=BB225_14 Depth=1
	v_mul_lo_u32 v5, v3, s11
	v_add_u32_e32 v6, s11, v5
	s_mov_b64 s[20:21], 0
	v_mov_b32_e32 v4, 0xff800000
	v_mov_b32_e32 v7, v2
.LBB225_16:                             ;   Parent Loop BB225_14 Depth=1
                                        ; =>  This Inner Loop Header: Depth=2
	ds_read_b32 v8, v7
	v_add_u32_e32 v5, 1, v5
	v_cmp_ge_i32_e32 vcc, v5, v6
	s_or_b64 s[20:21], vcc, s[20:21]
	v_add_u32_e32 v7, 4, v7
	s_waitcnt lgkmcnt(0)
	v_cmp_gt_f32_e32 vcc, v8, v4
	v_cndmask_b32_e32 v4, v4, v8, vcc
	s_andn2_b64 exec, exec, s[20:21]
	s_cbranch_execnz .LBB225_16
; %bb.17:                               ;   in Loop: Header=BB225_14 Depth=1
	s_or_b64 exec, exec, s[20:21]
	s_branch .LBB225_13
.LBB225_18:
	s_or_b64 exec, exec, s[16:17]
	s_cmp_lt_i32 s10, 1
	s_waitcnt lgkmcnt(0)
	s_barrier
	s_cbranch_scc1 .LBB225_21
; %bb.19:
	v_mov_b32_e32 v2, s7
	s_mov_b32 s2, 0xff800000
	v_mov_b32_e32 v3, 0xff800000
.LBB225_20:                             ; =>This Inner Loop Header: Depth=1
	ds_read2_b32 v[4:5], v2 offset1:1
	ds_read2_b32 v[6:7], v2 offset0:2 offset1:3
	s_waitcnt lgkmcnt(1)
	v_cmp_nlg_f32_e32 vcc, s2, v4
	v_cndmask_b32_e64 v8, 0, 1, vcc
	v_cmp_lg_f32_e32 vcc, s2, v4
	v_cndmask_b32_e32 v4, v3, v4, vcc
	v_readfirstlane_b32 s3, v8
	v_cmp_gt_f32_e32 vcc, v5, v4
	s_lshl_b32 s3, s3, 2
	v_cndmask_b32_e32 v4, v4, v5, vcc
	s_and_b64 s[16:17], vcc, exec
	s_waitcnt lgkmcnt(0)
	v_cmp_gt_f32_e32 vcc, v6, v4
	v_cndmask_b32_e32 v4, v4, v6, vcc
	s_cselect_b32 s3, 1, s3
	s_and_b64 s[16:17], vcc, exec
	v_cmp_ngt_f32_e32 vcc, v7, v4
	s_cselect_b32 s3, 2, s3
	s_and_b64 s[16:17], vcc, exec
	s_cselect_b32 s3, s3, 3
	s_lshl_b32 s3, s3, 2
	s_add_i32 s3, s7, s3
	s_add_i32 s10, s10, -1
	v_mov_b32_e32 v4, s3
	s_cmp_lg_u32 s10, 0
	ds_write_b32 v4, v3
	s_cbranch_scc1 .LBB225_20
.LBB225_21:
	s_and_saveexec_b64 s[2:3], s[0:1]
	s_cbranch_execz .LBB225_26
; %bb.22:
	s_abs_i32 s18, s11
	v_cvt_f32_u32_e32 v3, s18
	s_load_dword s16, s[4:5], 0x4c
	s_sub_i32 s17, 0, s18
	s_ashr_i32 s19, s11, 31
	v_rcp_iflag_f32_e32 v4, v3
	v_lshl_add_u32 v2, v0, 2, 0
	s_waitcnt lgkmcnt(0)
	s_and_b32 s21, s16, 0xffff
	s_mov_b64 s[10:11], 0
	v_mul_f32_e32 v4, 0x4f7ffffe, v4
	v_cvt_u32_f32_e32 v4, v4
	s_mov_b32 s20, 0xff800000
	v_mov_b32_e32 v3, 0xff800000
	s_lshl_b32 s22, s21, 2
	v_mul_lo_u32 v5, s17, v4
	v_mul_hi_u32 v5, v4, v5
	v_add_u32_e32 v4, v4, v5
	v_mov_b32_e32 v5, v0
	s_branch .LBB225_24
.LBB225_23:                             ;   in Loop: Header=BB225_24 Depth=1
	s_or_b64 exec, exec, s[16:17]
	v_add_u32_e32 v5, s21, v5
	v_cmp_le_i32_e32 vcc, s8, v5
	s_or_b64 s[10:11], vcc, s[10:11]
	v_add_u32_e32 v2, s22, v2
	s_andn2_b64 exec, exec, s[10:11]
	s_cbranch_execz .LBB225_26
.LBB225_24:                             ; =>This Inner Loop Header: Depth=1
	v_sub_u32_e32 v7, 0, v5
	v_max_i32_e32 v7, v5, v7
	v_mul_hi_u32 v8, v7, v4
	v_mul_lo_u32 v9, v8, s18
	v_sub_u32_e32 v7, v7, v9
	v_add_u32_e32 v9, 1, v8
	v_cmp_le_u32_e32 vcc, s18, v7
	v_cndmask_b32_e32 v8, v8, v9, vcc
	v_subrev_u32_e32 v9, s18, v7
	v_cndmask_b32_e32 v7, v7, v9, vcc
	v_ashrrev_i32_e32 v6, 31, v5
	v_add_u32_e32 v9, 1, v8
	v_cmp_le_u32_e32 vcc, s18, v7
	v_xor_b32_e32 v6, s19, v6
	v_cndmask_b32_e32 v7, v8, v9, vcc
	v_xor_b32_e32 v7, v7, v6
	v_sub_u32_e32 v6, v7, v6
	v_lshl_add_u32 v6, v6, 2, s7
	ds_read_b32 v6, v6
	s_waitcnt lgkmcnt(0)
	v_cmp_neq_f32_e32 vcc, s20, v6
	s_and_saveexec_b64 s[16:17], vcc
	s_cbranch_execz .LBB225_23
; %bb.25:                               ;   in Loop: Header=BB225_24 Depth=1
	ds_write_b32 v2, v3
	s_branch .LBB225_23
.LBB225_26:
	s_or_b64 exec, exec, s[2:3]
	s_cmp_lt_i32 s9, 1
	s_waitcnt lgkmcnt(0)
	s_barrier
	s_cbranch_scc1 .LBB225_33
; %bb.27:
	s_add_u32 s2, s4, 64
	s_addc_u32 s3, s5, 0
	s_mov_b32 s7, 0
	v_mov_b32_e32 v3, 0
	v_mov_b32_e32 v5, 0xff800000
                                        ; implicit-def: $vgpr4
                                        ; implicit-def: $vgpr2
	s_branch .LBB225_29
.LBB225_28:                             ;   in Loop: Header=BB225_29 Depth=1
	s_or_b64 exec, exec, s[10:11]
	v_mov_b32_dpp v9, v7 quad_perm:[1,0,3,2] row_mask:0xf bank_mask:0xf
	v_cmp_lt_f32_e32 vcc, v7, v9
	v_cndmask_b32_e32 v7, v7, v9, vcc
	v_mov_b32_dpp v8, v6 quad_perm:[1,0,3,2] row_mask:0xf bank_mask:0xf
	v_cndmask_b32_e32 v6, v6, v8, vcc
	v_mov_b32_dpp v9, v7 quad_perm:[2,3,0,1] row_mask:0xf bank_mask:0xf
	v_cmp_gt_f32_e32 vcc, v9, v7
	v_cndmask_b32_e32 v7, v7, v9, vcc
	v_mov_b32_dpp v8, v6 quad_perm:[2,3,0,1] row_mask:0xf bank_mask:0xf
	v_cndmask_b32_e32 v6, v6, v8, vcc
	v_mov_b32_dpp v9, v7 row_half_mirror row_mask:0xf bank_mask:0xf
	v_cmp_gt_f32_e32 vcc, v9, v7
	v_cndmask_b32_e32 v7, v7, v9, vcc
	v_mov_b32_dpp v8, v6 row_half_mirror row_mask:0xf bank_mask:0xf
	v_cndmask_b32_e32 v6, v6, v8, vcc
	v_mov_b32_dpp v9, v7 row_mirror row_mask:0xf bank_mask:0xf
	v_cmp_gt_f32_e32 vcc, v9, v7
	v_cndmask_b32_e32 v7, v7, v9, vcc
	v_mov_b32_dpp v8, v6 row_mirror row_mask:0xf bank_mask:0xf
	v_cndmask_b32_e32 v6, v6, v8, vcc
	v_mov_b32_dpp v9, v7 row_bcast:15 row_mask:0xf bank_mask:0xf
	v_cmp_gt_f32_e32 vcc, v9, v7
	v_mov_b32_dpp v8, v6 row_bcast:15 row_mask:0xf bank_mask:0xf
	v_cndmask_b32_e32 v7, v7, v9, vcc
	v_cndmask_b32_e32 v6, v6, v8, vcc
	s_nop 0
	v_mov_b32_dpp v9, v7 row_bcast:31 row_mask:0xf bank_mask:0xf
	v_mov_b32_dpp v8, v6 row_bcast:31 row_mask:0xf bank_mask:0xf
	v_cmp_gt_f32_e32 vcc, v9, v7
	v_cndmask_b32_e32 v6, v6, v8, vcc
	v_readlane_b32 s11, v6, 63
	s_lshl_b32 s16, s11, 2
	s_add_i32 s16, s16, 0
	v_cndmask_b32_e32 v7, v7, v9, vcc
	v_mov_b32_e32 v6, s16
	v_readlane_b32 s10, v7, 63
	ds_write_b32 v6, v5
	v_mov_b32_e32 v6, s11
	v_cmp_eq_u32_e32 vcc, s7, v0
	v_cndmask_b32_e32 v2, v2, v6, vcc
	v_mov_b32_e32 v6, s10
	s_add_i32 s7, s7, 1
	v_cndmask_b32_e32 v4, v4, v6, vcc
	s_cmp_eq_u32 s7, s9
	v_add_f32_e32 v3, s10, v3
	s_cbranch_scc1 .LBB225_34
.LBB225_29:                             ; =>This Loop Header: Depth=1
                                        ;     Child Loop BB225_31 Depth 2
	v_mov_b32_e32 v6, s7
	v_mov_b32_e32 v7, 0xff800000
	s_and_saveexec_b64 s[10:11], s[0:1]
	s_cbranch_execz .LBB225_28
; %bb.30:                               ;   in Loop: Header=BB225_29 Depth=1
	s_load_dword s18, s[2:3], 0xc
	s_mov_b64 s[16:17], 0
	v_mov_b32_e32 v6, s7
	v_mov_b32_e32 v7, 0xff800000
	;; [unrolled: 1-line block ×3, first 2 shown]
	s_waitcnt lgkmcnt(0)
	s_and_b32 s18, s18, 0xffff
	s_lshl_b32 s19, s18, 2
	v_mov_b32_e32 v9, v0
.LBB225_31:                             ;   Parent Loop BB225_29 Depth=1
                                        ; =>  This Inner Loop Header: Depth=2
	ds_read_b32 v10, v8
	v_add_u32_e32 v8, s19, v8
	s_waitcnt lgkmcnt(0)
	v_cmp_gt_f32_e32 vcc, v10, v7
	v_cndmask_b32_e32 v6, v6, v9, vcc
	v_add_u32_e32 v9, s18, v9
	v_cndmask_b32_e32 v7, v7, v10, vcc
	v_cmp_le_i32_e32 vcc, s8, v9
	s_or_b64 s[16:17], vcc, s[16:17]
	s_andn2_b64 exec, exec, s[16:17]
	s_cbranch_execnz .LBB225_31
; %bb.32:                               ;   in Loop: Header=BB225_29 Depth=1
	s_or_b64 exec, exec, s[16:17]
	s_branch .LBB225_28
.LBB225_33:
	v_mov_b32_e32 v3, 0
                                        ; implicit-def: $vgpr4
                                        ; implicit-def: $vgpr2
.LBB225_34:
	v_cmp_gt_i32_e32 vcc, s9, v0
	s_and_saveexec_b64 s[0:1], vcc
	s_cbranch_execz .LBB225_37
; %bb.35:
	s_load_dword s7, s[4:5], 0x38
	s_load_dwordx2 s[0:1], s[4:5], 0x20
	s_load_dword s8, s[4:5], 0x4c
	s_waitcnt lgkmcnt(0)
	v_div_scale_f32 v1, s[2:3], v3, v3, s7
	v_rcp_f32_e32 v5, v1
	v_div_scale_f32 v6, vcc, s7, v3, s7
	s_ashr_i32 s2, s6, 31
	v_fma_f32 v7, -v1, v5, 1.0
	v_fmac_f32_e32 v5, v7, v5
	v_mul_f32_e32 v7, v6, v5
	v_fma_f32 v8, -v1, v7, v6
	v_fmac_f32_e32 v7, v8, v5
	v_fma_f32 v1, -v1, v7, v6
	s_mul_i32 s1, s6, s1
	s_mul_hi_u32 s3, s6, s0
	v_div_fmas_f32 v1, v1, v5, v7
	s_add_i32 s1, s3, s1
	s_mul_i32 s2, s2, s0
	v_div_fixup_f32 v1, v1, v3, s7
	s_add_i32 s4, s1, s2
	v_mul_f32_e32 v1, v1, v4
	s_mul_i32 s2, s6, s0
	s_and_b32 s3, s8, 0xffff
	s_mov_b64 s[0:1], 0
	v_mov_b32_e32 v3, s4
	v_mov_b32_e32 v4, s13
	v_mov_b32_e32 v5, s15
.LBB225_36:                             ; =>This Inner Loop Header: Depth=1
	v_ashrrev_i32_e32 v7, 31, v0
	v_add_co_u32_e32 v6, vcc, s2, v0
	v_addc_co_u32_e32 v7, vcc, v3, v7, vcc
	v_add_u32_e32 v0, s3, v0
	v_cmp_le_i32_e32 vcc, s9, v0
	v_lshlrev_b64 v[6:7], 2, v[6:7]
	s_or_b64 s[0:1], vcc, s[0:1]
	v_add_co_u32_e32 v8, vcc, s12, v6
	v_addc_co_u32_e32 v9, vcc, v4, v7, vcc
	v_add_co_u32_e32 v6, vcc, s14, v6
	v_addc_co_u32_e32 v7, vcc, v5, v7, vcc
	global_store_dword v[8:9], v1, off
	global_store_dword v[6:7], v2, off
	s_andn2_b64 exec, exec, s[0:1]
	s_cbranch_execnz .LBB225_36
.LBB225_37:
	s_endpgm
	.section	.rodata,"a",@progbits
	.p2align	6, 0x0
	.amdhsa_kernel _ZN5aiter19grouped_topk_kernelIN3c108BFloat16EDv1_fLi4ELb1ELb0ELb1EEEvPT_PKS4_PfPimiiiif
		.amdhsa_group_segment_fixed_size 0
		.amdhsa_private_segment_fixed_size 0
		.amdhsa_kernarg_size 320
		.amdhsa_user_sgpr_count 6
		.amdhsa_user_sgpr_private_segment_buffer 1
		.amdhsa_user_sgpr_dispatch_ptr 0
		.amdhsa_user_sgpr_queue_ptr 0
		.amdhsa_user_sgpr_kernarg_segment_ptr 1
		.amdhsa_user_sgpr_dispatch_id 0
		.amdhsa_user_sgpr_flat_scratch_init 0
		.amdhsa_user_sgpr_kernarg_preload_length 0
		.amdhsa_user_sgpr_kernarg_preload_offset 0
		.amdhsa_user_sgpr_private_segment_size 0
		.amdhsa_uses_dynamic_stack 0
		.amdhsa_system_sgpr_private_segment_wavefront_offset 0
		.amdhsa_system_sgpr_workgroup_id_x 1
		.amdhsa_system_sgpr_workgroup_id_y 0
		.amdhsa_system_sgpr_workgroup_id_z 0
		.amdhsa_system_sgpr_workgroup_info 0
		.amdhsa_system_vgpr_workitem_id 0
		.amdhsa_next_free_vgpr 12
		.amdhsa_next_free_sgpr 24
		.amdhsa_accum_offset 12
		.amdhsa_reserve_vcc 1
		.amdhsa_reserve_flat_scratch 0
		.amdhsa_float_round_mode_32 0
		.amdhsa_float_round_mode_16_64 0
		.amdhsa_float_denorm_mode_32 3
		.amdhsa_float_denorm_mode_16_64 3
		.amdhsa_dx10_clamp 1
		.amdhsa_ieee_mode 1
		.amdhsa_fp16_overflow 0
		.amdhsa_tg_split 0
		.amdhsa_exception_fp_ieee_invalid_op 0
		.amdhsa_exception_fp_denorm_src 0
		.amdhsa_exception_fp_ieee_div_zero 0
		.amdhsa_exception_fp_ieee_overflow 0
		.amdhsa_exception_fp_ieee_underflow 0
		.amdhsa_exception_fp_ieee_inexact 0
		.amdhsa_exception_int_div_zero 0
	.end_amdhsa_kernel
	.section	.text._ZN5aiter19grouped_topk_kernelIN3c108BFloat16EDv1_fLi4ELb1ELb0ELb1EEEvPT_PKS4_PfPimiiiif,"axG",@progbits,_ZN5aiter19grouped_topk_kernelIN3c108BFloat16EDv1_fLi4ELb1ELb0ELb1EEEvPT_PKS4_PfPimiiiif,comdat
.Lfunc_end225:
	.size	_ZN5aiter19grouped_topk_kernelIN3c108BFloat16EDv1_fLi4ELb1ELb0ELb1EEEvPT_PKS4_PfPimiiiif, .Lfunc_end225-_ZN5aiter19grouped_topk_kernelIN3c108BFloat16EDv1_fLi4ELb1ELb0ELb1EEEvPT_PKS4_PfPimiiiif
                                        ; -- End function
	.section	.AMDGPU.csdata,"",@progbits
; Kernel info:
; codeLenInByte = 2236
; NumSgprs: 28
; NumVgprs: 12
; NumAgprs: 0
; TotalNumVgprs: 12
; ScratchSize: 0
; MemoryBound: 0
; FloatMode: 240
; IeeeMode: 1
; LDSByteSize: 0 bytes/workgroup (compile time only)
; SGPRBlocks: 3
; VGPRBlocks: 1
; NumSGPRsForWavesPerEU: 28
; NumVGPRsForWavesPerEU: 12
; AccumOffset: 12
; Occupancy: 8
; WaveLimiterHint : 0
; COMPUTE_PGM_RSRC2:SCRATCH_EN: 0
; COMPUTE_PGM_RSRC2:USER_SGPR: 6
; COMPUTE_PGM_RSRC2:TRAP_HANDLER: 0
; COMPUTE_PGM_RSRC2:TGID_X_EN: 1
; COMPUTE_PGM_RSRC2:TGID_Y_EN: 0
; COMPUTE_PGM_RSRC2:TGID_Z_EN: 0
; COMPUTE_PGM_RSRC2:TIDIG_COMP_CNT: 0
; COMPUTE_PGM_RSRC3_GFX90A:ACCUM_OFFSET: 2
; COMPUTE_PGM_RSRC3_GFX90A:TG_SPLIT: 0
	.section	.text._ZN5aiter19grouped_topk_kernelIfDv1_fLi4ELb1ELb0ELb0EEEvPT_PKS2_PfPimiiiif,"axG",@progbits,_ZN5aiter19grouped_topk_kernelIfDv1_fLi4ELb1ELb0ELb0EEEvPT_PKS2_PfPimiiiif,comdat
	.protected	_ZN5aiter19grouped_topk_kernelIfDv1_fLi4ELb1ELb0ELb0EEEvPT_PKS2_PfPimiiiif ; -- Begin function _ZN5aiter19grouped_topk_kernelIfDv1_fLi4ELb1ELb0ELb0EEEvPT_PKS2_PfPimiiiif
	.globl	_ZN5aiter19grouped_topk_kernelIfDv1_fLi4ELb1ELb0ELb0EEEvPT_PKS2_PfPimiiiif
	.p2align	8
	.type	_ZN5aiter19grouped_topk_kernelIfDv1_fLi4ELb1ELb0ELb0EEEvPT_PKS2_PfPimiiiif,@function
_ZN5aiter19grouped_topk_kernelIfDv1_fLi4ELb1ELb0ELb0EEEvPT_PKS2_PfPimiiiif: ; @_ZN5aiter19grouped_topk_kernelIfDv1_fLi4ELb1ELb0ELb0EEEvPT_PKS2_PfPimiiiif
; %bb.0:
	s_load_dwordx4 s[8:11], s[4:5], 0x28
	s_load_dwordx4 s[12:15], s[4:5], 0x10
	v_lshl_add_u32 v1, v0, 2, 0
	s_waitcnt lgkmcnt(0)
	v_cmp_gt_i32_e64 s[0:1], s8, v0
	s_and_saveexec_b64 s[2:3], s[0:1]
	s_cbranch_execz .LBB226_3
; %bb.1:
	s_load_dwordx2 s[16:17], s[4:5], 0x0
	s_load_dword s11, s[4:5], 0x4c
	s_mul_i32 s18, s6, s8
	s_ashr_i32 s19, s18, 31
	s_lshl_b64 s[18:19], s[18:19], 2
	s_waitcnt lgkmcnt(0)
	s_add_u32 s7, s16, s18
	s_addc_u32 s19, s17, s19
	s_and_b32 s11, s11, 0xffff
	v_lshl_add_u32 v4, v0, 2, 0
	s_lshl_b32 s18, s11, 2
	s_mov_b64 s[16:17], 0
	v_mov_b32_e32 v5, s19
	s_mov_b32 s19, 0xbfb8aa3b
	s_mov_b32 s20, 0x42ce8ed0
	;; [unrolled: 1-line block ×3, first 2 shown]
	v_mov_b32_e32 v6, 0x7f800000
	v_mov_b32_e32 v2, v0
.LBB226_2:                              ; =>This Inner Loop Header: Depth=1
	v_ashrrev_i32_e32 v3, 31, v2
	v_lshlrev_b64 v[8:9], 2, v[2:3]
	v_add_co_u32_e32 v8, vcc, s7, v8
	v_addc_co_u32_e32 v9, vcc, v5, v9, vcc
	global_load_dword v3, v[8:9], off
	v_add_u32_e32 v2, s11, v2
	v_cmp_le_i32_e32 vcc, s8, v2
	s_or_b64 s[16:17], vcc, s[16:17]
	s_waitcnt vmcnt(0)
	v_mul_f32_e32 v7, 0xbfb8aa3b, v3
	v_fma_f32 v8, v3, s19, -v7
	v_rndne_f32_e32 v9, v7
	v_fmac_f32_e32 v8, 0xb2a5705f, v3
	v_sub_f32_e32 v7, v7, v9
	v_add_f32_e32 v7, v7, v8
	v_cvt_i32_f32_e32 v9, v9
	v_exp_f32_e32 v7, v7
	v_cmp_nlt_f32_e32 vcc, s20, v3
	v_ldexp_f32 v7, v7, v9
	v_cndmask_b32_e32 v7, 0, v7, vcc
	v_cmp_ngt_f32_e32 vcc, s21, v3
	v_cndmask_b32_e32 v3, v6, v7, vcc
	v_add_f32_e32 v3, 1.0, v3
	v_div_scale_f32 v7, s[22:23], v3, v3, 1.0
	v_rcp_f32_e32 v8, v7
	v_div_scale_f32 v9, vcc, 1.0, v3, 1.0
	v_fma_f32 v10, -v7, v8, 1.0
	v_fmac_f32_e32 v8, v10, v8
	v_mul_f32_e32 v10, v9, v8
	v_fma_f32 v11, -v7, v10, v9
	v_fmac_f32_e32 v10, v11, v8
	v_fma_f32 v7, -v7, v10, v9
	v_div_fmas_f32 v7, v7, v8, v10
	v_div_fixup_f32 v3, v7, v3, 1.0
	ds_write_b32 v4, v3
	v_add_u32_e32 v4, s18, v4
	s_andn2_b64 exec, exec, s[16:17]
	s_cbranch_execnz .LBB226_2
.LBB226_3:
	s_or_b64 exec, exec, s[2:3]
	s_ashr_i32 s2, s8, 31
	s_lshr_b32 s2, s2, 30
	s_add_i32 s2, s8, s2
	s_ashr_i32 s11, s2, 2
	s_lshl_b32 s2, s8, 2
	s_add_i32 s7, s2, 0
	v_cmp_gt_u32_e32 vcc, 4, v0
	s_waitcnt lgkmcnt(0)
	s_barrier
	s_and_saveexec_b64 s[16:17], vcc
	s_cbranch_execz .LBB226_10
; %bb.4:
	s_load_dword s2, s[4:5], 0x4c
	v_mul_lo_u32 v2, v0, s11
	v_lshl_add_u32 v2, v2, 2, 0
	s_waitcnt lgkmcnt(0)
	s_and_b32 s22, s2, 0xffff
	s_cmp_gt_i32 s8, 3
	s_cselect_b64 s[2:3], -1, 0
	s_mul_i32 s18, s11, s22
	v_cndmask_b32_e64 v3, 0, 1, s[2:3]
	s_lshl_b32 s23, s18, 2
	s_mov_b64 s[18:19], 0
	v_cmp_ne_u32_e64 s[2:3], 1, v3
	v_mov_b32_e32 v3, v0
	s_branch .LBB226_6
.LBB226_5:                              ;   in Loop: Header=BB226_6 Depth=1
	v_lshl_add_u32 v5, v3, 2, s7
	v_add_u32_e32 v3, s22, v3
	v_cmp_lt_u32_e32 vcc, 3, v3
	s_or_b64 s[18:19], vcc, s[18:19]
	v_add_u32_e32 v2, s23, v2
	ds_write_b32 v5, v4
	s_andn2_b64 exec, exec, s[18:19]
	s_cbranch_execz .LBB226_10
.LBB226_6:                              ; =>This Loop Header: Depth=1
                                        ;     Child Loop BB226_8 Depth 2
	s_and_b64 vcc, exec, s[2:3]
	v_mov_b32_e32 v4, 0xff800000
	s_cbranch_vccnz .LBB226_5
; %bb.7:                                ;   in Loop: Header=BB226_6 Depth=1
	v_mul_lo_u32 v5, v3, s11
	v_add_u32_e32 v6, s11, v5
	s_mov_b64 s[20:21], 0
	v_mov_b32_e32 v4, 0xff800000
	v_mov_b32_e32 v7, v2
.LBB226_8:                              ;   Parent Loop BB226_6 Depth=1
                                        ; =>  This Inner Loop Header: Depth=2
	ds_read_b32 v8, v7
	v_add_u32_e32 v5, 1, v5
	v_cmp_ge_i32_e32 vcc, v5, v6
	s_or_b64 s[20:21], vcc, s[20:21]
	v_add_u32_e32 v7, 4, v7
	s_waitcnt lgkmcnt(0)
	v_cmp_gt_f32_e32 vcc, v8, v4
	v_cndmask_b32_e32 v4, v4, v8, vcc
	s_andn2_b64 exec, exec, s[20:21]
	s_cbranch_execnz .LBB226_8
; %bb.9:                                ;   in Loop: Header=BB226_6 Depth=1
	s_or_b64 exec, exec, s[20:21]
	s_branch .LBB226_5
.LBB226_10:
	s_or_b64 exec, exec, s[16:17]
	s_cmp_lt_i32 s10, 1
	s_waitcnt lgkmcnt(0)
	s_barrier
	s_cbranch_scc1 .LBB226_13
; %bb.11:
	v_mov_b32_e32 v2, s7
	s_mov_b32 s2, 0xff800000
	v_mov_b32_e32 v3, 0xff800000
.LBB226_12:                             ; =>This Inner Loop Header: Depth=1
	ds_read2_b32 v[4:5], v2 offset1:1
	ds_read2_b32 v[6:7], v2 offset0:2 offset1:3
	s_waitcnt lgkmcnt(1)
	v_cmp_nlg_f32_e32 vcc, s2, v4
	v_cndmask_b32_e64 v8, 0, 1, vcc
	v_cmp_lg_f32_e32 vcc, s2, v4
	v_cndmask_b32_e32 v4, v3, v4, vcc
	v_readfirstlane_b32 s3, v8
	v_cmp_gt_f32_e32 vcc, v5, v4
	s_lshl_b32 s3, s3, 2
	v_cndmask_b32_e32 v4, v4, v5, vcc
	s_and_b64 s[16:17], vcc, exec
	s_waitcnt lgkmcnt(0)
	v_cmp_gt_f32_e32 vcc, v6, v4
	v_cndmask_b32_e32 v4, v4, v6, vcc
	s_cselect_b32 s3, 1, s3
	s_and_b64 s[16:17], vcc, exec
	v_cmp_ngt_f32_e32 vcc, v7, v4
	s_cselect_b32 s3, 2, s3
	s_and_b64 s[16:17], vcc, exec
	s_cselect_b32 s3, s3, 3
	s_lshl_b32 s3, s3, 2
	s_add_i32 s3, s7, s3
	s_add_i32 s10, s10, -1
	v_mov_b32_e32 v4, s3
	s_cmp_lg_u32 s10, 0
	ds_write_b32 v4, v3
	s_cbranch_scc1 .LBB226_12
.LBB226_13:
	s_and_saveexec_b64 s[2:3], s[0:1]
	s_cbranch_execz .LBB226_18
; %bb.14:
	s_abs_i32 s18, s11
	v_cvt_f32_u32_e32 v3, s18
	s_load_dword s16, s[4:5], 0x4c
	s_sub_i32 s17, 0, s18
	s_ashr_i32 s19, s11, 31
	v_rcp_iflag_f32_e32 v4, v3
	v_lshl_add_u32 v2, v0, 2, 0
	s_waitcnt lgkmcnt(0)
	s_and_b32 s21, s16, 0xffff
	s_mov_b64 s[10:11], 0
	v_mul_f32_e32 v4, 0x4f7ffffe, v4
	v_cvt_u32_f32_e32 v4, v4
	s_mov_b32 s20, 0xff800000
	v_mov_b32_e32 v3, 0xff800000
	s_lshl_b32 s22, s21, 2
	v_mul_lo_u32 v5, s17, v4
	v_mul_hi_u32 v5, v4, v5
	v_add_u32_e32 v4, v4, v5
	v_mov_b32_e32 v5, v0
	s_branch .LBB226_16
.LBB226_15:                             ;   in Loop: Header=BB226_16 Depth=1
	s_or_b64 exec, exec, s[16:17]
	v_add_u32_e32 v5, s21, v5
	v_cmp_le_i32_e32 vcc, s8, v5
	s_or_b64 s[10:11], vcc, s[10:11]
	v_add_u32_e32 v2, s22, v2
	s_andn2_b64 exec, exec, s[10:11]
	s_cbranch_execz .LBB226_18
.LBB226_16:                             ; =>This Inner Loop Header: Depth=1
	v_sub_u32_e32 v7, 0, v5
	v_max_i32_e32 v7, v5, v7
	v_mul_hi_u32 v8, v7, v4
	v_mul_lo_u32 v9, v8, s18
	v_sub_u32_e32 v7, v7, v9
	v_add_u32_e32 v9, 1, v8
	v_cmp_le_u32_e32 vcc, s18, v7
	v_cndmask_b32_e32 v8, v8, v9, vcc
	v_subrev_u32_e32 v9, s18, v7
	v_cndmask_b32_e32 v7, v7, v9, vcc
	v_ashrrev_i32_e32 v6, 31, v5
	v_add_u32_e32 v9, 1, v8
	v_cmp_le_u32_e32 vcc, s18, v7
	v_xor_b32_e32 v6, s19, v6
	v_cndmask_b32_e32 v7, v8, v9, vcc
	v_xor_b32_e32 v7, v7, v6
	v_sub_u32_e32 v6, v7, v6
	v_lshl_add_u32 v6, v6, 2, s7
	ds_read_b32 v6, v6
	s_waitcnt lgkmcnt(0)
	v_cmp_neq_f32_e32 vcc, s20, v6
	s_and_saveexec_b64 s[16:17], vcc
	s_cbranch_execz .LBB226_15
; %bb.17:                               ;   in Loop: Header=BB226_16 Depth=1
	ds_write_b32 v2, v3
	s_branch .LBB226_15
.LBB226_18:
	s_or_b64 exec, exec, s[2:3]
	s_cmp_lt_i32 s9, 1
	s_waitcnt lgkmcnt(0)
	s_barrier
	s_cbranch_scc1 .LBB226_25
; %bb.19:
	s_add_u32 s2, s4, 64
	s_addc_u32 s3, s5, 0
	s_mov_b32 s7, 0
	v_mov_b32_e32 v3, 0
	v_mov_b32_e32 v5, 0xff800000
                                        ; implicit-def: $vgpr4
                                        ; implicit-def: $vgpr2
	s_branch .LBB226_21
.LBB226_20:                             ;   in Loop: Header=BB226_21 Depth=1
	s_or_b64 exec, exec, s[10:11]
	v_mov_b32_dpp v9, v7 quad_perm:[1,0,3,2] row_mask:0xf bank_mask:0xf
	v_cmp_lt_f32_e32 vcc, v7, v9
	v_cndmask_b32_e32 v7, v7, v9, vcc
	v_mov_b32_dpp v8, v6 quad_perm:[1,0,3,2] row_mask:0xf bank_mask:0xf
	v_cndmask_b32_e32 v6, v6, v8, vcc
	v_mov_b32_dpp v9, v7 quad_perm:[2,3,0,1] row_mask:0xf bank_mask:0xf
	v_cmp_gt_f32_e32 vcc, v9, v7
	v_cndmask_b32_e32 v7, v7, v9, vcc
	v_mov_b32_dpp v8, v6 quad_perm:[2,3,0,1] row_mask:0xf bank_mask:0xf
	v_cndmask_b32_e32 v6, v6, v8, vcc
	v_mov_b32_dpp v9, v7 row_half_mirror row_mask:0xf bank_mask:0xf
	v_cmp_gt_f32_e32 vcc, v9, v7
	v_cndmask_b32_e32 v7, v7, v9, vcc
	v_mov_b32_dpp v8, v6 row_half_mirror row_mask:0xf bank_mask:0xf
	v_cndmask_b32_e32 v6, v6, v8, vcc
	v_mov_b32_dpp v9, v7 row_mirror row_mask:0xf bank_mask:0xf
	v_cmp_gt_f32_e32 vcc, v9, v7
	v_cndmask_b32_e32 v7, v7, v9, vcc
	v_mov_b32_dpp v8, v6 row_mirror row_mask:0xf bank_mask:0xf
	v_cndmask_b32_e32 v6, v6, v8, vcc
	v_mov_b32_dpp v9, v7 row_bcast:15 row_mask:0xf bank_mask:0xf
	v_cmp_gt_f32_e32 vcc, v9, v7
	v_mov_b32_dpp v8, v6 row_bcast:15 row_mask:0xf bank_mask:0xf
	v_cndmask_b32_e32 v7, v7, v9, vcc
	v_cndmask_b32_e32 v6, v6, v8, vcc
	s_nop 0
	v_mov_b32_dpp v9, v7 row_bcast:31 row_mask:0xf bank_mask:0xf
	v_mov_b32_dpp v8, v6 row_bcast:31 row_mask:0xf bank_mask:0xf
	v_cmp_gt_f32_e32 vcc, v9, v7
	v_cndmask_b32_e32 v6, v6, v8, vcc
	v_readlane_b32 s11, v6, 63
	s_lshl_b32 s16, s11, 2
	s_add_i32 s16, s16, 0
	v_cndmask_b32_e32 v7, v7, v9, vcc
	v_mov_b32_e32 v6, s16
	v_readlane_b32 s10, v7, 63
	ds_write_b32 v6, v5
	v_mov_b32_e32 v6, s11
	v_cmp_eq_u32_e32 vcc, s7, v0
	v_cndmask_b32_e32 v2, v2, v6, vcc
	v_mov_b32_e32 v6, s10
	s_add_i32 s7, s7, 1
	v_cndmask_b32_e32 v4, v4, v6, vcc
	s_cmp_eq_u32 s7, s9
	v_add_f32_e32 v3, s10, v3
	s_cbranch_scc1 .LBB226_26
.LBB226_21:                             ; =>This Loop Header: Depth=1
                                        ;     Child Loop BB226_23 Depth 2
	v_mov_b32_e32 v6, s7
	v_mov_b32_e32 v7, 0xff800000
	s_and_saveexec_b64 s[10:11], s[0:1]
	s_cbranch_execz .LBB226_20
; %bb.22:                               ;   in Loop: Header=BB226_21 Depth=1
	s_load_dword s18, s[2:3], 0xc
	s_mov_b64 s[16:17], 0
	v_mov_b32_e32 v6, s7
	v_mov_b32_e32 v7, 0xff800000
	;; [unrolled: 1-line block ×3, first 2 shown]
	s_waitcnt lgkmcnt(0)
	s_and_b32 s18, s18, 0xffff
	s_lshl_b32 s19, s18, 2
	v_mov_b32_e32 v9, v0
.LBB226_23:                             ;   Parent Loop BB226_21 Depth=1
                                        ; =>  This Inner Loop Header: Depth=2
	ds_read_b32 v10, v8
	v_add_u32_e32 v8, s19, v8
	s_waitcnt lgkmcnt(0)
	v_cmp_gt_f32_e32 vcc, v10, v7
	v_cndmask_b32_e32 v6, v6, v9, vcc
	v_add_u32_e32 v9, s18, v9
	v_cndmask_b32_e32 v7, v7, v10, vcc
	v_cmp_le_i32_e32 vcc, s8, v9
	s_or_b64 s[16:17], vcc, s[16:17]
	s_andn2_b64 exec, exec, s[16:17]
	s_cbranch_execnz .LBB226_23
; %bb.24:                               ;   in Loop: Header=BB226_21 Depth=1
	s_or_b64 exec, exec, s[16:17]
	s_branch .LBB226_20
.LBB226_25:
	v_mov_b32_e32 v3, 0
                                        ; implicit-def: $vgpr4
                                        ; implicit-def: $vgpr2
.LBB226_26:
	v_cmp_gt_i32_e32 vcc, s9, v0
	s_and_saveexec_b64 s[0:1], vcc
	s_cbranch_execz .LBB226_29
; %bb.27:
	s_load_dword s7, s[4:5], 0x38
	s_load_dwordx2 s[0:1], s[4:5], 0x20
	s_load_dword s8, s[4:5], 0x4c
	s_waitcnt lgkmcnt(0)
	v_div_scale_f32 v1, s[2:3], v3, v3, s7
	v_rcp_f32_e32 v5, v1
	v_div_scale_f32 v6, vcc, s7, v3, s7
	s_ashr_i32 s2, s6, 31
	v_fma_f32 v7, -v1, v5, 1.0
	v_fmac_f32_e32 v5, v7, v5
	v_mul_f32_e32 v7, v6, v5
	v_fma_f32 v8, -v1, v7, v6
	v_fmac_f32_e32 v7, v8, v5
	v_fma_f32 v1, -v1, v7, v6
	s_mul_i32 s1, s6, s1
	s_mul_hi_u32 s3, s6, s0
	v_div_fmas_f32 v1, v1, v5, v7
	s_add_i32 s1, s3, s1
	s_mul_i32 s2, s2, s0
	v_div_fixup_f32 v1, v1, v3, s7
	s_add_i32 s4, s1, s2
	v_mul_f32_e32 v1, v1, v4
	s_mul_i32 s2, s6, s0
	s_and_b32 s3, s8, 0xffff
	s_mov_b64 s[0:1], 0
	v_mov_b32_e32 v3, s4
	v_mov_b32_e32 v4, s13
	;; [unrolled: 1-line block ×3, first 2 shown]
.LBB226_28:                             ; =>This Inner Loop Header: Depth=1
	v_ashrrev_i32_e32 v7, 31, v0
	v_add_co_u32_e32 v6, vcc, s2, v0
	v_addc_co_u32_e32 v7, vcc, v3, v7, vcc
	v_add_u32_e32 v0, s3, v0
	v_cmp_le_i32_e32 vcc, s9, v0
	v_lshlrev_b64 v[6:7], 2, v[6:7]
	s_or_b64 s[0:1], vcc, s[0:1]
	v_add_co_u32_e32 v8, vcc, s12, v6
	v_addc_co_u32_e32 v9, vcc, v4, v7, vcc
	v_add_co_u32_e32 v6, vcc, s14, v6
	v_addc_co_u32_e32 v7, vcc, v5, v7, vcc
	global_store_dword v[8:9], v1, off
	global_store_dword v[6:7], v2, off
	s_andn2_b64 exec, exec, s[0:1]
	s_cbranch_execnz .LBB226_28
.LBB226_29:
	s_endpgm
	.section	.rodata,"a",@progbits
	.p2align	6, 0x0
	.amdhsa_kernel _ZN5aiter19grouped_topk_kernelIfDv1_fLi4ELb1ELb0ELb0EEEvPT_PKS2_PfPimiiiif
		.amdhsa_group_segment_fixed_size 0
		.amdhsa_private_segment_fixed_size 0
		.amdhsa_kernarg_size 320
		.amdhsa_user_sgpr_count 6
		.amdhsa_user_sgpr_private_segment_buffer 1
		.amdhsa_user_sgpr_dispatch_ptr 0
		.amdhsa_user_sgpr_queue_ptr 0
		.amdhsa_user_sgpr_kernarg_segment_ptr 1
		.amdhsa_user_sgpr_dispatch_id 0
		.amdhsa_user_sgpr_flat_scratch_init 0
		.amdhsa_user_sgpr_kernarg_preload_length 0
		.amdhsa_user_sgpr_kernarg_preload_offset 0
		.amdhsa_user_sgpr_private_segment_size 0
		.amdhsa_uses_dynamic_stack 0
		.amdhsa_system_sgpr_private_segment_wavefront_offset 0
		.amdhsa_system_sgpr_workgroup_id_x 1
		.amdhsa_system_sgpr_workgroup_id_y 0
		.amdhsa_system_sgpr_workgroup_id_z 0
		.amdhsa_system_sgpr_workgroup_info 0
		.amdhsa_system_vgpr_workitem_id 0
		.amdhsa_next_free_vgpr 12
		.amdhsa_next_free_sgpr 24
		.amdhsa_accum_offset 12
		.amdhsa_reserve_vcc 1
		.amdhsa_reserve_flat_scratch 0
		.amdhsa_float_round_mode_32 0
		.amdhsa_float_round_mode_16_64 0
		.amdhsa_float_denorm_mode_32 3
		.amdhsa_float_denorm_mode_16_64 3
		.amdhsa_dx10_clamp 1
		.amdhsa_ieee_mode 1
		.amdhsa_fp16_overflow 0
		.amdhsa_tg_split 0
		.amdhsa_exception_fp_ieee_invalid_op 0
		.amdhsa_exception_fp_denorm_src 0
		.amdhsa_exception_fp_ieee_div_zero 0
		.amdhsa_exception_fp_ieee_overflow 0
		.amdhsa_exception_fp_ieee_underflow 0
		.amdhsa_exception_fp_ieee_inexact 0
		.amdhsa_exception_int_div_zero 0
	.end_amdhsa_kernel
	.section	.text._ZN5aiter19grouped_topk_kernelIfDv1_fLi4ELb1ELb0ELb0EEEvPT_PKS2_PfPimiiiif,"axG",@progbits,_ZN5aiter19grouped_topk_kernelIfDv1_fLi4ELb1ELb0ELb0EEEvPT_PKS2_PfPimiiiif,comdat
.Lfunc_end226:
	.size	_ZN5aiter19grouped_topk_kernelIfDv1_fLi4ELb1ELb0ELb0EEEvPT_PKS2_PfPimiiiif, .Lfunc_end226-_ZN5aiter19grouped_topk_kernelIfDv1_fLi4ELb1ELb0ELb0EEEvPT_PKS2_PfPimiiiif
                                        ; -- End function
	.section	.AMDGPU.csdata,"",@progbits
; Kernel info:
; codeLenInByte = 1724
; NumSgprs: 28
; NumVgprs: 12
; NumAgprs: 0
; TotalNumVgprs: 12
; ScratchSize: 0
; MemoryBound: 0
; FloatMode: 240
; IeeeMode: 1
; LDSByteSize: 0 bytes/workgroup (compile time only)
; SGPRBlocks: 3
; VGPRBlocks: 1
; NumSGPRsForWavesPerEU: 28
; NumVGPRsForWavesPerEU: 12
; AccumOffset: 12
; Occupancy: 8
; WaveLimiterHint : 0
; COMPUTE_PGM_RSRC2:SCRATCH_EN: 0
; COMPUTE_PGM_RSRC2:USER_SGPR: 6
; COMPUTE_PGM_RSRC2:TRAP_HANDLER: 0
; COMPUTE_PGM_RSRC2:TGID_X_EN: 1
; COMPUTE_PGM_RSRC2:TGID_Y_EN: 0
; COMPUTE_PGM_RSRC2:TGID_Z_EN: 0
; COMPUTE_PGM_RSRC2:TIDIG_COMP_CNT: 0
; COMPUTE_PGM_RSRC3_GFX90A:ACCUM_OFFSET: 2
; COMPUTE_PGM_RSRC3_GFX90A:TG_SPLIT: 0
	.section	.text._ZN5aiter19grouped_topk_kernelIN3c104HalfEDv1_fLi4ELb1ELb0ELb0EEEvPT_PKS4_PfPimiiiif,"axG",@progbits,_ZN5aiter19grouped_topk_kernelIN3c104HalfEDv1_fLi4ELb1ELb0ELb0EEEvPT_PKS4_PfPimiiiif,comdat
	.protected	_ZN5aiter19grouped_topk_kernelIN3c104HalfEDv1_fLi4ELb1ELb0ELb0EEEvPT_PKS4_PfPimiiiif ; -- Begin function _ZN5aiter19grouped_topk_kernelIN3c104HalfEDv1_fLi4ELb1ELb0ELb0EEEvPT_PKS4_PfPimiiiif
	.globl	_ZN5aiter19grouped_topk_kernelIN3c104HalfEDv1_fLi4ELb1ELb0ELb0EEEvPT_PKS4_PfPimiiiif
	.p2align	8
	.type	_ZN5aiter19grouped_topk_kernelIN3c104HalfEDv1_fLi4ELb1ELb0ELb0EEEvPT_PKS4_PfPimiiiif,@function
_ZN5aiter19grouped_topk_kernelIN3c104HalfEDv1_fLi4ELb1ELb0ELb0EEEvPT_PKS4_PfPimiiiif: ; @_ZN5aiter19grouped_topk_kernelIN3c104HalfEDv1_fLi4ELb1ELb0ELb0EEEvPT_PKS4_PfPimiiiif
; %bb.0:
	s_load_dwordx4 s[8:11], s[4:5], 0x28
	s_load_dwordx4 s[12:15], s[4:5], 0x10
	v_lshl_add_u32 v1, v0, 2, 0
	s_waitcnt lgkmcnt(0)
	v_cmp_gt_i32_e64 s[0:1], s8, v0
	s_and_saveexec_b64 s[2:3], s[0:1]
	s_cbranch_execz .LBB227_3
; %bb.1:
	s_load_dwordx2 s[16:17], s[4:5], 0x0
	s_load_dword s11, s[4:5], 0x4c
	s_mul_i32 s18, s6, s8
	s_ashr_i32 s19, s18, 31
	s_lshl_b64 s[18:19], s[18:19], 1
	s_waitcnt lgkmcnt(0)
	s_add_u32 s7, s16, s18
	s_addc_u32 s19, s17, s19
	s_and_b32 s11, s11, 0xffff
	v_lshl_add_u32 v4, v0, 2, 0
	s_lshl_b32 s18, s11, 2
	s_mov_b64 s[16:17], 0
	v_mov_b32_e32 v5, s19
	s_mov_b32 s19, 0x3fb8aa3b
	s_mov_b32 s20, 0x32a5705f
	;; [unrolled: 1-line block ×4, first 2 shown]
	v_mov_b32_e32 v6, 0x7f800000
	v_mov_b32_e32 v2, v0
.LBB227_2:                              ; =>This Inner Loop Header: Depth=1
	v_ashrrev_i32_e32 v3, 31, v2
	v_lshlrev_b64 v[8:9], 1, v[2:3]
	v_add_co_u32_e32 v8, vcc, s7, v8
	v_addc_co_u32_e32 v9, vcc, v5, v9, vcc
	global_load_ushort v3, v[8:9], off
	v_add_u32_e32 v2, s11, v2
	v_cmp_le_i32_e32 vcc, s8, v2
	s_or_b64 s[16:17], vcc, s[16:17]
	s_waitcnt vmcnt(0)
	v_cvt_f32_f16_e64 v7, -v3
	v_mul_f32_e32 v8, 0x3fb8aa3b, v7
	v_fma_mix_f32 v9, -v3, s19, -v8 op_sel_hi:[1,0,0]
	v_rndne_f32_e32 v10, v8
	v_fma_mix_f32 v3, -v3, s20, v9 op_sel_hi:[1,0,0]
	v_sub_f32_e32 v8, v8, v10
	v_add_f32_e32 v3, v8, v3
	v_cvt_i32_f32_e32 v9, v10
	v_exp_f32_e32 v3, v3
	v_cmp_ngt_f32_e32 vcc, s21, v7
	v_ldexp_f32 v3, v3, v9
	v_cndmask_b32_e32 v3, 0, v3, vcc
	v_cmp_nlt_f32_e32 vcc, s22, v7
	v_cndmask_b32_e32 v3, v6, v3, vcc
	v_add_f32_e32 v3, 1.0, v3
	v_div_scale_f32 v7, s[24:25], v3, v3, 1.0
	v_rcp_f32_e32 v8, v7
	v_div_scale_f32 v9, vcc, 1.0, v3, 1.0
	v_fma_f32 v10, -v7, v8, 1.0
	v_fmac_f32_e32 v8, v10, v8
	v_mul_f32_e32 v10, v9, v8
	v_fma_f32 v11, -v7, v10, v9
	v_fmac_f32_e32 v10, v11, v8
	v_fma_f32 v7, -v7, v10, v9
	v_div_fmas_f32 v7, v7, v8, v10
	v_div_fixup_f32 v3, v7, v3, 1.0
	ds_write_b32 v4, v3
	v_add_u32_e32 v4, s18, v4
	s_andn2_b64 exec, exec, s[16:17]
	s_cbranch_execnz .LBB227_2
.LBB227_3:
	s_or_b64 exec, exec, s[2:3]
	s_ashr_i32 s2, s8, 31
	s_lshr_b32 s2, s2, 30
	s_add_i32 s2, s8, s2
	s_ashr_i32 s11, s2, 2
	s_lshl_b32 s2, s8, 2
	s_add_i32 s7, s2, 0
	v_cmp_gt_u32_e32 vcc, 4, v0
	s_waitcnt lgkmcnt(0)
	s_barrier
	s_and_saveexec_b64 s[16:17], vcc
	s_cbranch_execz .LBB227_10
; %bb.4:
	s_load_dword s2, s[4:5], 0x4c
	v_mul_lo_u32 v2, v0, s11
	v_lshl_add_u32 v2, v2, 2, 0
	s_waitcnt lgkmcnt(0)
	s_and_b32 s22, s2, 0xffff
	s_cmp_gt_i32 s8, 3
	s_cselect_b64 s[2:3], -1, 0
	s_mul_i32 s18, s11, s22
	v_cndmask_b32_e64 v3, 0, 1, s[2:3]
	s_lshl_b32 s23, s18, 2
	s_mov_b64 s[18:19], 0
	v_cmp_ne_u32_e64 s[2:3], 1, v3
	v_mov_b32_e32 v3, v0
	s_branch .LBB227_6
.LBB227_5:                              ;   in Loop: Header=BB227_6 Depth=1
	v_lshl_add_u32 v5, v3, 2, s7
	v_add_u32_e32 v3, s22, v3
	v_cmp_lt_u32_e32 vcc, 3, v3
	s_or_b64 s[18:19], vcc, s[18:19]
	v_add_u32_e32 v2, s23, v2
	ds_write_b32 v5, v4
	s_andn2_b64 exec, exec, s[18:19]
	s_cbranch_execz .LBB227_10
.LBB227_6:                              ; =>This Loop Header: Depth=1
                                        ;     Child Loop BB227_8 Depth 2
	s_and_b64 vcc, exec, s[2:3]
	v_mov_b32_e32 v4, 0xff800000
	s_cbranch_vccnz .LBB227_5
; %bb.7:                                ;   in Loop: Header=BB227_6 Depth=1
	v_mul_lo_u32 v5, v3, s11
	v_add_u32_e32 v6, s11, v5
	s_mov_b64 s[20:21], 0
	v_mov_b32_e32 v4, 0xff800000
	v_mov_b32_e32 v7, v2
.LBB227_8:                              ;   Parent Loop BB227_6 Depth=1
                                        ; =>  This Inner Loop Header: Depth=2
	ds_read_b32 v8, v7
	v_add_u32_e32 v5, 1, v5
	v_cmp_ge_i32_e32 vcc, v5, v6
	s_or_b64 s[20:21], vcc, s[20:21]
	v_add_u32_e32 v7, 4, v7
	s_waitcnt lgkmcnt(0)
	v_cmp_gt_f32_e32 vcc, v8, v4
	v_cndmask_b32_e32 v4, v4, v8, vcc
	s_andn2_b64 exec, exec, s[20:21]
	s_cbranch_execnz .LBB227_8
; %bb.9:                                ;   in Loop: Header=BB227_6 Depth=1
	s_or_b64 exec, exec, s[20:21]
	s_branch .LBB227_5
.LBB227_10:
	s_or_b64 exec, exec, s[16:17]
	s_cmp_lt_i32 s10, 1
	s_waitcnt lgkmcnt(0)
	s_barrier
	s_cbranch_scc1 .LBB227_13
; %bb.11:
	v_mov_b32_e32 v2, s7
	s_mov_b32 s2, 0xff800000
	v_mov_b32_e32 v3, 0xff800000
.LBB227_12:                             ; =>This Inner Loop Header: Depth=1
	ds_read2_b32 v[4:5], v2 offset1:1
	ds_read2_b32 v[6:7], v2 offset0:2 offset1:3
	s_waitcnt lgkmcnt(1)
	v_cmp_nlg_f32_e32 vcc, s2, v4
	v_cndmask_b32_e64 v8, 0, 1, vcc
	v_cmp_lg_f32_e32 vcc, s2, v4
	v_cndmask_b32_e32 v4, v3, v4, vcc
	v_readfirstlane_b32 s3, v8
	v_cmp_gt_f32_e32 vcc, v5, v4
	s_lshl_b32 s3, s3, 2
	v_cndmask_b32_e32 v4, v4, v5, vcc
	s_and_b64 s[16:17], vcc, exec
	s_waitcnt lgkmcnt(0)
	v_cmp_gt_f32_e32 vcc, v6, v4
	v_cndmask_b32_e32 v4, v4, v6, vcc
	s_cselect_b32 s3, 1, s3
	s_and_b64 s[16:17], vcc, exec
	v_cmp_ngt_f32_e32 vcc, v7, v4
	s_cselect_b32 s3, 2, s3
	s_and_b64 s[16:17], vcc, exec
	s_cselect_b32 s3, s3, 3
	s_lshl_b32 s3, s3, 2
	s_add_i32 s3, s7, s3
	s_add_i32 s10, s10, -1
	v_mov_b32_e32 v4, s3
	s_cmp_lg_u32 s10, 0
	ds_write_b32 v4, v3
	s_cbranch_scc1 .LBB227_12
.LBB227_13:
	s_and_saveexec_b64 s[2:3], s[0:1]
	s_cbranch_execz .LBB227_18
; %bb.14:
	s_abs_i32 s18, s11
	v_cvt_f32_u32_e32 v3, s18
	s_load_dword s16, s[4:5], 0x4c
	s_sub_i32 s17, 0, s18
	s_ashr_i32 s19, s11, 31
	v_rcp_iflag_f32_e32 v4, v3
	v_lshl_add_u32 v2, v0, 2, 0
	s_waitcnt lgkmcnt(0)
	s_and_b32 s21, s16, 0xffff
	s_mov_b64 s[10:11], 0
	v_mul_f32_e32 v4, 0x4f7ffffe, v4
	v_cvt_u32_f32_e32 v4, v4
	s_mov_b32 s20, 0xff800000
	v_mov_b32_e32 v3, 0xff800000
	s_lshl_b32 s22, s21, 2
	v_mul_lo_u32 v5, s17, v4
	v_mul_hi_u32 v5, v4, v5
	v_add_u32_e32 v4, v4, v5
	v_mov_b32_e32 v5, v0
	s_branch .LBB227_16
.LBB227_15:                             ;   in Loop: Header=BB227_16 Depth=1
	s_or_b64 exec, exec, s[16:17]
	v_add_u32_e32 v5, s21, v5
	v_cmp_le_i32_e32 vcc, s8, v5
	s_or_b64 s[10:11], vcc, s[10:11]
	v_add_u32_e32 v2, s22, v2
	s_andn2_b64 exec, exec, s[10:11]
	s_cbranch_execz .LBB227_18
.LBB227_16:                             ; =>This Inner Loop Header: Depth=1
	v_sub_u32_e32 v7, 0, v5
	v_max_i32_e32 v7, v5, v7
	v_mul_hi_u32 v8, v7, v4
	v_mul_lo_u32 v9, v8, s18
	v_sub_u32_e32 v7, v7, v9
	v_add_u32_e32 v9, 1, v8
	v_cmp_le_u32_e32 vcc, s18, v7
	v_cndmask_b32_e32 v8, v8, v9, vcc
	v_subrev_u32_e32 v9, s18, v7
	v_cndmask_b32_e32 v7, v7, v9, vcc
	v_ashrrev_i32_e32 v6, 31, v5
	v_add_u32_e32 v9, 1, v8
	v_cmp_le_u32_e32 vcc, s18, v7
	v_xor_b32_e32 v6, s19, v6
	v_cndmask_b32_e32 v7, v8, v9, vcc
	v_xor_b32_e32 v7, v7, v6
	v_sub_u32_e32 v6, v7, v6
	v_lshl_add_u32 v6, v6, 2, s7
	ds_read_b32 v6, v6
	s_waitcnt lgkmcnt(0)
	v_cmp_neq_f32_e32 vcc, s20, v6
	s_and_saveexec_b64 s[16:17], vcc
	s_cbranch_execz .LBB227_15
; %bb.17:                               ;   in Loop: Header=BB227_16 Depth=1
	ds_write_b32 v2, v3
	s_branch .LBB227_15
.LBB227_18:
	s_or_b64 exec, exec, s[2:3]
	s_cmp_lt_i32 s9, 1
	s_waitcnt lgkmcnt(0)
	s_barrier
	s_cbranch_scc1 .LBB227_25
; %bb.19:
	s_add_u32 s2, s4, 64
	s_addc_u32 s3, s5, 0
	s_mov_b32 s7, 0
	v_mov_b32_e32 v3, 0
	v_mov_b32_e32 v5, 0xff800000
                                        ; implicit-def: $vgpr4
                                        ; implicit-def: $vgpr2
	s_branch .LBB227_21
.LBB227_20:                             ;   in Loop: Header=BB227_21 Depth=1
	s_or_b64 exec, exec, s[10:11]
	v_mov_b32_dpp v9, v7 quad_perm:[1,0,3,2] row_mask:0xf bank_mask:0xf
	v_cmp_lt_f32_e32 vcc, v7, v9
	v_cndmask_b32_e32 v7, v7, v9, vcc
	v_mov_b32_dpp v8, v6 quad_perm:[1,0,3,2] row_mask:0xf bank_mask:0xf
	v_cndmask_b32_e32 v6, v6, v8, vcc
	v_mov_b32_dpp v9, v7 quad_perm:[2,3,0,1] row_mask:0xf bank_mask:0xf
	v_cmp_gt_f32_e32 vcc, v9, v7
	v_cndmask_b32_e32 v7, v7, v9, vcc
	v_mov_b32_dpp v8, v6 quad_perm:[2,3,0,1] row_mask:0xf bank_mask:0xf
	v_cndmask_b32_e32 v6, v6, v8, vcc
	v_mov_b32_dpp v9, v7 row_half_mirror row_mask:0xf bank_mask:0xf
	v_cmp_gt_f32_e32 vcc, v9, v7
	v_cndmask_b32_e32 v7, v7, v9, vcc
	v_mov_b32_dpp v8, v6 row_half_mirror row_mask:0xf bank_mask:0xf
	v_cndmask_b32_e32 v6, v6, v8, vcc
	v_mov_b32_dpp v9, v7 row_mirror row_mask:0xf bank_mask:0xf
	v_cmp_gt_f32_e32 vcc, v9, v7
	v_cndmask_b32_e32 v7, v7, v9, vcc
	v_mov_b32_dpp v8, v6 row_mirror row_mask:0xf bank_mask:0xf
	v_cndmask_b32_e32 v6, v6, v8, vcc
	v_mov_b32_dpp v9, v7 row_bcast:15 row_mask:0xf bank_mask:0xf
	v_cmp_gt_f32_e32 vcc, v9, v7
	v_mov_b32_dpp v8, v6 row_bcast:15 row_mask:0xf bank_mask:0xf
	v_cndmask_b32_e32 v7, v7, v9, vcc
	v_cndmask_b32_e32 v6, v6, v8, vcc
	s_nop 0
	v_mov_b32_dpp v9, v7 row_bcast:31 row_mask:0xf bank_mask:0xf
	v_mov_b32_dpp v8, v6 row_bcast:31 row_mask:0xf bank_mask:0xf
	v_cmp_gt_f32_e32 vcc, v9, v7
	v_cndmask_b32_e32 v6, v6, v8, vcc
	v_readlane_b32 s11, v6, 63
	s_lshl_b32 s16, s11, 2
	s_add_i32 s16, s16, 0
	v_cndmask_b32_e32 v7, v7, v9, vcc
	v_mov_b32_e32 v6, s16
	v_readlane_b32 s10, v7, 63
	ds_write_b32 v6, v5
	v_mov_b32_e32 v6, s11
	v_cmp_eq_u32_e32 vcc, s7, v0
	v_cndmask_b32_e32 v2, v2, v6, vcc
	v_mov_b32_e32 v6, s10
	s_add_i32 s7, s7, 1
	v_cndmask_b32_e32 v4, v4, v6, vcc
	s_cmp_eq_u32 s7, s9
	v_add_f32_e32 v3, s10, v3
	s_cbranch_scc1 .LBB227_26
.LBB227_21:                             ; =>This Loop Header: Depth=1
                                        ;     Child Loop BB227_23 Depth 2
	v_mov_b32_e32 v6, s7
	v_mov_b32_e32 v7, 0xff800000
	s_and_saveexec_b64 s[10:11], s[0:1]
	s_cbranch_execz .LBB227_20
; %bb.22:                               ;   in Loop: Header=BB227_21 Depth=1
	s_load_dword s18, s[2:3], 0xc
	s_mov_b64 s[16:17], 0
	v_mov_b32_e32 v6, s7
	v_mov_b32_e32 v7, 0xff800000
	;; [unrolled: 1-line block ×3, first 2 shown]
	s_waitcnt lgkmcnt(0)
	s_and_b32 s18, s18, 0xffff
	s_lshl_b32 s19, s18, 2
	v_mov_b32_e32 v9, v0
.LBB227_23:                             ;   Parent Loop BB227_21 Depth=1
                                        ; =>  This Inner Loop Header: Depth=2
	ds_read_b32 v10, v8
	v_add_u32_e32 v8, s19, v8
	s_waitcnt lgkmcnt(0)
	v_cmp_gt_f32_e32 vcc, v10, v7
	v_cndmask_b32_e32 v6, v6, v9, vcc
	v_add_u32_e32 v9, s18, v9
	v_cndmask_b32_e32 v7, v7, v10, vcc
	v_cmp_le_i32_e32 vcc, s8, v9
	s_or_b64 s[16:17], vcc, s[16:17]
	s_andn2_b64 exec, exec, s[16:17]
	s_cbranch_execnz .LBB227_23
; %bb.24:                               ;   in Loop: Header=BB227_21 Depth=1
	s_or_b64 exec, exec, s[16:17]
	s_branch .LBB227_20
.LBB227_25:
	v_mov_b32_e32 v3, 0
                                        ; implicit-def: $vgpr4
                                        ; implicit-def: $vgpr2
.LBB227_26:
	v_cmp_gt_i32_e32 vcc, s9, v0
	s_and_saveexec_b64 s[0:1], vcc
	s_cbranch_execz .LBB227_29
; %bb.27:
	s_load_dword s7, s[4:5], 0x38
	s_load_dwordx2 s[0:1], s[4:5], 0x20
	s_load_dword s8, s[4:5], 0x4c
	s_waitcnt lgkmcnt(0)
	v_div_scale_f32 v1, s[2:3], v3, v3, s7
	v_rcp_f32_e32 v5, v1
	v_div_scale_f32 v6, vcc, s7, v3, s7
	s_ashr_i32 s2, s6, 31
	v_fma_f32 v7, -v1, v5, 1.0
	v_fmac_f32_e32 v5, v7, v5
	v_mul_f32_e32 v7, v6, v5
	v_fma_f32 v8, -v1, v7, v6
	v_fmac_f32_e32 v7, v8, v5
	v_fma_f32 v1, -v1, v7, v6
	s_mul_i32 s1, s6, s1
	s_mul_hi_u32 s3, s6, s0
	v_div_fmas_f32 v1, v1, v5, v7
	s_add_i32 s1, s3, s1
	s_mul_i32 s2, s2, s0
	v_div_fixup_f32 v1, v1, v3, s7
	s_add_i32 s4, s1, s2
	v_mul_f32_e32 v1, v1, v4
	s_mul_i32 s2, s6, s0
	s_and_b32 s3, s8, 0xffff
	s_mov_b64 s[0:1], 0
	v_mov_b32_e32 v3, s4
	v_mov_b32_e32 v4, s13
	;; [unrolled: 1-line block ×3, first 2 shown]
.LBB227_28:                             ; =>This Inner Loop Header: Depth=1
	v_ashrrev_i32_e32 v7, 31, v0
	v_add_co_u32_e32 v6, vcc, s2, v0
	v_addc_co_u32_e32 v7, vcc, v3, v7, vcc
	v_add_u32_e32 v0, s3, v0
	v_cmp_le_i32_e32 vcc, s9, v0
	v_lshlrev_b64 v[6:7], 2, v[6:7]
	s_or_b64 s[0:1], vcc, s[0:1]
	v_add_co_u32_e32 v8, vcc, s12, v6
	v_addc_co_u32_e32 v9, vcc, v4, v7, vcc
	v_add_co_u32_e32 v6, vcc, s14, v6
	v_addc_co_u32_e32 v7, vcc, v5, v7, vcc
	global_store_dword v[8:9], v1, off
	global_store_dword v[6:7], v2, off
	s_andn2_b64 exec, exec, s[0:1]
	s_cbranch_execnz .LBB227_28
.LBB227_29:
	s_endpgm
	.section	.rodata,"a",@progbits
	.p2align	6, 0x0
	.amdhsa_kernel _ZN5aiter19grouped_topk_kernelIN3c104HalfEDv1_fLi4ELb1ELb0ELb0EEEvPT_PKS4_PfPimiiiif
		.amdhsa_group_segment_fixed_size 0
		.amdhsa_private_segment_fixed_size 0
		.amdhsa_kernarg_size 320
		.amdhsa_user_sgpr_count 6
		.amdhsa_user_sgpr_private_segment_buffer 1
		.amdhsa_user_sgpr_dispatch_ptr 0
		.amdhsa_user_sgpr_queue_ptr 0
		.amdhsa_user_sgpr_kernarg_segment_ptr 1
		.amdhsa_user_sgpr_dispatch_id 0
		.amdhsa_user_sgpr_flat_scratch_init 0
		.amdhsa_user_sgpr_kernarg_preload_length 0
		.amdhsa_user_sgpr_kernarg_preload_offset 0
		.amdhsa_user_sgpr_private_segment_size 0
		.amdhsa_uses_dynamic_stack 0
		.amdhsa_system_sgpr_private_segment_wavefront_offset 0
		.amdhsa_system_sgpr_workgroup_id_x 1
		.amdhsa_system_sgpr_workgroup_id_y 0
		.amdhsa_system_sgpr_workgroup_id_z 0
		.amdhsa_system_sgpr_workgroup_info 0
		.amdhsa_system_vgpr_workitem_id 0
		.amdhsa_next_free_vgpr 12
		.amdhsa_next_free_sgpr 26
		.amdhsa_accum_offset 12
		.amdhsa_reserve_vcc 1
		.amdhsa_reserve_flat_scratch 0
		.amdhsa_float_round_mode_32 0
		.amdhsa_float_round_mode_16_64 0
		.amdhsa_float_denorm_mode_32 3
		.amdhsa_float_denorm_mode_16_64 3
		.amdhsa_dx10_clamp 1
		.amdhsa_ieee_mode 1
		.amdhsa_fp16_overflow 0
		.amdhsa_tg_split 0
		.amdhsa_exception_fp_ieee_invalid_op 0
		.amdhsa_exception_fp_denorm_src 0
		.amdhsa_exception_fp_ieee_div_zero 0
		.amdhsa_exception_fp_ieee_overflow 0
		.amdhsa_exception_fp_ieee_underflow 0
		.amdhsa_exception_fp_ieee_inexact 0
		.amdhsa_exception_int_div_zero 0
	.end_amdhsa_kernel
	.section	.text._ZN5aiter19grouped_topk_kernelIN3c104HalfEDv1_fLi4ELb1ELb0ELb0EEEvPT_PKS4_PfPimiiiif,"axG",@progbits,_ZN5aiter19grouped_topk_kernelIN3c104HalfEDv1_fLi4ELb1ELb0ELb0EEEvPT_PKS4_PfPimiiiif,comdat
.Lfunc_end227:
	.size	_ZN5aiter19grouped_topk_kernelIN3c104HalfEDv1_fLi4ELb1ELb0ELb0EEEvPT_PKS4_PfPimiiiif, .Lfunc_end227-_ZN5aiter19grouped_topk_kernelIN3c104HalfEDv1_fLi4ELb1ELb0ELb0EEEvPT_PKS4_PfPimiiiif
                                        ; -- End function
	.section	.AMDGPU.csdata,"",@progbits
; Kernel info:
; codeLenInByte = 1740
; NumSgprs: 30
; NumVgprs: 12
; NumAgprs: 0
; TotalNumVgprs: 12
; ScratchSize: 0
; MemoryBound: 0
; FloatMode: 240
; IeeeMode: 1
; LDSByteSize: 0 bytes/workgroup (compile time only)
; SGPRBlocks: 3
; VGPRBlocks: 1
; NumSGPRsForWavesPerEU: 30
; NumVGPRsForWavesPerEU: 12
; AccumOffset: 12
; Occupancy: 8
; WaveLimiterHint : 0
; COMPUTE_PGM_RSRC2:SCRATCH_EN: 0
; COMPUTE_PGM_RSRC2:USER_SGPR: 6
; COMPUTE_PGM_RSRC2:TRAP_HANDLER: 0
; COMPUTE_PGM_RSRC2:TGID_X_EN: 1
; COMPUTE_PGM_RSRC2:TGID_Y_EN: 0
; COMPUTE_PGM_RSRC2:TGID_Z_EN: 0
; COMPUTE_PGM_RSRC2:TIDIG_COMP_CNT: 0
; COMPUTE_PGM_RSRC3_GFX90A:ACCUM_OFFSET: 2
; COMPUTE_PGM_RSRC3_GFX90A:TG_SPLIT: 0
	.section	.text._ZN5aiter19grouped_topk_kernelIN3c108BFloat16EDv1_fLi4ELb1ELb0ELb0EEEvPT_PKS4_PfPimiiiif,"axG",@progbits,_ZN5aiter19grouped_topk_kernelIN3c108BFloat16EDv1_fLi4ELb1ELb0ELb0EEEvPT_PKS4_PfPimiiiif,comdat
	.protected	_ZN5aiter19grouped_topk_kernelIN3c108BFloat16EDv1_fLi4ELb1ELb0ELb0EEEvPT_PKS4_PfPimiiiif ; -- Begin function _ZN5aiter19grouped_topk_kernelIN3c108BFloat16EDv1_fLi4ELb1ELb0ELb0EEEvPT_PKS4_PfPimiiiif
	.globl	_ZN5aiter19grouped_topk_kernelIN3c108BFloat16EDv1_fLi4ELb1ELb0ELb0EEEvPT_PKS4_PfPimiiiif
	.p2align	8
	.type	_ZN5aiter19grouped_topk_kernelIN3c108BFloat16EDv1_fLi4ELb1ELb0ELb0EEEvPT_PKS4_PfPimiiiif,@function
_ZN5aiter19grouped_topk_kernelIN3c108BFloat16EDv1_fLi4ELb1ELb0ELb0EEEvPT_PKS4_PfPimiiiif: ; @_ZN5aiter19grouped_topk_kernelIN3c108BFloat16EDv1_fLi4ELb1ELb0ELb0EEEvPT_PKS4_PfPimiiiif
; %bb.0:
	s_load_dwordx4 s[8:11], s[4:5], 0x28
	s_load_dwordx4 s[12:15], s[4:5], 0x10
	v_lshl_add_u32 v1, v0, 2, 0
	s_waitcnt lgkmcnt(0)
	v_cmp_gt_i32_e64 s[0:1], s8, v0
	s_and_saveexec_b64 s[2:3], s[0:1]
	s_cbranch_execz .LBB228_3
; %bb.1:
	s_load_dwordx2 s[16:17], s[4:5], 0x0
	s_load_dword s11, s[4:5], 0x4c
	s_mul_i32 s18, s6, s8
	s_ashr_i32 s19, s18, 31
	s_lshl_b64 s[18:19], s[18:19], 1
	s_waitcnt lgkmcnt(0)
	s_add_u32 s7, s16, s18
	s_addc_u32 s19, s17, s19
	s_and_b32 s11, s11, 0xffff
	v_lshl_add_u32 v4, v0, 2, 0
	s_lshl_b32 s18, s11, 2
	s_mov_b64 s[16:17], 0
	v_mov_b32_e32 v5, s19
	s_mov_b32 s19, 0xbfb8aa3b
	s_mov_b32 s20, 0x42ce8ed0
	s_mov_b32 s21, 0xc2b17218
	v_mov_b32_e32 v6, 0x7f800000
	v_mov_b32_e32 v2, v0
.LBB228_2:                              ; =>This Inner Loop Header: Depth=1
	v_ashrrev_i32_e32 v3, 31, v2
	v_lshlrev_b64 v[8:9], 1, v[2:3]
	v_add_co_u32_e32 v8, vcc, s7, v8
	v_addc_co_u32_e32 v9, vcc, v5, v9, vcc
	global_load_ushort v3, v[8:9], off
	v_add_u32_e32 v2, s11, v2
	v_cmp_le_i32_e32 vcc, s8, v2
	s_or_b64 s[16:17], vcc, s[16:17]
	s_waitcnt vmcnt(0)
	v_cvt_f32_u32_e32 v3, v3
	v_mul_f32_e32 v7, 0xbfb8aa3b, v3
	v_fma_f32 v8, v3, s19, -v7
	v_rndne_f32_e32 v9, v7
	v_fmac_f32_e32 v8, 0xb2a5705f, v3
	v_sub_f32_e32 v7, v7, v9
	v_add_f32_e32 v7, v7, v8
	v_cvt_i32_f32_e32 v9, v9
	v_exp_f32_e32 v7, v7
	v_cmp_nlt_f32_e32 vcc, s20, v3
	v_ldexp_f32 v7, v7, v9
	v_cndmask_b32_e32 v7, 0, v7, vcc
	v_cmp_ngt_f32_e32 vcc, s21, v3
	v_cndmask_b32_e32 v3, v6, v7, vcc
	v_add_f32_e32 v3, 1.0, v3
	v_div_scale_f32 v7, s[22:23], v3, v3, 1.0
	v_rcp_f32_e32 v8, v7
	v_div_scale_f32 v9, vcc, 1.0, v3, 1.0
	v_fma_f32 v10, -v7, v8, 1.0
	v_fmac_f32_e32 v8, v10, v8
	v_mul_f32_e32 v10, v9, v8
	v_fma_f32 v11, -v7, v10, v9
	v_fmac_f32_e32 v10, v11, v8
	v_fma_f32 v7, -v7, v10, v9
	v_div_fmas_f32 v7, v7, v8, v10
	v_div_fixup_f32 v3, v7, v3, 1.0
	ds_write_b32 v4, v3
	v_add_u32_e32 v4, s18, v4
	s_andn2_b64 exec, exec, s[16:17]
	s_cbranch_execnz .LBB228_2
.LBB228_3:
	s_or_b64 exec, exec, s[2:3]
	s_ashr_i32 s2, s8, 31
	s_lshr_b32 s2, s2, 30
	s_add_i32 s2, s8, s2
	s_ashr_i32 s11, s2, 2
	s_lshl_b32 s2, s8, 2
	s_add_i32 s7, s2, 0
	v_cmp_gt_u32_e32 vcc, 4, v0
	s_waitcnt lgkmcnt(0)
	s_barrier
	s_and_saveexec_b64 s[16:17], vcc
	s_cbranch_execz .LBB228_10
; %bb.4:
	s_load_dword s2, s[4:5], 0x4c
	v_mul_lo_u32 v2, v0, s11
	v_lshl_add_u32 v2, v2, 2, 0
	s_waitcnt lgkmcnt(0)
	s_and_b32 s22, s2, 0xffff
	s_cmp_gt_i32 s8, 3
	s_cselect_b64 s[2:3], -1, 0
	s_mul_i32 s18, s11, s22
	v_cndmask_b32_e64 v3, 0, 1, s[2:3]
	s_lshl_b32 s23, s18, 2
	s_mov_b64 s[18:19], 0
	v_cmp_ne_u32_e64 s[2:3], 1, v3
	v_mov_b32_e32 v3, v0
	s_branch .LBB228_6
.LBB228_5:                              ;   in Loop: Header=BB228_6 Depth=1
	v_lshl_add_u32 v5, v3, 2, s7
	v_add_u32_e32 v3, s22, v3
	v_cmp_lt_u32_e32 vcc, 3, v3
	s_or_b64 s[18:19], vcc, s[18:19]
	v_add_u32_e32 v2, s23, v2
	ds_write_b32 v5, v4
	s_andn2_b64 exec, exec, s[18:19]
	s_cbranch_execz .LBB228_10
.LBB228_6:                              ; =>This Loop Header: Depth=1
                                        ;     Child Loop BB228_8 Depth 2
	s_and_b64 vcc, exec, s[2:3]
	v_mov_b32_e32 v4, 0xff800000
	s_cbranch_vccnz .LBB228_5
; %bb.7:                                ;   in Loop: Header=BB228_6 Depth=1
	v_mul_lo_u32 v5, v3, s11
	v_add_u32_e32 v6, s11, v5
	s_mov_b64 s[20:21], 0
	v_mov_b32_e32 v4, 0xff800000
	v_mov_b32_e32 v7, v2
.LBB228_8:                              ;   Parent Loop BB228_6 Depth=1
                                        ; =>  This Inner Loop Header: Depth=2
	ds_read_b32 v8, v7
	v_add_u32_e32 v5, 1, v5
	v_cmp_ge_i32_e32 vcc, v5, v6
	s_or_b64 s[20:21], vcc, s[20:21]
	v_add_u32_e32 v7, 4, v7
	s_waitcnt lgkmcnt(0)
	v_cmp_gt_f32_e32 vcc, v8, v4
	v_cndmask_b32_e32 v4, v4, v8, vcc
	s_andn2_b64 exec, exec, s[20:21]
	s_cbranch_execnz .LBB228_8
; %bb.9:                                ;   in Loop: Header=BB228_6 Depth=1
	s_or_b64 exec, exec, s[20:21]
	s_branch .LBB228_5
.LBB228_10:
	s_or_b64 exec, exec, s[16:17]
	s_cmp_lt_i32 s10, 1
	s_waitcnt lgkmcnt(0)
	s_barrier
	s_cbranch_scc1 .LBB228_13
; %bb.11:
	v_mov_b32_e32 v2, s7
	s_mov_b32 s2, 0xff800000
	v_mov_b32_e32 v3, 0xff800000
.LBB228_12:                             ; =>This Inner Loop Header: Depth=1
	ds_read2_b32 v[4:5], v2 offset1:1
	ds_read2_b32 v[6:7], v2 offset0:2 offset1:3
	s_waitcnt lgkmcnt(1)
	v_cmp_nlg_f32_e32 vcc, s2, v4
	v_cndmask_b32_e64 v8, 0, 1, vcc
	v_cmp_lg_f32_e32 vcc, s2, v4
	v_cndmask_b32_e32 v4, v3, v4, vcc
	v_readfirstlane_b32 s3, v8
	v_cmp_gt_f32_e32 vcc, v5, v4
	s_lshl_b32 s3, s3, 2
	v_cndmask_b32_e32 v4, v4, v5, vcc
	s_and_b64 s[16:17], vcc, exec
	s_waitcnt lgkmcnt(0)
	v_cmp_gt_f32_e32 vcc, v6, v4
	v_cndmask_b32_e32 v4, v4, v6, vcc
	s_cselect_b32 s3, 1, s3
	s_and_b64 s[16:17], vcc, exec
	v_cmp_ngt_f32_e32 vcc, v7, v4
	s_cselect_b32 s3, 2, s3
	s_and_b64 s[16:17], vcc, exec
	s_cselect_b32 s3, s3, 3
	s_lshl_b32 s3, s3, 2
	s_add_i32 s3, s7, s3
	s_add_i32 s10, s10, -1
	v_mov_b32_e32 v4, s3
	s_cmp_lg_u32 s10, 0
	ds_write_b32 v4, v3
	s_cbranch_scc1 .LBB228_12
.LBB228_13:
	s_and_saveexec_b64 s[2:3], s[0:1]
	s_cbranch_execz .LBB228_18
; %bb.14:
	s_abs_i32 s18, s11
	v_cvt_f32_u32_e32 v3, s18
	s_load_dword s16, s[4:5], 0x4c
	s_sub_i32 s17, 0, s18
	s_ashr_i32 s19, s11, 31
	v_rcp_iflag_f32_e32 v4, v3
	v_lshl_add_u32 v2, v0, 2, 0
	s_waitcnt lgkmcnt(0)
	s_and_b32 s21, s16, 0xffff
	s_mov_b64 s[10:11], 0
	v_mul_f32_e32 v4, 0x4f7ffffe, v4
	v_cvt_u32_f32_e32 v4, v4
	s_mov_b32 s20, 0xff800000
	v_mov_b32_e32 v3, 0xff800000
	s_lshl_b32 s22, s21, 2
	v_mul_lo_u32 v5, s17, v4
	v_mul_hi_u32 v5, v4, v5
	v_add_u32_e32 v4, v4, v5
	v_mov_b32_e32 v5, v0
	s_branch .LBB228_16
.LBB228_15:                             ;   in Loop: Header=BB228_16 Depth=1
	s_or_b64 exec, exec, s[16:17]
	v_add_u32_e32 v5, s21, v5
	v_cmp_le_i32_e32 vcc, s8, v5
	s_or_b64 s[10:11], vcc, s[10:11]
	v_add_u32_e32 v2, s22, v2
	s_andn2_b64 exec, exec, s[10:11]
	s_cbranch_execz .LBB228_18
.LBB228_16:                             ; =>This Inner Loop Header: Depth=1
	v_sub_u32_e32 v7, 0, v5
	v_max_i32_e32 v7, v5, v7
	v_mul_hi_u32 v8, v7, v4
	v_mul_lo_u32 v9, v8, s18
	v_sub_u32_e32 v7, v7, v9
	v_add_u32_e32 v9, 1, v8
	v_cmp_le_u32_e32 vcc, s18, v7
	v_cndmask_b32_e32 v8, v8, v9, vcc
	v_subrev_u32_e32 v9, s18, v7
	v_cndmask_b32_e32 v7, v7, v9, vcc
	v_ashrrev_i32_e32 v6, 31, v5
	v_add_u32_e32 v9, 1, v8
	v_cmp_le_u32_e32 vcc, s18, v7
	v_xor_b32_e32 v6, s19, v6
	v_cndmask_b32_e32 v7, v8, v9, vcc
	v_xor_b32_e32 v7, v7, v6
	v_sub_u32_e32 v6, v7, v6
	v_lshl_add_u32 v6, v6, 2, s7
	ds_read_b32 v6, v6
	s_waitcnt lgkmcnt(0)
	v_cmp_neq_f32_e32 vcc, s20, v6
	s_and_saveexec_b64 s[16:17], vcc
	s_cbranch_execz .LBB228_15
; %bb.17:                               ;   in Loop: Header=BB228_16 Depth=1
	ds_write_b32 v2, v3
	s_branch .LBB228_15
.LBB228_18:
	s_or_b64 exec, exec, s[2:3]
	s_cmp_lt_i32 s9, 1
	s_waitcnt lgkmcnt(0)
	s_barrier
	s_cbranch_scc1 .LBB228_25
; %bb.19:
	s_add_u32 s2, s4, 64
	s_addc_u32 s3, s5, 0
	s_mov_b32 s7, 0
	v_mov_b32_e32 v3, 0
	v_mov_b32_e32 v5, 0xff800000
                                        ; implicit-def: $vgpr4
                                        ; implicit-def: $vgpr2
	s_branch .LBB228_21
.LBB228_20:                             ;   in Loop: Header=BB228_21 Depth=1
	s_or_b64 exec, exec, s[10:11]
	v_mov_b32_dpp v9, v7 quad_perm:[1,0,3,2] row_mask:0xf bank_mask:0xf
	v_cmp_lt_f32_e32 vcc, v7, v9
	v_cndmask_b32_e32 v7, v7, v9, vcc
	v_mov_b32_dpp v8, v6 quad_perm:[1,0,3,2] row_mask:0xf bank_mask:0xf
	v_cndmask_b32_e32 v6, v6, v8, vcc
	v_mov_b32_dpp v9, v7 quad_perm:[2,3,0,1] row_mask:0xf bank_mask:0xf
	v_cmp_gt_f32_e32 vcc, v9, v7
	v_cndmask_b32_e32 v7, v7, v9, vcc
	v_mov_b32_dpp v8, v6 quad_perm:[2,3,0,1] row_mask:0xf bank_mask:0xf
	v_cndmask_b32_e32 v6, v6, v8, vcc
	v_mov_b32_dpp v9, v7 row_half_mirror row_mask:0xf bank_mask:0xf
	v_cmp_gt_f32_e32 vcc, v9, v7
	v_cndmask_b32_e32 v7, v7, v9, vcc
	v_mov_b32_dpp v8, v6 row_half_mirror row_mask:0xf bank_mask:0xf
	v_cndmask_b32_e32 v6, v6, v8, vcc
	v_mov_b32_dpp v9, v7 row_mirror row_mask:0xf bank_mask:0xf
	v_cmp_gt_f32_e32 vcc, v9, v7
	v_cndmask_b32_e32 v7, v7, v9, vcc
	v_mov_b32_dpp v8, v6 row_mirror row_mask:0xf bank_mask:0xf
	v_cndmask_b32_e32 v6, v6, v8, vcc
	v_mov_b32_dpp v9, v7 row_bcast:15 row_mask:0xf bank_mask:0xf
	v_cmp_gt_f32_e32 vcc, v9, v7
	v_mov_b32_dpp v8, v6 row_bcast:15 row_mask:0xf bank_mask:0xf
	v_cndmask_b32_e32 v7, v7, v9, vcc
	v_cndmask_b32_e32 v6, v6, v8, vcc
	s_nop 0
	v_mov_b32_dpp v9, v7 row_bcast:31 row_mask:0xf bank_mask:0xf
	v_mov_b32_dpp v8, v6 row_bcast:31 row_mask:0xf bank_mask:0xf
	v_cmp_gt_f32_e32 vcc, v9, v7
	v_cndmask_b32_e32 v6, v6, v8, vcc
	v_readlane_b32 s11, v6, 63
	s_lshl_b32 s16, s11, 2
	s_add_i32 s16, s16, 0
	v_cndmask_b32_e32 v7, v7, v9, vcc
	v_mov_b32_e32 v6, s16
	v_readlane_b32 s10, v7, 63
	ds_write_b32 v6, v5
	v_mov_b32_e32 v6, s11
	v_cmp_eq_u32_e32 vcc, s7, v0
	v_cndmask_b32_e32 v2, v2, v6, vcc
	v_mov_b32_e32 v6, s10
	s_add_i32 s7, s7, 1
	v_cndmask_b32_e32 v4, v4, v6, vcc
	s_cmp_eq_u32 s7, s9
	v_add_f32_e32 v3, s10, v3
	s_cbranch_scc1 .LBB228_26
.LBB228_21:                             ; =>This Loop Header: Depth=1
                                        ;     Child Loop BB228_23 Depth 2
	v_mov_b32_e32 v6, s7
	v_mov_b32_e32 v7, 0xff800000
	s_and_saveexec_b64 s[10:11], s[0:1]
	s_cbranch_execz .LBB228_20
; %bb.22:                               ;   in Loop: Header=BB228_21 Depth=1
	s_load_dword s18, s[2:3], 0xc
	s_mov_b64 s[16:17], 0
	v_mov_b32_e32 v6, s7
	v_mov_b32_e32 v7, 0xff800000
	;; [unrolled: 1-line block ×3, first 2 shown]
	s_waitcnt lgkmcnt(0)
	s_and_b32 s18, s18, 0xffff
	s_lshl_b32 s19, s18, 2
	v_mov_b32_e32 v9, v0
.LBB228_23:                             ;   Parent Loop BB228_21 Depth=1
                                        ; =>  This Inner Loop Header: Depth=2
	ds_read_b32 v10, v8
	v_add_u32_e32 v8, s19, v8
	s_waitcnt lgkmcnt(0)
	v_cmp_gt_f32_e32 vcc, v10, v7
	v_cndmask_b32_e32 v6, v6, v9, vcc
	v_add_u32_e32 v9, s18, v9
	v_cndmask_b32_e32 v7, v7, v10, vcc
	v_cmp_le_i32_e32 vcc, s8, v9
	s_or_b64 s[16:17], vcc, s[16:17]
	s_andn2_b64 exec, exec, s[16:17]
	s_cbranch_execnz .LBB228_23
; %bb.24:                               ;   in Loop: Header=BB228_21 Depth=1
	s_or_b64 exec, exec, s[16:17]
	s_branch .LBB228_20
.LBB228_25:
	v_mov_b32_e32 v3, 0
                                        ; implicit-def: $vgpr4
                                        ; implicit-def: $vgpr2
.LBB228_26:
	v_cmp_gt_i32_e32 vcc, s9, v0
	s_and_saveexec_b64 s[0:1], vcc
	s_cbranch_execz .LBB228_29
; %bb.27:
	s_load_dword s7, s[4:5], 0x38
	s_load_dwordx2 s[0:1], s[4:5], 0x20
	s_load_dword s8, s[4:5], 0x4c
	s_waitcnt lgkmcnt(0)
	v_div_scale_f32 v1, s[2:3], v3, v3, s7
	v_rcp_f32_e32 v5, v1
	v_div_scale_f32 v6, vcc, s7, v3, s7
	s_ashr_i32 s2, s6, 31
	v_fma_f32 v7, -v1, v5, 1.0
	v_fmac_f32_e32 v5, v7, v5
	v_mul_f32_e32 v7, v6, v5
	v_fma_f32 v8, -v1, v7, v6
	v_fmac_f32_e32 v7, v8, v5
	v_fma_f32 v1, -v1, v7, v6
	s_mul_i32 s1, s6, s1
	s_mul_hi_u32 s3, s6, s0
	v_div_fmas_f32 v1, v1, v5, v7
	s_add_i32 s1, s3, s1
	s_mul_i32 s2, s2, s0
	v_div_fixup_f32 v1, v1, v3, s7
	s_add_i32 s4, s1, s2
	v_mul_f32_e32 v1, v1, v4
	s_mul_i32 s2, s6, s0
	s_and_b32 s3, s8, 0xffff
	s_mov_b64 s[0:1], 0
	v_mov_b32_e32 v3, s4
	v_mov_b32_e32 v4, s13
	;; [unrolled: 1-line block ×3, first 2 shown]
.LBB228_28:                             ; =>This Inner Loop Header: Depth=1
	v_ashrrev_i32_e32 v7, 31, v0
	v_add_co_u32_e32 v6, vcc, s2, v0
	v_addc_co_u32_e32 v7, vcc, v3, v7, vcc
	v_add_u32_e32 v0, s3, v0
	v_cmp_le_i32_e32 vcc, s9, v0
	v_lshlrev_b64 v[6:7], 2, v[6:7]
	s_or_b64 s[0:1], vcc, s[0:1]
	v_add_co_u32_e32 v8, vcc, s12, v6
	v_addc_co_u32_e32 v9, vcc, v4, v7, vcc
	v_add_co_u32_e32 v6, vcc, s14, v6
	v_addc_co_u32_e32 v7, vcc, v5, v7, vcc
	global_store_dword v[8:9], v1, off
	global_store_dword v[6:7], v2, off
	s_andn2_b64 exec, exec, s[0:1]
	s_cbranch_execnz .LBB228_28
.LBB228_29:
	s_endpgm
	.section	.rodata,"a",@progbits
	.p2align	6, 0x0
	.amdhsa_kernel _ZN5aiter19grouped_topk_kernelIN3c108BFloat16EDv1_fLi4ELb1ELb0ELb0EEEvPT_PKS4_PfPimiiiif
		.amdhsa_group_segment_fixed_size 0
		.amdhsa_private_segment_fixed_size 0
		.amdhsa_kernarg_size 320
		.amdhsa_user_sgpr_count 6
		.amdhsa_user_sgpr_private_segment_buffer 1
		.amdhsa_user_sgpr_dispatch_ptr 0
		.amdhsa_user_sgpr_queue_ptr 0
		.amdhsa_user_sgpr_kernarg_segment_ptr 1
		.amdhsa_user_sgpr_dispatch_id 0
		.amdhsa_user_sgpr_flat_scratch_init 0
		.amdhsa_user_sgpr_kernarg_preload_length 0
		.amdhsa_user_sgpr_kernarg_preload_offset 0
		.amdhsa_user_sgpr_private_segment_size 0
		.amdhsa_uses_dynamic_stack 0
		.amdhsa_system_sgpr_private_segment_wavefront_offset 0
		.amdhsa_system_sgpr_workgroup_id_x 1
		.amdhsa_system_sgpr_workgroup_id_y 0
		.amdhsa_system_sgpr_workgroup_id_z 0
		.amdhsa_system_sgpr_workgroup_info 0
		.amdhsa_system_vgpr_workitem_id 0
		.amdhsa_next_free_vgpr 12
		.amdhsa_next_free_sgpr 24
		.amdhsa_accum_offset 12
		.amdhsa_reserve_vcc 1
		.amdhsa_reserve_flat_scratch 0
		.amdhsa_float_round_mode_32 0
		.amdhsa_float_round_mode_16_64 0
		.amdhsa_float_denorm_mode_32 3
		.amdhsa_float_denorm_mode_16_64 3
		.amdhsa_dx10_clamp 1
		.amdhsa_ieee_mode 1
		.amdhsa_fp16_overflow 0
		.amdhsa_tg_split 0
		.amdhsa_exception_fp_ieee_invalid_op 0
		.amdhsa_exception_fp_denorm_src 0
		.amdhsa_exception_fp_ieee_div_zero 0
		.amdhsa_exception_fp_ieee_overflow 0
		.amdhsa_exception_fp_ieee_underflow 0
		.amdhsa_exception_fp_ieee_inexact 0
		.amdhsa_exception_int_div_zero 0
	.end_amdhsa_kernel
	.section	.text._ZN5aiter19grouped_topk_kernelIN3c108BFloat16EDv1_fLi4ELb1ELb0ELb0EEEvPT_PKS4_PfPimiiiif,"axG",@progbits,_ZN5aiter19grouped_topk_kernelIN3c108BFloat16EDv1_fLi4ELb1ELb0ELb0EEEvPT_PKS4_PfPimiiiif,comdat
.Lfunc_end228:
	.size	_ZN5aiter19grouped_topk_kernelIN3c108BFloat16EDv1_fLi4ELb1ELb0ELb0EEEvPT_PKS4_PfPimiiiif, .Lfunc_end228-_ZN5aiter19grouped_topk_kernelIN3c108BFloat16EDv1_fLi4ELb1ELb0ELb0EEEvPT_PKS4_PfPimiiiif
                                        ; -- End function
	.section	.AMDGPU.csdata,"",@progbits
; Kernel info:
; codeLenInByte = 1728
; NumSgprs: 28
; NumVgprs: 12
; NumAgprs: 0
; TotalNumVgprs: 12
; ScratchSize: 0
; MemoryBound: 0
; FloatMode: 240
; IeeeMode: 1
; LDSByteSize: 0 bytes/workgroup (compile time only)
; SGPRBlocks: 3
; VGPRBlocks: 1
; NumSGPRsForWavesPerEU: 28
; NumVGPRsForWavesPerEU: 12
; AccumOffset: 12
; Occupancy: 8
; WaveLimiterHint : 0
; COMPUTE_PGM_RSRC2:SCRATCH_EN: 0
; COMPUTE_PGM_RSRC2:USER_SGPR: 6
; COMPUTE_PGM_RSRC2:TRAP_HANDLER: 0
; COMPUTE_PGM_RSRC2:TGID_X_EN: 1
; COMPUTE_PGM_RSRC2:TGID_Y_EN: 0
; COMPUTE_PGM_RSRC2:TGID_Z_EN: 0
; COMPUTE_PGM_RSRC2:TIDIG_COMP_CNT: 0
; COMPUTE_PGM_RSRC3_GFX90A:ACCUM_OFFSET: 2
; COMPUTE_PGM_RSRC3_GFX90A:TG_SPLIT: 0
	.section	.text._ZN5aiter28grouped_topk_opt_sort_kernelIfDv1_fLi4ELb0ELb1ELb0EEEvPT_PKS2_PfPimiiiif,"axG",@progbits,_ZN5aiter28grouped_topk_opt_sort_kernelIfDv1_fLi4ELb0ELb1ELb0EEEvPT_PKS2_PfPimiiiif,comdat
	.protected	_ZN5aiter28grouped_topk_opt_sort_kernelIfDv1_fLi4ELb0ELb1ELb0EEEvPT_PKS2_PfPimiiiif ; -- Begin function _ZN5aiter28grouped_topk_opt_sort_kernelIfDv1_fLi4ELb0ELb1ELb0EEEvPT_PKS2_PfPimiiiif
	.globl	_ZN5aiter28grouped_topk_opt_sort_kernelIfDv1_fLi4ELb0ELb1ELb0EEEvPT_PKS2_PfPimiiiif
	.p2align	8
	.type	_ZN5aiter28grouped_topk_opt_sort_kernelIfDv1_fLi4ELb0ELb1ELb0EEEvPT_PKS2_PfPimiiiif,@function
_ZN5aiter28grouped_topk_opt_sort_kernelIfDv1_fLi4ELb0ELb1ELb0EEEvPT_PKS2_PfPimiiiif: ; @_ZN5aiter28grouped_topk_opt_sort_kernelIfDv1_fLi4ELb0ELb1ELb0EEEvPT_PKS2_PfPimiiiif
; %bb.0:
	s_load_dword s7, s[4:5], 0x28
	s_load_dwordx4 s[0:3], s[4:5], 0x0
	s_load_dword s8, s[4:5], 0x30
	v_lshlrev_b32_e32 v1, 2, v0
	v_mbcnt_lo_u32_b32 v3, -1, 0
	s_waitcnt lgkmcnt(0)
	s_mul_i32 s4, s6, s7
	s_ashr_i32 s5, s4, 31
	s_lshl_b64 s[4:5], s[4:5], 2
	s_add_u32 s0, s0, s4
	s_addc_u32 s1, s1, s5
	global_load_dword v2, v1, s[0:1]
	global_load_dword v4, v1, s[2:3]
	s_mov_b32 s0, 0x652b82fe
	v_mbcnt_hi_u32_b32 v3, -1, v3
	s_mov_b32 s1, 0xbff71547
	v_and_b32_e32 v13, 64, v3
	s_mov_b32 s2, 0xc2fc0000
	v_mov_b32_e32 v5, 0x42800000
	v_mov_b32_e32 v6, 0x1f800000
	v_and_b32_e32 v12, 1, v0
	v_mov_b32_e32 v7, 0xff800000
	v_mov_b32_e32 v8, 0x7f800000
	v_lshlrev_b32_e32 v9, 4, v0
	v_lshrrev_b32_e32 v10, 1, v0
	v_xor_b32_e32 v10, v10, v0
	v_and_b32_e32 v11, 2, v0
	v_add_u32_e32 v1, 0, v1
	s_waitcnt vmcnt(1)
	v_cvt_f64_f32_e32 v[2:3], v2
	v_mul_f64 v[2:3], v[2:3], s[0:1]
	v_cvt_f32_f64_e32 v2, v[2:3]
	v_cmp_gt_f32_e32 vcc, s2, v2
	v_cndmask_b32_e32 v3, 0, v5, vcc
	v_add_f32_e32 v2, v2, v3
	v_exp_f32_e32 v2, v2
	v_cndmask_b32_e32 v5, 1.0, v6, vcc
	v_cmp_eq_u32_e32 vcc, 0, v12
	v_and_or_b32 v6, v9, 48, v13
	v_fma_f32 v2, v2, v5, 1.0
	v_rcp_f32_e32 v2, v2
	v_cndmask_b32_e32 v5, v7, v8, vcc
	v_lshlrev_b32_e32 v6, 2, v6
	v_cmp_eq_u32_e64 s[0:1], 0, v11
	s_waitcnt vmcnt(0)
	v_add_f32_e32 v2, v4, v2
	v_cmp_o_f32_e32 vcc, v2, v2
	v_cndmask_b32_e32 v2, v7, v2, vcc
	v_add_f32_e32 v4, 0xff800000, v2
	ds_bpermute_b32 v4, v6, v4
	v_and_b32_e32 v6, 1, v10
	v_cmp_eq_u32_e32 vcc, 0, v6
	v_cndmask_b32_e64 v3, v7, v8, s[0:1]
	v_cndmask_b32_e32 v6, v7, v8, vcc
	s_waitcnt lgkmcnt(0)
	v_mov_b32_dpp v7, v4 quad_perm:[1,0,3,2] row_mask:0xf bank_mask:0xf bound_ctrl:1
	v_med3_f32 v6, v4, v7, v6
	v_lshlrev_b32_e32 v9, 2, v13
	ds_write_b32 v1, v2
	v_mov_b32_dpp v7, v6 quad_perm:[2,3,0,1] row_mask:0xf bank_mask:0xf bound_ctrl:1
	v_med3_f32 v3, v6, v7, v3
	s_nop 1
	v_mov_b32_dpp v6, v3 quad_perm:[1,0,3,2] row_mask:0xf bank_mask:0xf bound_ctrl:1
	v_med3_f32 v3, v3, v6, v5
	ds_bpermute_b32 v3, v9, v3 offset:12
	s_waitcnt lgkmcnt(0)
	v_cmp_gt_f32_e32 vcc, v4, v3
	v_cndmask_b32_e64 v1, 0, 1, vcc
	v_cmp_eq_f32_e64 s[0:1], v4, v3
	v_cndmask_b32_e64 v2, 0, 1, s[0:1]
	v_mov_b32_dpp v1, v1 row_shr:1 row_mask:0xf bank_mask:0xf bound_ctrl:1
	v_cmp_ge_f32_e64 s[2:3], v4, v3
	v_addc_co_u32_e64 v3, s[4:5], 0, v1, vcc
	v_mov_b32_dpp v2, v2 row_shr:1 row_mask:0xf bank_mask:0xf bound_ctrl:1
	s_nop 0
	v_mov_b32_dpp v3, v3 row_shr:2 row_mask:0xf bank_mask:0xf bound_ctrl:1
	v_addc_co_u32_e64 v4, s[4:5], 0, v2, s[0:1]
	v_addc_co_u32_e32 v1, vcc, v3, v1, vcc
	v_readlane_b32 s4, v1, 3
	v_mov_b32_e32 v3, s4
	v_addc_co_u32_e64 v2, vcc, v3, v2, s[0:1]
	s_nop 1
	v_add_u32_dpp v2, v4, v2 row_shr:2 row_mask:0xf bank_mask:0xf bound_ctrl:1
	v_cndmask_b32_e64 v1, v1, v2, s[0:1]
	v_cmp_ge_i32_e32 vcc, s8, v1
	s_and_b64 s[0:1], s[2:3], vcc
	v_cmp_gt_u32_e32 vcc, 4, v0
	s_and_b64 s[2:3], vcc, s[0:1]
	s_and_saveexec_b64 s[0:1], s[2:3]
	s_cbranch_execz .LBB229_2
; %bb.1:
	s_lshl_b32 s2, s7, 2
	s_add_i32 s2, s2, 0
	v_lshl_add_u32 v1, v1, 2, s2
	ds_write_b32 v1, v0 offset:12
.LBB229_2:
	s_or_b64 exec, exec, s[0:1]
	s_waitcnt lgkmcnt(0)
	s_barrier
	s_endpgm
	.section	.rodata,"a",@progbits
	.p2align	6, 0x0
	.amdhsa_kernel _ZN5aiter28grouped_topk_opt_sort_kernelIfDv1_fLi4ELb0ELb1ELb0EEEvPT_PKS2_PfPimiiiif
		.amdhsa_group_segment_fixed_size 0
		.amdhsa_private_segment_fixed_size 0
		.amdhsa_kernarg_size 60
		.amdhsa_user_sgpr_count 6
		.amdhsa_user_sgpr_private_segment_buffer 1
		.amdhsa_user_sgpr_dispatch_ptr 0
		.amdhsa_user_sgpr_queue_ptr 0
		.amdhsa_user_sgpr_kernarg_segment_ptr 1
		.amdhsa_user_sgpr_dispatch_id 0
		.amdhsa_user_sgpr_flat_scratch_init 0
		.amdhsa_user_sgpr_kernarg_preload_length 0
		.amdhsa_user_sgpr_kernarg_preload_offset 0
		.amdhsa_user_sgpr_private_segment_size 0
		.amdhsa_uses_dynamic_stack 0
		.amdhsa_system_sgpr_private_segment_wavefront_offset 0
		.amdhsa_system_sgpr_workgroup_id_x 1
		.amdhsa_system_sgpr_workgroup_id_y 0
		.amdhsa_system_sgpr_workgroup_id_z 0
		.amdhsa_system_sgpr_workgroup_info 0
		.amdhsa_system_vgpr_workitem_id 0
		.amdhsa_next_free_vgpr 14
		.amdhsa_next_free_sgpr 9
		.amdhsa_accum_offset 16
		.amdhsa_reserve_vcc 1
		.amdhsa_reserve_flat_scratch 0
		.amdhsa_float_round_mode_32 0
		.amdhsa_float_round_mode_16_64 0
		.amdhsa_float_denorm_mode_32 3
		.amdhsa_float_denorm_mode_16_64 3
		.amdhsa_dx10_clamp 1
		.amdhsa_ieee_mode 1
		.amdhsa_fp16_overflow 0
		.amdhsa_tg_split 0
		.amdhsa_exception_fp_ieee_invalid_op 0
		.amdhsa_exception_fp_denorm_src 0
		.amdhsa_exception_fp_ieee_div_zero 0
		.amdhsa_exception_fp_ieee_overflow 0
		.amdhsa_exception_fp_ieee_underflow 0
		.amdhsa_exception_fp_ieee_inexact 0
		.amdhsa_exception_int_div_zero 0
	.end_amdhsa_kernel
	.section	.text._ZN5aiter28grouped_topk_opt_sort_kernelIfDv1_fLi4ELb0ELb1ELb0EEEvPT_PKS2_PfPimiiiif,"axG",@progbits,_ZN5aiter28grouped_topk_opt_sort_kernelIfDv1_fLi4ELb0ELb1ELb0EEEvPT_PKS2_PfPimiiiif,comdat
.Lfunc_end229:
	.size	_ZN5aiter28grouped_topk_opt_sort_kernelIfDv1_fLi4ELb0ELb1ELb0EEEvPT_PKS2_PfPimiiiif, .Lfunc_end229-_ZN5aiter28grouped_topk_opt_sort_kernelIfDv1_fLi4ELb0ELb1ELb0EEEvPT_PKS2_PfPimiiiif
                                        ; -- End function
	.section	.AMDGPU.csdata,"",@progbits
; Kernel info:
; codeLenInByte = 568
; NumSgprs: 13
; NumVgprs: 14
; NumAgprs: 0
; TotalNumVgprs: 14
; ScratchSize: 0
; MemoryBound: 0
; FloatMode: 240
; IeeeMode: 1
; LDSByteSize: 0 bytes/workgroup (compile time only)
; SGPRBlocks: 1
; VGPRBlocks: 1
; NumSGPRsForWavesPerEU: 13
; NumVGPRsForWavesPerEU: 14
; AccumOffset: 16
; Occupancy: 8
; WaveLimiterHint : 0
; COMPUTE_PGM_RSRC2:SCRATCH_EN: 0
; COMPUTE_PGM_RSRC2:USER_SGPR: 6
; COMPUTE_PGM_RSRC2:TRAP_HANDLER: 0
; COMPUTE_PGM_RSRC2:TGID_X_EN: 1
; COMPUTE_PGM_RSRC2:TGID_Y_EN: 0
; COMPUTE_PGM_RSRC2:TGID_Z_EN: 0
; COMPUTE_PGM_RSRC2:TIDIG_COMP_CNT: 0
; COMPUTE_PGM_RSRC3_GFX90A:ACCUM_OFFSET: 3
; COMPUTE_PGM_RSRC3_GFX90A:TG_SPLIT: 0
	.section	.text._ZN5aiter28grouped_topk_opt_sort_kernelIN3c104HalfEDv1_fLi4ELb0ELb1ELb0EEEvPT_PKS4_PfPimiiiif,"axG",@progbits,_ZN5aiter28grouped_topk_opt_sort_kernelIN3c104HalfEDv1_fLi4ELb0ELb1ELb0EEEvPT_PKS4_PfPimiiiif,comdat
	.protected	_ZN5aiter28grouped_topk_opt_sort_kernelIN3c104HalfEDv1_fLi4ELb0ELb1ELb0EEEvPT_PKS4_PfPimiiiif ; -- Begin function _ZN5aiter28grouped_topk_opt_sort_kernelIN3c104HalfEDv1_fLi4ELb0ELb1ELb0EEEvPT_PKS4_PfPimiiiif
	.globl	_ZN5aiter28grouped_topk_opt_sort_kernelIN3c104HalfEDv1_fLi4ELb0ELb1ELb0EEEvPT_PKS4_PfPimiiiif
	.p2align	8
	.type	_ZN5aiter28grouped_topk_opt_sort_kernelIN3c104HalfEDv1_fLi4ELb0ELb1ELb0EEEvPT_PKS4_PfPimiiiif,@function
_ZN5aiter28grouped_topk_opt_sort_kernelIN3c104HalfEDv1_fLi4ELb0ELb1ELb0EEEvPT_PKS4_PfPimiiiif: ; @_ZN5aiter28grouped_topk_opt_sort_kernelIN3c104HalfEDv1_fLi4ELb0ELb1ELb0EEEvPT_PKS4_PfPimiiiif
; %bb.0:
	s_load_dword s7, s[4:5], 0x28
	s_load_dwordx4 s[0:3], s[4:5], 0x0
	s_load_dword s8, s[4:5], 0x30
	v_lshlrev_b32_e32 v1, 1, v0
	v_mbcnt_lo_u32_b32 v3, -1, 0
	s_waitcnt lgkmcnt(0)
	s_mul_i32 s4, s6, s7
	s_ashr_i32 s5, s4, 31
	s_lshl_b64 s[4:5], s[4:5], 1
	s_add_u32 s0, s0, s4
	s_addc_u32 s1, s1, s5
	global_load_ushort v2, v1, s[0:1]
	global_load_ushort v4, v1, s[2:3]
	s_mov_b32 s0, 0x652b82fe
	v_mbcnt_hi_u32_b32 v3, -1, v3
	s_mov_b32 s1, 0xbff71547
	v_and_b32_e32 v12, 64, v3
	s_mov_b32 s2, 0xc2fc0000
	v_mov_b32_e32 v1, 0x42800000
	v_mov_b32_e32 v5, 0x1f800000
	v_and_b32_e32 v11, 1, v0
	v_mov_b32_e32 v6, 0xff800000
	v_mov_b32_e32 v7, 0x7f800000
	v_lshlrev_b32_e32 v8, 4, v0
	v_lshrrev_b32_e32 v9, 1, v0
	v_xor_b32_e32 v9, v9, v0
	v_and_b32_e32 v10, 2, v0
	s_waitcnt vmcnt(1)
	v_cvt_f32_f16_e32 v2, v2
	v_cvt_f64_f32_e32 v[2:3], v2
	v_mul_f64 v[2:3], v[2:3], s[0:1]
	v_cvt_f32_f64_e32 v2, v[2:3]
	v_cmp_gt_f32_e32 vcc, s2, v2
	v_cndmask_b32_e32 v1, 0, v1, vcc
	v_add_f32_e32 v1, v2, v1
	v_exp_f32_e32 v1, v1
	s_waitcnt vmcnt(0)
	v_cvt_f32_f16_e32 v3, v4
	v_cndmask_b32_e32 v4, 1.0, v5, vcc
	v_cmp_eq_u32_e32 vcc, 0, v11
	v_fma_f32 v1, v1, v4, 1.0
	v_rcp_f32_e32 v1, v1
	v_cndmask_b32_e32 v4, v6, v7, vcc
	v_and_or_b32 v5, v8, 48, v12
	v_lshlrev_b32_e32 v5, 2, v5
	v_add_f32_e32 v1, v1, v3
	v_cmp_o_f32_e32 vcc, v1, v1
	v_cndmask_b32_e32 v1, v6, v1, vcc
	v_add_f32_e32 v3, 0xff800000, v1
	ds_bpermute_b32 v3, v5, v3
	v_and_b32_e32 v5, 1, v9
	v_cmp_eq_u32_e64 s[0:1], 0, v10
	v_cmp_eq_u32_e32 vcc, 0, v5
	v_cndmask_b32_e64 v2, v6, v7, s[0:1]
	v_cndmask_b32_e32 v5, v6, v7, vcc
	s_waitcnt lgkmcnt(0)
	v_mov_b32_dpp v6, v3 quad_perm:[1,0,3,2] row_mask:0xf bank_mask:0xf bound_ctrl:1
	v_med3_f32 v5, v3, v6, v5
	v_lshlrev_b32_e32 v8, 2, v12
	s_nop 0
	v_mov_b32_dpp v6, v5 quad_perm:[2,3,0,1] row_mask:0xf bank_mask:0xf bound_ctrl:1
	v_med3_f32 v2, v5, v6, v2
	s_nop 1
	v_mov_b32_dpp v5, v2 quad_perm:[1,0,3,2] row_mask:0xf bank_mask:0xf bound_ctrl:1
	v_med3_f32 v2, v2, v5, v4
	ds_bpermute_b32 v2, v8, v2 offset:12
	v_lshl_add_u32 v4, v0, 2, 0
	ds_write_b32 v4, v1
	s_waitcnt lgkmcnt(1)
	v_cmp_gt_f32_e32 vcc, v3, v2
	v_cndmask_b32_e64 v1, 0, 1, vcc
	v_cmp_eq_f32_e64 s[0:1], v3, v2
	v_cndmask_b32_e64 v4, 0, 1, s[0:1]
	v_mov_b32_dpp v1, v1 row_shr:1 row_mask:0xf bank_mask:0xf bound_ctrl:1
	v_cmp_ge_f32_e64 s[2:3], v3, v2
	v_addc_co_u32_e64 v3, s[4:5], 0, v1, vcc
	v_mov_b32_dpp v2, v4 row_shr:1 row_mask:0xf bank_mask:0xf bound_ctrl:1
	s_nop 0
	v_mov_b32_dpp v3, v3 row_shr:2 row_mask:0xf bank_mask:0xf bound_ctrl:1
	v_addc_co_u32_e64 v4, s[4:5], 0, v2, s[0:1]
	v_addc_co_u32_e32 v1, vcc, v3, v1, vcc
	v_readlane_b32 s4, v1, 3
	v_mov_b32_e32 v3, s4
	v_addc_co_u32_e64 v2, vcc, v3, v2, s[0:1]
	s_nop 1
	v_add_u32_dpp v2, v4, v2 row_shr:2 row_mask:0xf bank_mask:0xf bound_ctrl:1
	v_cndmask_b32_e64 v1, v1, v2, s[0:1]
	v_cmp_ge_i32_e32 vcc, s8, v1
	s_and_b64 s[0:1], s[2:3], vcc
	v_cmp_gt_u32_e32 vcc, 4, v0
	s_and_b64 s[2:3], vcc, s[0:1]
	s_and_saveexec_b64 s[0:1], s[2:3]
	s_cbranch_execz .LBB230_2
; %bb.1:
	s_lshl_b32 s2, s7, 2
	s_add_i32 s2, s2, 0
	v_lshl_add_u32 v1, v1, 2, s2
	ds_write_b32 v1, v0 offset:12
.LBB230_2:
	s_or_b64 exec, exec, s[0:1]
	s_waitcnt lgkmcnt(0)
	s_barrier
	s_endpgm
	.section	.rodata,"a",@progbits
	.p2align	6, 0x0
	.amdhsa_kernel _ZN5aiter28grouped_topk_opt_sort_kernelIN3c104HalfEDv1_fLi4ELb0ELb1ELb0EEEvPT_PKS4_PfPimiiiif
		.amdhsa_group_segment_fixed_size 0
		.amdhsa_private_segment_fixed_size 0
		.amdhsa_kernarg_size 60
		.amdhsa_user_sgpr_count 6
		.amdhsa_user_sgpr_private_segment_buffer 1
		.amdhsa_user_sgpr_dispatch_ptr 0
		.amdhsa_user_sgpr_queue_ptr 0
		.amdhsa_user_sgpr_kernarg_segment_ptr 1
		.amdhsa_user_sgpr_dispatch_id 0
		.amdhsa_user_sgpr_flat_scratch_init 0
		.amdhsa_user_sgpr_kernarg_preload_length 0
		.amdhsa_user_sgpr_kernarg_preload_offset 0
		.amdhsa_user_sgpr_private_segment_size 0
		.amdhsa_uses_dynamic_stack 0
		.amdhsa_system_sgpr_private_segment_wavefront_offset 0
		.amdhsa_system_sgpr_workgroup_id_x 1
		.amdhsa_system_sgpr_workgroup_id_y 0
		.amdhsa_system_sgpr_workgroup_id_z 0
		.amdhsa_system_sgpr_workgroup_info 0
		.amdhsa_system_vgpr_workitem_id 0
		.amdhsa_next_free_vgpr 13
		.amdhsa_next_free_sgpr 9
		.amdhsa_accum_offset 16
		.amdhsa_reserve_vcc 1
		.amdhsa_reserve_flat_scratch 0
		.amdhsa_float_round_mode_32 0
		.amdhsa_float_round_mode_16_64 0
		.amdhsa_float_denorm_mode_32 3
		.amdhsa_float_denorm_mode_16_64 3
		.amdhsa_dx10_clamp 1
		.amdhsa_ieee_mode 1
		.amdhsa_fp16_overflow 0
		.amdhsa_tg_split 0
		.amdhsa_exception_fp_ieee_invalid_op 0
		.amdhsa_exception_fp_denorm_src 0
		.amdhsa_exception_fp_ieee_div_zero 0
		.amdhsa_exception_fp_ieee_overflow 0
		.amdhsa_exception_fp_ieee_underflow 0
		.amdhsa_exception_fp_ieee_inexact 0
		.amdhsa_exception_int_div_zero 0
	.end_amdhsa_kernel
	.section	.text._ZN5aiter28grouped_topk_opt_sort_kernelIN3c104HalfEDv1_fLi4ELb0ELb1ELb0EEEvPT_PKS4_PfPimiiiif,"axG",@progbits,_ZN5aiter28grouped_topk_opt_sort_kernelIN3c104HalfEDv1_fLi4ELb0ELb1ELb0EEEvPT_PKS4_PfPimiiiif,comdat
.Lfunc_end230:
	.size	_ZN5aiter28grouped_topk_opt_sort_kernelIN3c104HalfEDv1_fLi4ELb0ELb1ELb0EEEvPT_PKS4_PfPimiiiif, .Lfunc_end230-_ZN5aiter28grouped_topk_opt_sort_kernelIN3c104HalfEDv1_fLi4ELb0ELb1ELb0EEEvPT_PKS4_PfPimiiiif
                                        ; -- End function
	.section	.AMDGPU.csdata,"",@progbits
; Kernel info:
; codeLenInByte = 584
; NumSgprs: 13
; NumVgprs: 13
; NumAgprs: 0
; TotalNumVgprs: 13
; ScratchSize: 0
; MemoryBound: 0
; FloatMode: 240
; IeeeMode: 1
; LDSByteSize: 0 bytes/workgroup (compile time only)
; SGPRBlocks: 1
; VGPRBlocks: 1
; NumSGPRsForWavesPerEU: 13
; NumVGPRsForWavesPerEU: 13
; AccumOffset: 16
; Occupancy: 8
; WaveLimiterHint : 0
; COMPUTE_PGM_RSRC2:SCRATCH_EN: 0
; COMPUTE_PGM_RSRC2:USER_SGPR: 6
; COMPUTE_PGM_RSRC2:TRAP_HANDLER: 0
; COMPUTE_PGM_RSRC2:TGID_X_EN: 1
; COMPUTE_PGM_RSRC2:TGID_Y_EN: 0
; COMPUTE_PGM_RSRC2:TGID_Z_EN: 0
; COMPUTE_PGM_RSRC2:TIDIG_COMP_CNT: 0
; COMPUTE_PGM_RSRC3_GFX90A:ACCUM_OFFSET: 3
; COMPUTE_PGM_RSRC3_GFX90A:TG_SPLIT: 0
	.section	.text._ZN5aiter28grouped_topk_opt_sort_kernelIN3c108BFloat16EDv1_fLi4ELb0ELb1ELb0EEEvPT_PKS4_PfPimiiiif,"axG",@progbits,_ZN5aiter28grouped_topk_opt_sort_kernelIN3c108BFloat16EDv1_fLi4ELb0ELb1ELb0EEEvPT_PKS4_PfPimiiiif,comdat
	.protected	_ZN5aiter28grouped_topk_opt_sort_kernelIN3c108BFloat16EDv1_fLi4ELb0ELb1ELb0EEEvPT_PKS4_PfPimiiiif ; -- Begin function _ZN5aiter28grouped_topk_opt_sort_kernelIN3c108BFloat16EDv1_fLi4ELb0ELb1ELb0EEEvPT_PKS4_PfPimiiiif
	.globl	_ZN5aiter28grouped_topk_opt_sort_kernelIN3c108BFloat16EDv1_fLi4ELb0ELb1ELb0EEEvPT_PKS4_PfPimiiiif
	.p2align	8
	.type	_ZN5aiter28grouped_topk_opt_sort_kernelIN3c108BFloat16EDv1_fLi4ELb0ELb1ELb0EEEvPT_PKS4_PfPimiiiif,@function
_ZN5aiter28grouped_topk_opt_sort_kernelIN3c108BFloat16EDv1_fLi4ELb0ELb1ELb0EEEvPT_PKS4_PfPimiiiif: ; @_ZN5aiter28grouped_topk_opt_sort_kernelIN3c108BFloat16EDv1_fLi4ELb0ELb1ELb0EEEvPT_PKS4_PfPimiiiif
; %bb.0:
	s_load_dword s7, s[4:5], 0x28
	s_load_dwordx4 s[0:3], s[4:5], 0x0
	s_load_dword s8, s[4:5], 0x30
	v_lshlrev_b32_e32 v1, 1, v0
	v_mbcnt_lo_u32_b32 v3, -1, 0
	s_waitcnt lgkmcnt(0)
	s_mul_i32 s4, s6, s7
	s_ashr_i32 s5, s4, 31
	s_lshl_b64 s[4:5], s[4:5], 1
	s_add_u32 s0, s0, s4
	s_addc_u32 s1, s1, s5
	global_load_ushort v2, v1, s[0:1]
	global_load_ushort v4, v1, s[2:3]
	s_mov_b32 s0, 0x652b82fe
	v_mbcnt_hi_u32_b32 v3, -1, v3
	s_mov_b32 s1, 0xbff71547
	v_and_b32_e32 v12, 64, v3
	s_mov_b32 s2, 0xc2fc0000
	v_mov_b32_e32 v1, 0x42800000
	v_mov_b32_e32 v5, 0x1f800000
	v_and_b32_e32 v11, 1, v0
	v_mov_b32_e32 v6, 0xff800000
	v_mov_b32_e32 v7, 0x7f800000
	v_lshlrev_b32_e32 v8, 4, v0
	v_lshrrev_b32_e32 v9, 1, v0
	v_xor_b32_e32 v9, v9, v0
	v_and_b32_e32 v10, 2, v0
	s_waitcnt vmcnt(1)
	v_cvt_f64_u32_e32 v[2:3], v2
	v_mul_f64 v[2:3], v[2:3], s[0:1]
	v_cvt_f32_f64_e32 v2, v[2:3]
	v_cmp_gt_f32_e32 vcc, s2, v2
	v_cndmask_b32_e32 v1, 0, v1, vcc
	v_add_f32_e32 v1, v2, v1
	v_exp_f32_e32 v1, v1
	s_waitcnt vmcnt(0)
	v_cvt_f32_u32_e32 v3, v4
	v_cndmask_b32_e32 v4, 1.0, v5, vcc
	v_cmp_eq_u32_e32 vcc, 0, v11
	v_fma_f32 v1, v1, v4, 1.0
	v_rcp_f32_e32 v1, v1
	v_cndmask_b32_e32 v4, v6, v7, vcc
	v_and_or_b32 v5, v8, 48, v12
	v_lshlrev_b32_e32 v5, 2, v5
	v_add_f32_e32 v1, v1, v3
	v_cmp_o_f32_e32 vcc, v1, v1
	v_cndmask_b32_e32 v1, v6, v1, vcc
	v_add_f32_e32 v3, 0xff800000, v1
	ds_bpermute_b32 v3, v5, v3
	v_and_b32_e32 v5, 1, v9
	v_cmp_eq_u32_e64 s[0:1], 0, v10
	v_cmp_eq_u32_e32 vcc, 0, v5
	v_cndmask_b32_e64 v2, v6, v7, s[0:1]
	v_cndmask_b32_e32 v5, v6, v7, vcc
	s_waitcnt lgkmcnt(0)
	v_mov_b32_dpp v6, v3 quad_perm:[1,0,3,2] row_mask:0xf bank_mask:0xf bound_ctrl:1
	v_med3_f32 v5, v3, v6, v5
	v_lshlrev_b32_e32 v8, 2, v12
	s_nop 0
	v_mov_b32_dpp v6, v5 quad_perm:[2,3,0,1] row_mask:0xf bank_mask:0xf bound_ctrl:1
	v_med3_f32 v2, v5, v6, v2
	s_nop 1
	v_mov_b32_dpp v5, v2 quad_perm:[1,0,3,2] row_mask:0xf bank_mask:0xf bound_ctrl:1
	v_med3_f32 v2, v2, v5, v4
	ds_bpermute_b32 v2, v8, v2 offset:12
	v_lshl_add_u32 v4, v0, 2, 0
	ds_write_b32 v4, v1
	s_waitcnt lgkmcnt(1)
	v_cmp_gt_f32_e32 vcc, v3, v2
	v_cndmask_b32_e64 v1, 0, 1, vcc
	v_cmp_eq_f32_e64 s[0:1], v3, v2
	v_cndmask_b32_e64 v4, 0, 1, s[0:1]
	v_mov_b32_dpp v1, v1 row_shr:1 row_mask:0xf bank_mask:0xf bound_ctrl:1
	v_cmp_ge_f32_e64 s[2:3], v3, v2
	v_addc_co_u32_e64 v3, s[4:5], 0, v1, vcc
	v_mov_b32_dpp v2, v4 row_shr:1 row_mask:0xf bank_mask:0xf bound_ctrl:1
	s_nop 0
	v_mov_b32_dpp v3, v3 row_shr:2 row_mask:0xf bank_mask:0xf bound_ctrl:1
	v_addc_co_u32_e64 v4, s[4:5], 0, v2, s[0:1]
	v_addc_co_u32_e32 v1, vcc, v3, v1, vcc
	v_readlane_b32 s4, v1, 3
	v_mov_b32_e32 v3, s4
	v_addc_co_u32_e64 v2, vcc, v3, v2, s[0:1]
	s_nop 1
	v_add_u32_dpp v2, v4, v2 row_shr:2 row_mask:0xf bank_mask:0xf bound_ctrl:1
	v_cndmask_b32_e64 v1, v1, v2, s[0:1]
	v_cmp_ge_i32_e32 vcc, s8, v1
	s_and_b64 s[0:1], s[2:3], vcc
	v_cmp_gt_u32_e32 vcc, 4, v0
	s_and_b64 s[2:3], vcc, s[0:1]
	s_and_saveexec_b64 s[0:1], s[2:3]
	s_cbranch_execz .LBB231_2
; %bb.1:
	s_lshl_b32 s2, s7, 2
	s_add_i32 s2, s2, 0
	v_lshl_add_u32 v1, v1, 2, s2
	ds_write_b32 v1, v0 offset:12
.LBB231_2:
	s_or_b64 exec, exec, s[0:1]
	s_waitcnt lgkmcnt(0)
	s_barrier
	s_endpgm
	.section	.rodata,"a",@progbits
	.p2align	6, 0x0
	.amdhsa_kernel _ZN5aiter28grouped_topk_opt_sort_kernelIN3c108BFloat16EDv1_fLi4ELb0ELb1ELb0EEEvPT_PKS4_PfPimiiiif
		.amdhsa_group_segment_fixed_size 0
		.amdhsa_private_segment_fixed_size 0
		.amdhsa_kernarg_size 60
		.amdhsa_user_sgpr_count 6
		.amdhsa_user_sgpr_private_segment_buffer 1
		.amdhsa_user_sgpr_dispatch_ptr 0
		.amdhsa_user_sgpr_queue_ptr 0
		.amdhsa_user_sgpr_kernarg_segment_ptr 1
		.amdhsa_user_sgpr_dispatch_id 0
		.amdhsa_user_sgpr_flat_scratch_init 0
		.amdhsa_user_sgpr_kernarg_preload_length 0
		.amdhsa_user_sgpr_kernarg_preload_offset 0
		.amdhsa_user_sgpr_private_segment_size 0
		.amdhsa_uses_dynamic_stack 0
		.amdhsa_system_sgpr_private_segment_wavefront_offset 0
		.amdhsa_system_sgpr_workgroup_id_x 1
		.amdhsa_system_sgpr_workgroup_id_y 0
		.amdhsa_system_sgpr_workgroup_id_z 0
		.amdhsa_system_sgpr_workgroup_info 0
		.amdhsa_system_vgpr_workitem_id 0
		.amdhsa_next_free_vgpr 13
		.amdhsa_next_free_sgpr 9
		.amdhsa_accum_offset 16
		.amdhsa_reserve_vcc 1
		.amdhsa_reserve_flat_scratch 0
		.amdhsa_float_round_mode_32 0
		.amdhsa_float_round_mode_16_64 0
		.amdhsa_float_denorm_mode_32 3
		.amdhsa_float_denorm_mode_16_64 3
		.amdhsa_dx10_clamp 1
		.amdhsa_ieee_mode 1
		.amdhsa_fp16_overflow 0
		.amdhsa_tg_split 0
		.amdhsa_exception_fp_ieee_invalid_op 0
		.amdhsa_exception_fp_denorm_src 0
		.amdhsa_exception_fp_ieee_div_zero 0
		.amdhsa_exception_fp_ieee_overflow 0
		.amdhsa_exception_fp_ieee_underflow 0
		.amdhsa_exception_fp_ieee_inexact 0
		.amdhsa_exception_int_div_zero 0
	.end_amdhsa_kernel
	.section	.text._ZN5aiter28grouped_topk_opt_sort_kernelIN3c108BFloat16EDv1_fLi4ELb0ELb1ELb0EEEvPT_PKS4_PfPimiiiif,"axG",@progbits,_ZN5aiter28grouped_topk_opt_sort_kernelIN3c108BFloat16EDv1_fLi4ELb0ELb1ELb0EEEvPT_PKS4_PfPimiiiif,comdat
.Lfunc_end231:
	.size	_ZN5aiter28grouped_topk_opt_sort_kernelIN3c108BFloat16EDv1_fLi4ELb0ELb1ELb0EEEvPT_PKS4_PfPimiiiif, .Lfunc_end231-_ZN5aiter28grouped_topk_opt_sort_kernelIN3c108BFloat16EDv1_fLi4ELb0ELb1ELb0EEEvPT_PKS4_PfPimiiiif
                                        ; -- End function
	.section	.AMDGPU.csdata,"",@progbits
; Kernel info:
; codeLenInByte = 580
; NumSgprs: 13
; NumVgprs: 13
; NumAgprs: 0
; TotalNumVgprs: 13
; ScratchSize: 0
; MemoryBound: 0
; FloatMode: 240
; IeeeMode: 1
; LDSByteSize: 0 bytes/workgroup (compile time only)
; SGPRBlocks: 1
; VGPRBlocks: 1
; NumSGPRsForWavesPerEU: 13
; NumVGPRsForWavesPerEU: 13
; AccumOffset: 16
; Occupancy: 8
; WaveLimiterHint : 0
; COMPUTE_PGM_RSRC2:SCRATCH_EN: 0
; COMPUTE_PGM_RSRC2:USER_SGPR: 6
; COMPUTE_PGM_RSRC2:TRAP_HANDLER: 0
; COMPUTE_PGM_RSRC2:TGID_X_EN: 1
; COMPUTE_PGM_RSRC2:TGID_Y_EN: 0
; COMPUTE_PGM_RSRC2:TGID_Z_EN: 0
; COMPUTE_PGM_RSRC2:TIDIG_COMP_CNT: 0
; COMPUTE_PGM_RSRC3_GFX90A:ACCUM_OFFSET: 3
; COMPUTE_PGM_RSRC3_GFX90A:TG_SPLIT: 0
	.section	.text._ZN5aiter19grouped_topk_kernelIfDv1_fLi4ELb0ELb1ELb0EEEvPT_PKS2_PfPimiiiif,"axG",@progbits,_ZN5aiter19grouped_topk_kernelIfDv1_fLi4ELb0ELb1ELb0EEEvPT_PKS2_PfPimiiiif,comdat
	.protected	_ZN5aiter19grouped_topk_kernelIfDv1_fLi4ELb0ELb1ELb0EEEvPT_PKS2_PfPimiiiif ; -- Begin function _ZN5aiter19grouped_topk_kernelIfDv1_fLi4ELb0ELb1ELb0EEEvPT_PKS2_PfPimiiiif
	.globl	_ZN5aiter19grouped_topk_kernelIfDv1_fLi4ELb0ELb1ELb0EEEvPT_PKS2_PfPimiiiif
	.p2align	8
	.type	_ZN5aiter19grouped_topk_kernelIfDv1_fLi4ELb0ELb1ELb0EEEvPT_PKS2_PfPimiiiif,@function
_ZN5aiter19grouped_topk_kernelIfDv1_fLi4ELb0ELb1ELb0EEEvPT_PKS2_PfPimiiiif: ; @_ZN5aiter19grouped_topk_kernelIfDv1_fLi4ELb0ELb1ELb0EEEvPT_PKS2_PfPimiiiif
; %bb.0:
	s_load_dwordx4 s[12:15], s[4:5], 0x28
	s_load_dwordx4 s[16:19], s[4:5], 0x8
	s_load_dwordx2 s[10:11], s[4:5], 0x18
	v_lshl_add_u32 v1, v0, 2, 0
	s_waitcnt lgkmcnt(0)
	v_cmp_gt_i32_e64 s[0:1], s12, v0
	s_and_saveexec_b64 s[2:3], s[0:1]
	s_cbranch_execz .LBB232_3
; %bb.1:
	s_load_dwordx2 s[8:9], s[4:5], 0x0
	s_load_dword s15, s[4:5], 0x4c
	s_mul_i32 s20, s6, s12
	s_ashr_i32 s21, s20, 31
	s_lshl_b64 s[20:21], s[20:21], 2
	s_waitcnt lgkmcnt(0)
	s_add_u32 s7, s8, s20
	s_addc_u32 s21, s9, s21
	s_and_b32 s15, s15, 0xffff
	v_lshl_add_u32 v4, v0, 2, 0
	s_lshl_b32 s20, s15, 2
	s_mov_b64 s[8:9], 0
	v_mov_b32_e32 v5, s21
	v_mov_b32_e32 v6, s17
	s_mov_b32 s21, 0xbfb8aa3b
	s_mov_b32 s22, 0x42ce8ed0
	;; [unrolled: 1-line block ×3, first 2 shown]
	v_mov_b32_e32 v7, 0x7f800000
	v_mov_b32_e32 v2, v0
.LBB232_2:                              ; =>This Inner Loop Header: Depth=1
	v_ashrrev_i32_e32 v3, 31, v2
	v_lshlrev_b64 v[8:9], 2, v[2:3]
	v_add_co_u32_e32 v10, vcc, s7, v8
	v_addc_co_u32_e32 v11, vcc, v5, v9, vcc
	global_load_dword v3, v[10:11], off
	v_add_co_u32_e32 v8, vcc, s16, v8
	v_addc_co_u32_e32 v9, vcc, v6, v9, vcc
	global_load_dword v8, v[8:9], off
	v_add_u32_e32 v2, s15, v2
	v_cmp_le_i32_e32 vcc, s12, v2
	s_or_b64 s[8:9], vcc, s[8:9]
	s_waitcnt vmcnt(1)
	v_mul_f32_e32 v9, 0xbfb8aa3b, v3
	v_fma_f32 v10, v3, s21, -v9
	v_rndne_f32_e32 v11, v9
	v_fmac_f32_e32 v10, 0xb2a5705f, v3
	v_sub_f32_e32 v9, v9, v11
	v_add_f32_e32 v9, v9, v10
	v_cvt_i32_f32_e32 v11, v11
	v_exp_f32_e32 v9, v9
	v_cmp_nlt_f32_e32 vcc, s22, v3
	v_ldexp_f32 v9, v9, v11
	v_cndmask_b32_e32 v9, 0, v9, vcc
	v_cmp_ngt_f32_e32 vcc, s23, v3
	v_cndmask_b32_e32 v3, v7, v9, vcc
	v_add_f32_e32 v3, 1.0, v3
	v_div_scale_f32 v9, s[24:25], v3, v3, 1.0
	v_rcp_f32_e32 v10, v9
	v_div_scale_f32 v11, vcc, 1.0, v3, 1.0
	v_fma_f32 v12, -v9, v10, 1.0
	v_fmac_f32_e32 v10, v12, v10
	v_mul_f32_e32 v12, v11, v10
	v_fma_f32 v13, -v9, v12, v11
	v_fmac_f32_e32 v12, v13, v10
	v_fma_f32 v9, -v9, v12, v11
	v_div_fmas_f32 v9, v9, v10, v12
	v_div_fixup_f32 v3, v9, v3, 1.0
	s_waitcnt vmcnt(0)
	v_add_f32_e32 v3, v8, v3
	ds_write_b32 v4, v3
	v_add_u32_e32 v4, s20, v4
	s_andn2_b64 exec, exec, s[8:9]
	s_cbranch_execnz .LBB232_2
.LBB232_3:
	s_or_b64 exec, exec, s[2:3]
	s_ashr_i32 s2, s12, 31
	s_lshr_b32 s2, s2, 30
	s_add_i32 s2, s12, s2
	s_ashr_i32 s15, s2, 2
	s_lshl_b32 s2, s12, 2
	s_add_i32 s7, s2, 0
	v_cmp_gt_u32_e32 vcc, 64, v0
	s_waitcnt lgkmcnt(0)
	s_barrier
	s_and_saveexec_b64 s[20:21], vcc
	s_cbranch_execz .LBB232_12
; %bb.4:
	s_load_dword s8, s[4:5], 0x4c
	v_lshrrev_b32_e32 v3, 4, v0
	v_and_b32_e32 v2, 15, v0
	v_mul_lo_u32 v4, s15, v3
	v_lshlrev_b32_e32 v4, 2, v4
	s_waitcnt lgkmcnt(0)
	s_bfe_u32 s28, s8, 0xc0004
	v_lshlrev_b32_e32 v5, 2, v2
	s_mul_i32 s8, s15, s28
	v_cmp_gt_i32_e32 vcc, s15, v2
	v_cmp_eq_u32_e64 s[2:3], 0, v2
	v_add3_u32 v4, v4, v5, 0
	s_lshl_b32 s29, s8, 2
	s_mov_b64 s[22:23], 0
	s_branch .LBB232_6
.LBB232_5:                              ;   in Loop: Header=BB232_6 Depth=1
	s_or_b64 exec, exec, s[8:9]
	v_add_u32_e32 v3, s28, v3
	v_cmp_lt_u32_e64 s[8:9], 3, v3
	s_or_b64 s[22:23], s[8:9], s[22:23]
	v_add_u32_e32 v4, s29, v4
	s_andn2_b64 exec, exec, s[22:23]
	s_cbranch_execz .LBB232_12
.LBB232_6:                              ; =>This Loop Header: Depth=1
                                        ;     Child Loop BB232_8 Depth 2
	v_mov_b32_e32 v5, 0xff800000
	v_mov_b32_e32 v6, 0xff800000
	s_and_saveexec_b64 s[24:25], vcc
	s_cbranch_execz .LBB232_10
; %bb.7:                                ;   in Loop: Header=BB232_6 Depth=1
	s_mov_b64 s[26:27], 0
	v_mov_b32_e32 v5, 0xff800000
	v_mov_b32_e32 v7, v4
	;; [unrolled: 1-line block ×4, first 2 shown]
.LBB232_8:                              ;   Parent Loop BB232_6 Depth=1
                                        ; =>  This Inner Loop Header: Depth=2
	ds_read_b32 v9, v7
	v_add_u32_e32 v8, 16, v8
	v_max_f32_e32 v6, v6, v6
	v_cmp_le_i32_e64 s[8:9], s15, v8
	v_max_f32_e32 v10, v5, v5
	s_waitcnt lgkmcnt(0)
	v_max_f32_e32 v11, v9, v9
	s_or_b64 s[26:27], s[8:9], s[26:27]
	v_max_f32_e32 v6, v11, v6
	v_cmp_gt_f32_e64 s[8:9], v9, v5
	v_add_u32_e32 v7, 64, v7
	v_cndmask_b32_e64 v6, v6, v5, s[8:9]
	v_max_f32_e32 v5, v11, v10
	s_andn2_b64 exec, exec, s[26:27]
	s_cbranch_execnz .LBB232_8
; %bb.9:                                ;   in Loop: Header=BB232_6 Depth=1
	s_or_b64 exec, exec, s[26:27]
.LBB232_10:                             ;   in Loop: Header=BB232_6 Depth=1
	s_or_b64 exec, exec, s[24:25]
	s_and_saveexec_b64 s[8:9], s[2:3]
	s_cbranch_execz .LBB232_5
; %bb.11:                               ;   in Loop: Header=BB232_6 Depth=1
	v_lshl_add_u32 v7, v3, 2, s7
	v_add_f32_e32 v5, v6, v5
	ds_write_b32 v7, v5
	s_branch .LBB232_5
.LBB232_12:
	s_or_b64 exec, exec, s[20:21]
	s_cmp_lt_i32 s14, 1
	s_waitcnt lgkmcnt(0)
	s_barrier
	s_cbranch_scc1 .LBB232_15
; %bb.13:
	v_mov_b32_e32 v2, s7
	s_mov_b32 s2, 0xff800000
	v_mov_b32_e32 v3, 0xff800000
.LBB232_14:                             ; =>This Inner Loop Header: Depth=1
	ds_read2_b32 v[4:5], v2 offset1:1
	ds_read2_b32 v[6:7], v2 offset0:2 offset1:3
	s_waitcnt lgkmcnt(1)
	v_cmp_nlg_f32_e32 vcc, s2, v4
	v_cndmask_b32_e64 v8, 0, 1, vcc
	v_cmp_lg_f32_e32 vcc, s2, v4
	v_cndmask_b32_e32 v4, v3, v4, vcc
	v_readfirstlane_b32 s3, v8
	v_cmp_gt_f32_e32 vcc, v5, v4
	s_lshl_b32 s3, s3, 2
	v_cndmask_b32_e32 v4, v4, v5, vcc
	s_and_b64 s[8:9], vcc, exec
	s_waitcnt lgkmcnt(0)
	v_cmp_gt_f32_e32 vcc, v6, v4
	v_cndmask_b32_e32 v4, v4, v6, vcc
	s_cselect_b32 s3, 1, s3
	s_and_b64 s[8:9], vcc, exec
	v_cmp_ngt_f32_e32 vcc, v7, v4
	s_cselect_b32 s3, 2, s3
	s_and_b64 s[8:9], vcc, exec
	s_cselect_b32 s3, s3, 3
	s_lshl_b32 s3, s3, 2
	s_add_i32 s3, s7, s3
	s_add_i32 s14, s14, -1
	v_mov_b32_e32 v4, s3
	s_cmp_lg_u32 s14, 0
	ds_write_b32 v4, v3
	s_cbranch_scc1 .LBB232_14
.LBB232_15:
	s_and_saveexec_b64 s[2:3], s[0:1]
	s_cbranch_execz .LBB232_20
; %bb.16:
	s_abs_i32 s20, s15
	v_cvt_f32_u32_e32 v3, s20
	s_load_dword s14, s[4:5], 0x4c
	s_ashr_i32 s21, s15, 31
	s_sub_i32 s15, 0, s20
	v_rcp_iflag_f32_e32 v4, v3
	v_lshl_add_u32 v2, v0, 2, 0
	s_waitcnt lgkmcnt(0)
	s_and_b32 s23, s14, 0xffff
	s_mov_b64 s[8:9], 0
	v_mul_f32_e32 v4, 0x4f7ffffe, v4
	v_cvt_u32_f32_e32 v4, v4
	s_mov_b32 s22, 0xff800000
	v_mov_b32_e32 v3, 0xff800000
	s_lshl_b32 s24, s23, 2
	v_mul_lo_u32 v5, s15, v4
	v_mul_hi_u32 v5, v4, v5
	v_add_u32_e32 v4, v4, v5
	v_mov_b32_e32 v5, v0
	s_branch .LBB232_18
.LBB232_17:                             ;   in Loop: Header=BB232_18 Depth=1
	s_or_b64 exec, exec, s[14:15]
	v_add_u32_e32 v5, s23, v5
	v_cmp_le_i32_e32 vcc, s12, v5
	s_or_b64 s[8:9], vcc, s[8:9]
	v_add_u32_e32 v2, s24, v2
	s_andn2_b64 exec, exec, s[8:9]
	s_cbranch_execz .LBB232_20
.LBB232_18:                             ; =>This Inner Loop Header: Depth=1
	v_sub_u32_e32 v7, 0, v5
	v_max_i32_e32 v7, v5, v7
	v_mul_hi_u32 v8, v7, v4
	v_mul_lo_u32 v9, v8, s20
	v_sub_u32_e32 v7, v7, v9
	v_add_u32_e32 v9, 1, v8
	v_cmp_le_u32_e32 vcc, s20, v7
	v_cndmask_b32_e32 v8, v8, v9, vcc
	v_subrev_u32_e32 v9, s20, v7
	v_cndmask_b32_e32 v7, v7, v9, vcc
	v_ashrrev_i32_e32 v6, 31, v5
	v_add_u32_e32 v9, 1, v8
	v_cmp_le_u32_e32 vcc, s20, v7
	v_xor_b32_e32 v6, s21, v6
	v_cndmask_b32_e32 v7, v8, v9, vcc
	v_xor_b32_e32 v7, v7, v6
	v_sub_u32_e32 v6, v7, v6
	v_lshl_add_u32 v6, v6, 2, s7
	ds_read_b32 v6, v6
	s_waitcnt lgkmcnt(0)
	v_cmp_neq_f32_e32 vcc, s22, v6
	s_and_saveexec_b64 s[14:15], vcc
	s_cbranch_execz .LBB232_17
; %bb.19:                               ;   in Loop: Header=BB232_18 Depth=1
	ds_write_b32 v2, v3
	s_branch .LBB232_17
.LBB232_20:
	s_or_b64 exec, exec, s[2:3]
	s_cmp_lt_i32 s13, 1
	s_waitcnt lgkmcnt(0)
	s_barrier
	s_cbranch_scc1 .LBB232_27
; %bb.21:
	s_add_u32 s2, s4, 64
	s_addc_u32 s3, s5, 0
	s_mov_b32 s7, 0
	v_mov_b32_e32 v4, 0xff800000
                                        ; implicit-def: $vgpr3
                                        ; implicit-def: $vgpr2
	s_branch .LBB232_23
.LBB232_22:                             ;   in Loop: Header=BB232_23 Depth=1
	s_or_b64 exec, exec, s[8:9]
	v_mov_b32_dpp v8, v6 quad_perm:[1,0,3,2] row_mask:0xf bank_mask:0xf
	v_cmp_lt_f32_e32 vcc, v6, v8
	v_cndmask_b32_e32 v6, v6, v8, vcc
	v_mov_b32_dpp v7, v5 quad_perm:[1,0,3,2] row_mask:0xf bank_mask:0xf
	v_cndmask_b32_e32 v5, v5, v7, vcc
	v_mov_b32_dpp v8, v6 quad_perm:[2,3,0,1] row_mask:0xf bank_mask:0xf
	v_cmp_gt_f32_e32 vcc, v8, v6
	v_cndmask_b32_e32 v6, v6, v8, vcc
	v_mov_b32_dpp v7, v5 quad_perm:[2,3,0,1] row_mask:0xf bank_mask:0xf
	v_cndmask_b32_e32 v5, v5, v7, vcc
	v_mov_b32_dpp v8, v6 row_half_mirror row_mask:0xf bank_mask:0xf
	v_cmp_gt_f32_e32 vcc, v8, v6
	v_cndmask_b32_e32 v6, v6, v8, vcc
	v_mov_b32_dpp v7, v5 row_half_mirror row_mask:0xf bank_mask:0xf
	v_cndmask_b32_e32 v5, v5, v7, vcc
	v_mov_b32_dpp v8, v6 row_mirror row_mask:0xf bank_mask:0xf
	v_cmp_gt_f32_e32 vcc, v8, v6
	v_cndmask_b32_e32 v6, v6, v8, vcc
	v_mov_b32_dpp v7, v5 row_mirror row_mask:0xf bank_mask:0xf
	v_cndmask_b32_e32 v5, v5, v7, vcc
	v_mov_b32_dpp v8, v6 row_bcast:15 row_mask:0xf bank_mask:0xf
	v_cmp_gt_f32_e32 vcc, v8, v6
	v_mov_b32_dpp v7, v5 row_bcast:15 row_mask:0xf bank_mask:0xf
	v_cndmask_b32_e32 v6, v6, v8, vcc
	v_cndmask_b32_e32 v5, v5, v7, vcc
	s_nop 0
	v_mov_b32_dpp v8, v6 row_bcast:31 row_mask:0xf bank_mask:0xf
	v_mov_b32_dpp v7, v5 row_bcast:31 row_mask:0xf bank_mask:0xf
	v_cmp_gt_f32_e32 vcc, v8, v6
	v_cndmask_b32_e32 v5, v5, v7, vcc
	v_readlane_b32 s8, v5, 63
	s_ashr_i32 s9, s8, 31
	s_lshl_b64 s[14:15], s[8:9], 2
	s_add_u32 s14, s16, s14
	s_addc_u32 s15, s17, s15
	s_load_dword s9, s[14:15], 0x0
	v_cndmask_b32_e32 v5, v6, v8, vcc
	v_readlane_b32 s14, v5, 63
	v_cmp_eq_u32_e32 vcc, s7, v0
	s_add_i32 s7, s7, 1
	s_waitcnt lgkmcnt(0)
	v_mov_b32_e32 v5, s9
	s_lshl_b32 s9, s8, 2
	s_add_i32 s9, s9, 0
	v_mov_b32_e32 v6, s9
	v_sub_f32_e32 v5, s14, v5
	ds_write_b32 v6, v4
	v_mov_b32_e32 v6, s8
	v_cndmask_b32_e32 v2, v2, v6, vcc
	s_cmp_eq_u32 s7, s13
	v_cndmask_b32_e32 v3, v3, v5, vcc
	s_cbranch_scc1 .LBB232_28
.LBB232_23:                             ; =>This Loop Header: Depth=1
                                        ;     Child Loop BB232_25 Depth 2
	v_mov_b32_e32 v5, s7
	v_mov_b32_e32 v6, 0xff800000
	s_and_saveexec_b64 s[8:9], s[0:1]
	s_cbranch_execz .LBB232_22
; %bb.24:                               ;   in Loop: Header=BB232_23 Depth=1
	s_load_dword s20, s[2:3], 0xc
	s_mov_b64 s[14:15], 0
	v_mov_b32_e32 v5, s7
	v_mov_b32_e32 v6, 0xff800000
	;; [unrolled: 1-line block ×3, first 2 shown]
	s_waitcnt lgkmcnt(0)
	s_and_b32 s20, s20, 0xffff
	s_lshl_b32 s21, s20, 2
	v_mov_b32_e32 v8, v0
.LBB232_25:                             ;   Parent Loop BB232_23 Depth=1
                                        ; =>  This Inner Loop Header: Depth=2
	ds_read_b32 v9, v7
	v_add_u32_e32 v7, s21, v7
	s_waitcnt lgkmcnt(0)
	v_cmp_gt_f32_e32 vcc, v9, v6
	v_cndmask_b32_e32 v5, v5, v8, vcc
	v_add_u32_e32 v8, s20, v8
	v_cndmask_b32_e32 v6, v6, v9, vcc
	v_cmp_le_i32_e32 vcc, s12, v8
	s_or_b64 s[14:15], vcc, s[14:15]
	s_andn2_b64 exec, exec, s[14:15]
	s_cbranch_execnz .LBB232_25
; %bb.26:                               ;   in Loop: Header=BB232_23 Depth=1
	s_or_b64 exec, exec, s[14:15]
	s_branch .LBB232_22
.LBB232_27:
                                        ; implicit-def: $vgpr3
                                        ; implicit-def: $vgpr2
.LBB232_28:
	v_cmp_gt_i32_e32 vcc, s13, v0
	s_and_saveexec_b64 s[0:1], vcc
	s_cbranch_execz .LBB232_31
; %bb.29:
	s_load_dword s2, s[4:5], 0x38
	s_load_dwordx2 s[0:1], s[4:5], 0x20
	s_ashr_i32 s3, s6, 31
	s_load_dword s4, s[4:5], 0x4c
	v_mov_b32_e32 v4, s19
	s_waitcnt lgkmcnt(0)
	v_mul_f32_e32 v1, s2, v3
	s_mul_i32 s1, s6, s1
	s_mul_hi_u32 s2, s6, s0
	s_add_i32 s1, s2, s1
	s_mul_i32 s3, s3, s0
	s_add_i32 s5, s1, s3
	s_mul_i32 s2, s6, s0
	s_and_b32 s3, s4, 0xffff
	s_mov_b64 s[0:1], 0
	v_mov_b32_e32 v3, s5
	v_mov_b32_e32 v5, s11
.LBB232_30:                             ; =>This Inner Loop Header: Depth=1
	v_ashrrev_i32_e32 v7, 31, v0
	v_add_co_u32_e32 v6, vcc, s2, v0
	v_addc_co_u32_e32 v7, vcc, v3, v7, vcc
	v_add_u32_e32 v0, s3, v0
	v_cmp_le_i32_e32 vcc, s13, v0
	v_lshlrev_b64 v[6:7], 2, v[6:7]
	s_or_b64 s[0:1], vcc, s[0:1]
	v_add_co_u32_e32 v8, vcc, s18, v6
	v_addc_co_u32_e32 v9, vcc, v4, v7, vcc
	v_add_co_u32_e32 v6, vcc, s10, v6
	v_addc_co_u32_e32 v7, vcc, v5, v7, vcc
	global_store_dword v[8:9], v1, off
	global_store_dword v[6:7], v2, off
	s_andn2_b64 exec, exec, s[0:1]
	s_cbranch_execnz .LBB232_30
.LBB232_31:
	s_endpgm
	.section	.rodata,"a",@progbits
	.p2align	6, 0x0
	.amdhsa_kernel _ZN5aiter19grouped_topk_kernelIfDv1_fLi4ELb0ELb1ELb0EEEvPT_PKS2_PfPimiiiif
		.amdhsa_group_segment_fixed_size 0
		.amdhsa_private_segment_fixed_size 0
		.amdhsa_kernarg_size 320
		.amdhsa_user_sgpr_count 6
		.amdhsa_user_sgpr_private_segment_buffer 1
		.amdhsa_user_sgpr_dispatch_ptr 0
		.amdhsa_user_sgpr_queue_ptr 0
		.amdhsa_user_sgpr_kernarg_segment_ptr 1
		.amdhsa_user_sgpr_dispatch_id 0
		.amdhsa_user_sgpr_flat_scratch_init 0
		.amdhsa_user_sgpr_kernarg_preload_length 0
		.amdhsa_user_sgpr_kernarg_preload_offset 0
		.amdhsa_user_sgpr_private_segment_size 0
		.amdhsa_uses_dynamic_stack 0
		.amdhsa_system_sgpr_private_segment_wavefront_offset 0
		.amdhsa_system_sgpr_workgroup_id_x 1
		.amdhsa_system_sgpr_workgroup_id_y 0
		.amdhsa_system_sgpr_workgroup_id_z 0
		.amdhsa_system_sgpr_workgroup_info 0
		.amdhsa_system_vgpr_workitem_id 0
		.amdhsa_next_free_vgpr 14
		.amdhsa_next_free_sgpr 30
		.amdhsa_accum_offset 16
		.amdhsa_reserve_vcc 1
		.amdhsa_reserve_flat_scratch 0
		.amdhsa_float_round_mode_32 0
		.amdhsa_float_round_mode_16_64 0
		.amdhsa_float_denorm_mode_32 3
		.amdhsa_float_denorm_mode_16_64 3
		.amdhsa_dx10_clamp 1
		.amdhsa_ieee_mode 1
		.amdhsa_fp16_overflow 0
		.amdhsa_tg_split 0
		.amdhsa_exception_fp_ieee_invalid_op 0
		.amdhsa_exception_fp_denorm_src 0
		.amdhsa_exception_fp_ieee_div_zero 0
		.amdhsa_exception_fp_ieee_overflow 0
		.amdhsa_exception_fp_ieee_underflow 0
		.amdhsa_exception_fp_ieee_inexact 0
		.amdhsa_exception_int_div_zero 0
	.end_amdhsa_kernel
	.section	.text._ZN5aiter19grouped_topk_kernelIfDv1_fLi4ELb0ELb1ELb0EEEvPT_PKS2_PfPimiiiif,"axG",@progbits,_ZN5aiter19grouped_topk_kernelIfDv1_fLi4ELb0ELb1ELb0EEEvPT_PKS2_PfPimiiiif,comdat
.Lfunc_end232:
	.size	_ZN5aiter19grouped_topk_kernelIfDv1_fLi4ELb0ELb1ELb0EEEvPT_PKS2_PfPimiiiif, .Lfunc_end232-_ZN5aiter19grouped_topk_kernelIfDv1_fLi4ELb0ELb1ELb0EEEvPT_PKS2_PfPimiiiif
                                        ; -- End function
	.section	.AMDGPU.csdata,"",@progbits
; Kernel info:
; codeLenInByte = 1772
; NumSgprs: 34
; NumVgprs: 14
; NumAgprs: 0
; TotalNumVgprs: 14
; ScratchSize: 0
; MemoryBound: 0
; FloatMode: 240
; IeeeMode: 1
; LDSByteSize: 0 bytes/workgroup (compile time only)
; SGPRBlocks: 4
; VGPRBlocks: 1
; NumSGPRsForWavesPerEU: 34
; NumVGPRsForWavesPerEU: 14
; AccumOffset: 16
; Occupancy: 8
; WaveLimiterHint : 0
; COMPUTE_PGM_RSRC2:SCRATCH_EN: 0
; COMPUTE_PGM_RSRC2:USER_SGPR: 6
; COMPUTE_PGM_RSRC2:TRAP_HANDLER: 0
; COMPUTE_PGM_RSRC2:TGID_X_EN: 1
; COMPUTE_PGM_RSRC2:TGID_Y_EN: 0
; COMPUTE_PGM_RSRC2:TGID_Z_EN: 0
; COMPUTE_PGM_RSRC2:TIDIG_COMP_CNT: 0
; COMPUTE_PGM_RSRC3_GFX90A:ACCUM_OFFSET: 3
; COMPUTE_PGM_RSRC3_GFX90A:TG_SPLIT: 0
	.section	.text._ZN5aiter19grouped_topk_kernelIN3c104HalfEDv1_fLi4ELb0ELb1ELb0EEEvPT_PKS4_PfPimiiiif,"axG",@progbits,_ZN5aiter19grouped_topk_kernelIN3c104HalfEDv1_fLi4ELb0ELb1ELb0EEEvPT_PKS4_PfPimiiiif,comdat
	.protected	_ZN5aiter19grouped_topk_kernelIN3c104HalfEDv1_fLi4ELb0ELb1ELb0EEEvPT_PKS4_PfPimiiiif ; -- Begin function _ZN5aiter19grouped_topk_kernelIN3c104HalfEDv1_fLi4ELb0ELb1ELb0EEEvPT_PKS4_PfPimiiiif
	.globl	_ZN5aiter19grouped_topk_kernelIN3c104HalfEDv1_fLi4ELb0ELb1ELb0EEEvPT_PKS4_PfPimiiiif
	.p2align	8
	.type	_ZN5aiter19grouped_topk_kernelIN3c104HalfEDv1_fLi4ELb0ELb1ELb0EEEvPT_PKS4_PfPimiiiif,@function
_ZN5aiter19grouped_topk_kernelIN3c104HalfEDv1_fLi4ELb0ELb1ELb0EEEvPT_PKS4_PfPimiiiif: ; @_ZN5aiter19grouped_topk_kernelIN3c104HalfEDv1_fLi4ELb0ELb1ELb0EEEvPT_PKS4_PfPimiiiif
; %bb.0:
	s_load_dwordx4 s[12:15], s[4:5], 0x28
	s_load_dwordx4 s[16:19], s[4:5], 0x8
	s_load_dwordx2 s[10:11], s[4:5], 0x18
	v_lshl_add_u32 v1, v0, 2, 0
	s_waitcnt lgkmcnt(0)
	v_cmp_gt_i32_e64 s[0:1], s12, v0
	s_and_saveexec_b64 s[2:3], s[0:1]
	s_cbranch_execz .LBB233_3
; %bb.1:
	s_load_dwordx2 s[8:9], s[4:5], 0x0
	s_load_dword s15, s[4:5], 0x4c
	s_mul_i32 s20, s6, s12
	s_ashr_i32 s21, s20, 31
	s_lshl_b64 s[20:21], s[20:21], 1
	s_waitcnt lgkmcnt(0)
	s_add_u32 s7, s8, s20
	s_addc_u32 s21, s9, s21
	s_and_b32 s15, s15, 0xffff
	v_lshl_add_u32 v4, v0, 2, 0
	s_lshl_b32 s20, s15, 2
	s_mov_b64 s[8:9], 0
	v_mov_b32_e32 v5, s21
	v_mov_b32_e32 v6, s17
	s_mov_b32 s21, 0x3fb8aa3b
	s_mov_b32 s22, 0x32a5705f
	;; [unrolled: 1-line block ×4, first 2 shown]
	v_mov_b32_e32 v7, 0x7f800000
	v_mov_b32_e32 v2, v0
.LBB233_2:                              ; =>This Inner Loop Header: Depth=1
	v_ashrrev_i32_e32 v3, 31, v2
	v_lshlrev_b64 v[8:9], 1, v[2:3]
	v_add_co_u32_e32 v10, vcc, s7, v8
	v_addc_co_u32_e32 v11, vcc, v5, v9, vcc
	v_add_co_u32_e32 v8, vcc, s16, v8
	v_addc_co_u32_e32 v9, vcc, v6, v9, vcc
	global_load_ushort v3, v[10:11], off
	global_load_ushort v12, v[8:9], off
	v_add_u32_e32 v2, s15, v2
	v_cmp_le_i32_e32 vcc, s12, v2
	s_or_b64 s[8:9], vcc, s[8:9]
	s_waitcnt vmcnt(1)
	v_cvt_f32_f16_e64 v8, -v3
	s_waitcnt vmcnt(0)
	v_cvt_f32_f16_e32 v9, v12
	v_mul_f32_e32 v10, 0x3fb8aa3b, v8
	v_fma_mix_f32 v11, -v3, s21, -v10 op_sel_hi:[1,0,0]
	v_rndne_f32_e32 v12, v10
	v_fma_mix_f32 v3, -v3, s22, v11 op_sel_hi:[1,0,0]
	v_sub_f32_e32 v10, v10, v12
	v_add_f32_e32 v3, v10, v3
	v_cvt_i32_f32_e32 v11, v12
	v_exp_f32_e32 v3, v3
	v_cmp_ngt_f32_e32 vcc, s23, v8
	v_ldexp_f32 v3, v3, v11
	v_cndmask_b32_e32 v3, 0, v3, vcc
	v_cmp_nlt_f32_e32 vcc, s24, v8
	v_cndmask_b32_e32 v3, v7, v3, vcc
	v_add_f32_e32 v3, 1.0, v3
	v_div_scale_f32 v8, s[26:27], v3, v3, 1.0
	v_rcp_f32_e32 v10, v8
	v_div_scale_f32 v11, vcc, 1.0, v3, 1.0
	v_fma_f32 v12, -v8, v10, 1.0
	v_fmac_f32_e32 v10, v12, v10
	v_mul_f32_e32 v12, v11, v10
	v_fma_f32 v13, -v8, v12, v11
	v_fmac_f32_e32 v12, v13, v10
	v_fma_f32 v8, -v8, v12, v11
	v_div_fmas_f32 v8, v8, v10, v12
	v_div_fixup_f32 v3, v8, v3, 1.0
	v_add_f32_e32 v3, v3, v9
	ds_write_b32 v4, v3
	v_add_u32_e32 v4, s20, v4
	s_andn2_b64 exec, exec, s[8:9]
	s_cbranch_execnz .LBB233_2
.LBB233_3:
	s_or_b64 exec, exec, s[2:3]
	s_ashr_i32 s2, s12, 31
	s_lshr_b32 s2, s2, 30
	s_add_i32 s2, s12, s2
	s_ashr_i32 s15, s2, 2
	s_lshl_b32 s2, s12, 2
	s_add_i32 s7, s2, 0
	v_cmp_gt_u32_e32 vcc, 64, v0
	s_waitcnt lgkmcnt(0)
	s_barrier
	s_and_saveexec_b64 s[20:21], vcc
	s_cbranch_execz .LBB233_12
; %bb.4:
	s_load_dword s8, s[4:5], 0x4c
	v_lshrrev_b32_e32 v3, 4, v0
	v_and_b32_e32 v2, 15, v0
	v_mul_lo_u32 v4, s15, v3
	v_lshlrev_b32_e32 v4, 2, v4
	s_waitcnt lgkmcnt(0)
	s_bfe_u32 s28, s8, 0xc0004
	v_lshlrev_b32_e32 v5, 2, v2
	s_mul_i32 s8, s15, s28
	v_cmp_gt_i32_e32 vcc, s15, v2
	v_cmp_eq_u32_e64 s[2:3], 0, v2
	v_add3_u32 v4, v4, v5, 0
	s_lshl_b32 s29, s8, 2
	s_mov_b64 s[22:23], 0
	s_branch .LBB233_6
.LBB233_5:                              ;   in Loop: Header=BB233_6 Depth=1
	s_or_b64 exec, exec, s[8:9]
	v_add_u32_e32 v3, s28, v3
	v_cmp_lt_u32_e64 s[8:9], 3, v3
	s_or_b64 s[22:23], s[8:9], s[22:23]
	v_add_u32_e32 v4, s29, v4
	s_andn2_b64 exec, exec, s[22:23]
	s_cbranch_execz .LBB233_12
.LBB233_6:                              ; =>This Loop Header: Depth=1
                                        ;     Child Loop BB233_8 Depth 2
	v_mov_b32_e32 v5, 0xff800000
	v_mov_b32_e32 v6, 0xff800000
	s_and_saveexec_b64 s[24:25], vcc
	s_cbranch_execz .LBB233_10
; %bb.7:                                ;   in Loop: Header=BB233_6 Depth=1
	s_mov_b64 s[26:27], 0
	v_mov_b32_e32 v5, 0xff800000
	v_mov_b32_e32 v7, v4
	;; [unrolled: 1-line block ×4, first 2 shown]
.LBB233_8:                              ;   Parent Loop BB233_6 Depth=1
                                        ; =>  This Inner Loop Header: Depth=2
	ds_read_b32 v9, v7
	v_add_u32_e32 v8, 16, v8
	v_max_f32_e32 v6, v6, v6
	v_cmp_le_i32_e64 s[8:9], s15, v8
	v_max_f32_e32 v10, v5, v5
	s_waitcnt lgkmcnt(0)
	v_max_f32_e32 v11, v9, v9
	s_or_b64 s[26:27], s[8:9], s[26:27]
	v_max_f32_e32 v6, v11, v6
	v_cmp_gt_f32_e64 s[8:9], v9, v5
	v_add_u32_e32 v7, 64, v7
	v_cndmask_b32_e64 v6, v6, v5, s[8:9]
	v_max_f32_e32 v5, v11, v10
	s_andn2_b64 exec, exec, s[26:27]
	s_cbranch_execnz .LBB233_8
; %bb.9:                                ;   in Loop: Header=BB233_6 Depth=1
	s_or_b64 exec, exec, s[26:27]
.LBB233_10:                             ;   in Loop: Header=BB233_6 Depth=1
	s_or_b64 exec, exec, s[24:25]
	s_and_saveexec_b64 s[8:9], s[2:3]
	s_cbranch_execz .LBB233_5
; %bb.11:                               ;   in Loop: Header=BB233_6 Depth=1
	v_lshl_add_u32 v7, v3, 2, s7
	v_add_f32_e32 v5, v6, v5
	ds_write_b32 v7, v5
	s_branch .LBB233_5
.LBB233_12:
	s_or_b64 exec, exec, s[20:21]
	s_cmp_lt_i32 s14, 1
	s_waitcnt lgkmcnt(0)
	s_barrier
	s_cbranch_scc1 .LBB233_15
; %bb.13:
	v_mov_b32_e32 v2, s7
	s_mov_b32 s2, 0xff800000
	v_mov_b32_e32 v3, 0xff800000
.LBB233_14:                             ; =>This Inner Loop Header: Depth=1
	ds_read2_b32 v[4:5], v2 offset1:1
	ds_read2_b32 v[6:7], v2 offset0:2 offset1:3
	s_waitcnt lgkmcnt(1)
	v_cmp_nlg_f32_e32 vcc, s2, v4
	v_cndmask_b32_e64 v8, 0, 1, vcc
	v_cmp_lg_f32_e32 vcc, s2, v4
	v_cndmask_b32_e32 v4, v3, v4, vcc
	v_readfirstlane_b32 s3, v8
	v_cmp_gt_f32_e32 vcc, v5, v4
	s_lshl_b32 s3, s3, 2
	v_cndmask_b32_e32 v4, v4, v5, vcc
	s_and_b64 s[8:9], vcc, exec
	s_waitcnt lgkmcnt(0)
	v_cmp_gt_f32_e32 vcc, v6, v4
	v_cndmask_b32_e32 v4, v4, v6, vcc
	s_cselect_b32 s3, 1, s3
	s_and_b64 s[8:9], vcc, exec
	v_cmp_ngt_f32_e32 vcc, v7, v4
	s_cselect_b32 s3, 2, s3
	s_and_b64 s[8:9], vcc, exec
	s_cselect_b32 s3, s3, 3
	s_lshl_b32 s3, s3, 2
	s_add_i32 s3, s7, s3
	s_add_i32 s14, s14, -1
	v_mov_b32_e32 v4, s3
	s_cmp_lg_u32 s14, 0
	ds_write_b32 v4, v3
	s_cbranch_scc1 .LBB233_14
.LBB233_15:
	s_and_saveexec_b64 s[2:3], s[0:1]
	s_cbranch_execz .LBB233_20
; %bb.16:
	s_abs_i32 s20, s15
	v_cvt_f32_u32_e32 v3, s20
	s_load_dword s14, s[4:5], 0x4c
	s_ashr_i32 s21, s15, 31
	s_sub_i32 s15, 0, s20
	v_rcp_iflag_f32_e32 v4, v3
	v_lshl_add_u32 v2, v0, 2, 0
	s_waitcnt lgkmcnt(0)
	s_and_b32 s23, s14, 0xffff
	s_mov_b64 s[8:9], 0
	v_mul_f32_e32 v4, 0x4f7ffffe, v4
	v_cvt_u32_f32_e32 v4, v4
	s_mov_b32 s22, 0xff800000
	v_mov_b32_e32 v3, 0xff800000
	s_lshl_b32 s24, s23, 2
	v_mul_lo_u32 v5, s15, v4
	v_mul_hi_u32 v5, v4, v5
	v_add_u32_e32 v4, v4, v5
	v_mov_b32_e32 v5, v0
	s_branch .LBB233_18
.LBB233_17:                             ;   in Loop: Header=BB233_18 Depth=1
	s_or_b64 exec, exec, s[14:15]
	v_add_u32_e32 v5, s23, v5
	v_cmp_le_i32_e32 vcc, s12, v5
	s_or_b64 s[8:9], vcc, s[8:9]
	v_add_u32_e32 v2, s24, v2
	s_andn2_b64 exec, exec, s[8:9]
	s_cbranch_execz .LBB233_20
.LBB233_18:                             ; =>This Inner Loop Header: Depth=1
	v_sub_u32_e32 v7, 0, v5
	v_max_i32_e32 v7, v5, v7
	v_mul_hi_u32 v8, v7, v4
	v_mul_lo_u32 v9, v8, s20
	v_sub_u32_e32 v7, v7, v9
	v_add_u32_e32 v9, 1, v8
	v_cmp_le_u32_e32 vcc, s20, v7
	v_cndmask_b32_e32 v8, v8, v9, vcc
	v_subrev_u32_e32 v9, s20, v7
	v_cndmask_b32_e32 v7, v7, v9, vcc
	v_ashrrev_i32_e32 v6, 31, v5
	v_add_u32_e32 v9, 1, v8
	v_cmp_le_u32_e32 vcc, s20, v7
	v_xor_b32_e32 v6, s21, v6
	v_cndmask_b32_e32 v7, v8, v9, vcc
	v_xor_b32_e32 v7, v7, v6
	v_sub_u32_e32 v6, v7, v6
	v_lshl_add_u32 v6, v6, 2, s7
	ds_read_b32 v6, v6
	s_waitcnt lgkmcnt(0)
	v_cmp_neq_f32_e32 vcc, s22, v6
	s_and_saveexec_b64 s[14:15], vcc
	s_cbranch_execz .LBB233_17
; %bb.19:                               ;   in Loop: Header=BB233_18 Depth=1
	ds_write_b32 v2, v3
	s_branch .LBB233_17
.LBB233_20:
	s_or_b64 exec, exec, s[2:3]
	s_cmp_lt_i32 s13, 1
	s_waitcnt lgkmcnt(0)
	s_barrier
	s_cbranch_scc1 .LBB233_27
; %bb.21:
	s_add_u32 s2, s4, 64
	s_addc_u32 s3, s5, 0
	s_mov_b32 s7, 0
	v_mov_b32_e32 v4, 0
	v_mov_b32_e32 v5, 0xff800000
                                        ; implicit-def: $vgpr3
                                        ; implicit-def: $vgpr2
	s_branch .LBB233_23
.LBB233_22:                             ;   in Loop: Header=BB233_23 Depth=1
	s_or_b64 exec, exec, s[8:9]
	v_mov_b32_dpp v9, v7 quad_perm:[1,0,3,2] row_mask:0xf bank_mask:0xf
	v_cmp_lt_f32_e32 vcc, v7, v9
	v_cndmask_b32_e32 v7, v7, v9, vcc
	v_mov_b32_dpp v8, v6 quad_perm:[1,0,3,2] row_mask:0xf bank_mask:0xf
	v_cndmask_b32_e32 v6, v6, v8, vcc
	v_mov_b32_dpp v9, v7 quad_perm:[2,3,0,1] row_mask:0xf bank_mask:0xf
	v_cmp_gt_f32_e32 vcc, v9, v7
	v_cndmask_b32_e32 v7, v7, v9, vcc
	v_mov_b32_dpp v8, v6 quad_perm:[2,3,0,1] row_mask:0xf bank_mask:0xf
	v_cndmask_b32_e32 v6, v6, v8, vcc
	v_mov_b32_dpp v9, v7 row_half_mirror row_mask:0xf bank_mask:0xf
	v_cmp_gt_f32_e32 vcc, v9, v7
	v_cndmask_b32_e32 v7, v7, v9, vcc
	v_mov_b32_dpp v8, v6 row_half_mirror row_mask:0xf bank_mask:0xf
	v_cndmask_b32_e32 v6, v6, v8, vcc
	v_mov_b32_dpp v9, v7 row_mirror row_mask:0xf bank_mask:0xf
	v_cmp_gt_f32_e32 vcc, v9, v7
	v_cndmask_b32_e32 v7, v7, v9, vcc
	v_mov_b32_dpp v8, v6 row_mirror row_mask:0xf bank_mask:0xf
	v_cndmask_b32_e32 v6, v6, v8, vcc
	v_mov_b32_dpp v9, v7 row_bcast:15 row_mask:0xf bank_mask:0xf
	v_cmp_gt_f32_e32 vcc, v9, v7
	v_mov_b32_dpp v8, v6 row_bcast:15 row_mask:0xf bank_mask:0xf
	v_cndmask_b32_e32 v7, v7, v9, vcc
	v_cndmask_b32_e32 v6, v6, v8, vcc
	s_nop 0
	v_mov_b32_dpp v9, v7 row_bcast:31 row_mask:0xf bank_mask:0xf
	v_mov_b32_dpp v8, v6 row_bcast:31 row_mask:0xf bank_mask:0xf
	v_cmp_gt_f32_e32 vcc, v9, v7
	v_cndmask_b32_e32 v6, v6, v8, vcc
	v_readlane_b32 s8, v6, 63
	s_ashr_i32 s9, s8, 31
	s_lshl_b64 s[14:15], s[8:9], 1
	s_add_u32 s14, s16, s14
	s_addc_u32 s15, s17, s15
	global_load_ushort v6, v4, s[14:15]
	v_cndmask_b32_e32 v7, v7, v9, vcc
	v_readlane_b32 s9, v7, 63
	v_mov_b32_e32 v7, s8
	s_lshl_b32 s8, s8, 2
	v_cmp_eq_u32_e32 vcc, s7, v0
	s_add_i32 s7, s7, 1
	s_add_i32 s8, s8, 0
	v_cndmask_b32_e32 v2, v2, v7, vcc
	v_mov_b32_e32 v7, s8
	s_cmp_eq_u32 s7, s13
	ds_write_b32 v7, v5
	s_waitcnt vmcnt(0)
	v_cvt_f32_f16_e32 v6, v6
	v_sub_f32_e32 v6, s9, v6
	v_cndmask_b32_e32 v3, v3, v6, vcc
	s_cbranch_scc1 .LBB233_28
.LBB233_23:                             ; =>This Loop Header: Depth=1
                                        ;     Child Loop BB233_25 Depth 2
	v_mov_b32_e32 v6, s7
	v_mov_b32_e32 v7, 0xff800000
	s_and_saveexec_b64 s[8:9], s[0:1]
	s_cbranch_execz .LBB233_22
; %bb.24:                               ;   in Loop: Header=BB233_23 Depth=1
	s_load_dword s20, s[2:3], 0xc
	s_mov_b64 s[14:15], 0
	v_mov_b32_e32 v6, s7
	v_mov_b32_e32 v7, 0xff800000
	;; [unrolled: 1-line block ×3, first 2 shown]
	s_waitcnt lgkmcnt(0)
	s_and_b32 s20, s20, 0xffff
	s_lshl_b32 s21, s20, 2
	v_mov_b32_e32 v9, v0
.LBB233_25:                             ;   Parent Loop BB233_23 Depth=1
                                        ; =>  This Inner Loop Header: Depth=2
	ds_read_b32 v10, v8
	v_add_u32_e32 v8, s21, v8
	s_waitcnt lgkmcnt(0)
	v_cmp_gt_f32_e32 vcc, v10, v7
	v_cndmask_b32_e32 v6, v6, v9, vcc
	v_add_u32_e32 v9, s20, v9
	v_cndmask_b32_e32 v7, v7, v10, vcc
	v_cmp_le_i32_e32 vcc, s12, v9
	s_or_b64 s[14:15], vcc, s[14:15]
	s_andn2_b64 exec, exec, s[14:15]
	s_cbranch_execnz .LBB233_25
; %bb.26:                               ;   in Loop: Header=BB233_23 Depth=1
	s_or_b64 exec, exec, s[14:15]
	s_branch .LBB233_22
.LBB233_27:
                                        ; implicit-def: $vgpr3
                                        ; implicit-def: $vgpr2
.LBB233_28:
	v_cmp_gt_i32_e32 vcc, s13, v0
	s_and_saveexec_b64 s[0:1], vcc
	s_cbranch_execz .LBB233_31
; %bb.29:
	s_load_dword s2, s[4:5], 0x38
	s_load_dwordx2 s[0:1], s[4:5], 0x20
	s_ashr_i32 s3, s6, 31
	s_load_dword s4, s[4:5], 0x4c
	v_mov_b32_e32 v4, s19
	s_waitcnt lgkmcnt(0)
	v_mul_f32_e32 v1, s2, v3
	s_mul_i32 s1, s6, s1
	s_mul_hi_u32 s2, s6, s0
	s_add_i32 s1, s2, s1
	s_mul_i32 s3, s3, s0
	s_add_i32 s5, s1, s3
	s_mul_i32 s2, s6, s0
	s_and_b32 s3, s4, 0xffff
	s_mov_b64 s[0:1], 0
	v_mov_b32_e32 v3, s5
	v_mov_b32_e32 v5, s11
.LBB233_30:                             ; =>This Inner Loop Header: Depth=1
	v_ashrrev_i32_e32 v7, 31, v0
	v_add_co_u32_e32 v6, vcc, s2, v0
	v_addc_co_u32_e32 v7, vcc, v3, v7, vcc
	v_add_u32_e32 v0, s3, v0
	v_cmp_le_i32_e32 vcc, s13, v0
	v_lshlrev_b64 v[6:7], 2, v[6:7]
	s_or_b64 s[0:1], vcc, s[0:1]
	v_add_co_u32_e32 v8, vcc, s18, v6
	v_addc_co_u32_e32 v9, vcc, v4, v7, vcc
	v_add_co_u32_e32 v6, vcc, s10, v6
	v_addc_co_u32_e32 v7, vcc, v5, v7, vcc
	global_store_dword v[8:9], v1, off
	global_store_dword v[6:7], v2, off
	s_andn2_b64 exec, exec, s[0:1]
	s_cbranch_execnz .LBB233_30
.LBB233_31:
	s_endpgm
	.section	.rodata,"a",@progbits
	.p2align	6, 0x0
	.amdhsa_kernel _ZN5aiter19grouped_topk_kernelIN3c104HalfEDv1_fLi4ELb0ELb1ELb0EEEvPT_PKS4_PfPimiiiif
		.amdhsa_group_segment_fixed_size 0
		.amdhsa_private_segment_fixed_size 0
		.amdhsa_kernarg_size 320
		.amdhsa_user_sgpr_count 6
		.amdhsa_user_sgpr_private_segment_buffer 1
		.amdhsa_user_sgpr_dispatch_ptr 0
		.amdhsa_user_sgpr_queue_ptr 0
		.amdhsa_user_sgpr_kernarg_segment_ptr 1
		.amdhsa_user_sgpr_dispatch_id 0
		.amdhsa_user_sgpr_flat_scratch_init 0
		.amdhsa_user_sgpr_kernarg_preload_length 0
		.amdhsa_user_sgpr_kernarg_preload_offset 0
		.amdhsa_user_sgpr_private_segment_size 0
		.amdhsa_uses_dynamic_stack 0
		.amdhsa_system_sgpr_private_segment_wavefront_offset 0
		.amdhsa_system_sgpr_workgroup_id_x 1
		.amdhsa_system_sgpr_workgroup_id_y 0
		.amdhsa_system_sgpr_workgroup_id_z 0
		.amdhsa_system_sgpr_workgroup_info 0
		.amdhsa_system_vgpr_workitem_id 0
		.amdhsa_next_free_vgpr 14
		.amdhsa_next_free_sgpr 30
		.amdhsa_accum_offset 16
		.amdhsa_reserve_vcc 1
		.amdhsa_reserve_flat_scratch 0
		.amdhsa_float_round_mode_32 0
		.amdhsa_float_round_mode_16_64 0
		.amdhsa_float_denorm_mode_32 3
		.amdhsa_float_denorm_mode_16_64 3
		.amdhsa_dx10_clamp 1
		.amdhsa_ieee_mode 1
		.amdhsa_fp16_overflow 0
		.amdhsa_tg_split 0
		.amdhsa_exception_fp_ieee_invalid_op 0
		.amdhsa_exception_fp_denorm_src 0
		.amdhsa_exception_fp_ieee_div_zero 0
		.amdhsa_exception_fp_ieee_overflow 0
		.amdhsa_exception_fp_ieee_underflow 0
		.amdhsa_exception_fp_ieee_inexact 0
		.amdhsa_exception_int_div_zero 0
	.end_amdhsa_kernel
	.section	.text._ZN5aiter19grouped_topk_kernelIN3c104HalfEDv1_fLi4ELb0ELb1ELb0EEEvPT_PKS4_PfPimiiiif,"axG",@progbits,_ZN5aiter19grouped_topk_kernelIN3c104HalfEDv1_fLi4ELb0ELb1ELb0EEEvPT_PKS4_PfPimiiiif,comdat
.Lfunc_end233:
	.size	_ZN5aiter19grouped_topk_kernelIN3c104HalfEDv1_fLi4ELb0ELb1ELb0EEEvPT_PKS4_PfPimiiiif, .Lfunc_end233-_ZN5aiter19grouped_topk_kernelIN3c104HalfEDv1_fLi4ELb0ELb1ELb0EEEvPT_PKS4_PfPimiiiif
                                        ; -- End function
	.section	.AMDGPU.csdata,"",@progbits
; Kernel info:
; codeLenInByte = 1796
; NumSgprs: 34
; NumVgprs: 14
; NumAgprs: 0
; TotalNumVgprs: 14
; ScratchSize: 0
; MemoryBound: 0
; FloatMode: 240
; IeeeMode: 1
; LDSByteSize: 0 bytes/workgroup (compile time only)
; SGPRBlocks: 4
; VGPRBlocks: 1
; NumSGPRsForWavesPerEU: 34
; NumVGPRsForWavesPerEU: 14
; AccumOffset: 16
; Occupancy: 8
; WaveLimiterHint : 0
; COMPUTE_PGM_RSRC2:SCRATCH_EN: 0
; COMPUTE_PGM_RSRC2:USER_SGPR: 6
; COMPUTE_PGM_RSRC2:TRAP_HANDLER: 0
; COMPUTE_PGM_RSRC2:TGID_X_EN: 1
; COMPUTE_PGM_RSRC2:TGID_Y_EN: 0
; COMPUTE_PGM_RSRC2:TGID_Z_EN: 0
; COMPUTE_PGM_RSRC2:TIDIG_COMP_CNT: 0
; COMPUTE_PGM_RSRC3_GFX90A:ACCUM_OFFSET: 3
; COMPUTE_PGM_RSRC3_GFX90A:TG_SPLIT: 0
	.section	.text._ZN5aiter19grouped_topk_kernelIN3c108BFloat16EDv1_fLi4ELb0ELb1ELb0EEEvPT_PKS4_PfPimiiiif,"axG",@progbits,_ZN5aiter19grouped_topk_kernelIN3c108BFloat16EDv1_fLi4ELb0ELb1ELb0EEEvPT_PKS4_PfPimiiiif,comdat
	.protected	_ZN5aiter19grouped_topk_kernelIN3c108BFloat16EDv1_fLi4ELb0ELb1ELb0EEEvPT_PKS4_PfPimiiiif ; -- Begin function _ZN5aiter19grouped_topk_kernelIN3c108BFloat16EDv1_fLi4ELb0ELb1ELb0EEEvPT_PKS4_PfPimiiiif
	.globl	_ZN5aiter19grouped_topk_kernelIN3c108BFloat16EDv1_fLi4ELb0ELb1ELb0EEEvPT_PKS4_PfPimiiiif
	.p2align	8
	.type	_ZN5aiter19grouped_topk_kernelIN3c108BFloat16EDv1_fLi4ELb0ELb1ELb0EEEvPT_PKS4_PfPimiiiif,@function
_ZN5aiter19grouped_topk_kernelIN3c108BFloat16EDv1_fLi4ELb0ELb1ELb0EEEvPT_PKS4_PfPimiiiif: ; @_ZN5aiter19grouped_topk_kernelIN3c108BFloat16EDv1_fLi4ELb0ELb1ELb0EEEvPT_PKS4_PfPimiiiif
; %bb.0:
	s_load_dwordx4 s[12:15], s[4:5], 0x28
	s_load_dwordx4 s[16:19], s[4:5], 0x8
	s_load_dwordx2 s[10:11], s[4:5], 0x18
	v_lshl_add_u32 v1, v0, 2, 0
	s_waitcnt lgkmcnt(0)
	v_cmp_gt_i32_e64 s[0:1], s12, v0
	s_and_saveexec_b64 s[2:3], s[0:1]
	s_cbranch_execz .LBB234_3
; %bb.1:
	s_load_dwordx2 s[8:9], s[4:5], 0x0
	s_load_dword s15, s[4:5], 0x4c
	s_mul_i32 s20, s6, s12
	s_ashr_i32 s21, s20, 31
	s_lshl_b64 s[20:21], s[20:21], 1
	s_waitcnt lgkmcnt(0)
	s_add_u32 s7, s8, s20
	s_addc_u32 s21, s9, s21
	s_and_b32 s15, s15, 0xffff
	v_lshl_add_u32 v4, v0, 2, 0
	s_lshl_b32 s20, s15, 2
	s_mov_b64 s[8:9], 0
	v_mov_b32_e32 v5, s21
	v_mov_b32_e32 v6, s17
	s_mov_b32 s21, 0xbfb8aa3b
	s_mov_b32 s22, 0x42ce8ed0
	;; [unrolled: 1-line block ×3, first 2 shown]
	v_mov_b32_e32 v7, 0x7f800000
	v_mov_b32_e32 v2, v0
.LBB234_2:                              ; =>This Inner Loop Header: Depth=1
	v_ashrrev_i32_e32 v3, 31, v2
	v_lshlrev_b64 v[8:9], 1, v[2:3]
	v_add_co_u32_e32 v10, vcc, s7, v8
	v_addc_co_u32_e32 v11, vcc, v5, v9, vcc
	v_add_co_u32_e32 v8, vcc, s16, v8
	v_addc_co_u32_e32 v9, vcc, v6, v9, vcc
	global_load_ushort v3, v[10:11], off
	global_load_ushort v12, v[8:9], off
	v_add_u32_e32 v2, s15, v2
	v_cmp_le_i32_e32 vcc, s12, v2
	s_or_b64 s[8:9], vcc, s[8:9]
	s_waitcnt vmcnt(1)
	v_cvt_f32_u32_e32 v3, v3
	s_waitcnt vmcnt(0)
	v_cvt_f32_u32_e32 v8, v12
	v_mul_f32_e32 v9, 0xbfb8aa3b, v3
	v_fma_f32 v10, v3, s21, -v9
	v_rndne_f32_e32 v11, v9
	v_fmac_f32_e32 v10, 0xb2a5705f, v3
	v_sub_f32_e32 v9, v9, v11
	v_add_f32_e32 v9, v9, v10
	v_cvt_i32_f32_e32 v11, v11
	v_exp_f32_e32 v9, v9
	v_cmp_nlt_f32_e32 vcc, s22, v3
	v_ldexp_f32 v9, v9, v11
	v_cndmask_b32_e32 v9, 0, v9, vcc
	v_cmp_ngt_f32_e32 vcc, s23, v3
	v_cndmask_b32_e32 v3, v7, v9, vcc
	v_add_f32_e32 v3, 1.0, v3
	v_div_scale_f32 v9, s[24:25], v3, v3, 1.0
	v_rcp_f32_e32 v10, v9
	v_div_scale_f32 v11, vcc, 1.0, v3, 1.0
	v_fma_f32 v12, -v9, v10, 1.0
	v_fmac_f32_e32 v10, v12, v10
	v_mul_f32_e32 v12, v11, v10
	v_fma_f32 v13, -v9, v12, v11
	v_fmac_f32_e32 v12, v13, v10
	v_fma_f32 v9, -v9, v12, v11
	v_div_fmas_f32 v9, v9, v10, v12
	v_div_fixup_f32 v3, v9, v3, 1.0
	v_add_f32_e32 v3, v3, v8
	ds_write_b32 v4, v3
	v_add_u32_e32 v4, s20, v4
	s_andn2_b64 exec, exec, s[8:9]
	s_cbranch_execnz .LBB234_2
.LBB234_3:
	s_or_b64 exec, exec, s[2:3]
	s_ashr_i32 s2, s12, 31
	s_lshr_b32 s2, s2, 30
	s_add_i32 s2, s12, s2
	s_ashr_i32 s15, s2, 2
	s_lshl_b32 s2, s12, 2
	s_add_i32 s7, s2, 0
	v_cmp_gt_u32_e32 vcc, 64, v0
	s_waitcnt lgkmcnt(0)
	s_barrier
	s_and_saveexec_b64 s[20:21], vcc
	s_cbranch_execz .LBB234_12
; %bb.4:
	s_load_dword s8, s[4:5], 0x4c
	v_lshrrev_b32_e32 v3, 4, v0
	v_and_b32_e32 v2, 15, v0
	v_mul_lo_u32 v4, s15, v3
	v_lshlrev_b32_e32 v4, 2, v4
	s_waitcnt lgkmcnt(0)
	s_bfe_u32 s28, s8, 0xc0004
	v_lshlrev_b32_e32 v5, 2, v2
	s_mul_i32 s8, s15, s28
	v_cmp_gt_i32_e32 vcc, s15, v2
	v_cmp_eq_u32_e64 s[2:3], 0, v2
	v_add3_u32 v4, v4, v5, 0
	s_lshl_b32 s29, s8, 2
	s_mov_b64 s[22:23], 0
	s_branch .LBB234_6
.LBB234_5:                              ;   in Loop: Header=BB234_6 Depth=1
	s_or_b64 exec, exec, s[8:9]
	v_add_u32_e32 v3, s28, v3
	v_cmp_lt_u32_e64 s[8:9], 3, v3
	s_or_b64 s[22:23], s[8:9], s[22:23]
	v_add_u32_e32 v4, s29, v4
	s_andn2_b64 exec, exec, s[22:23]
	s_cbranch_execz .LBB234_12
.LBB234_6:                              ; =>This Loop Header: Depth=1
                                        ;     Child Loop BB234_8 Depth 2
	v_mov_b32_e32 v5, 0xff800000
	v_mov_b32_e32 v6, 0xff800000
	s_and_saveexec_b64 s[24:25], vcc
	s_cbranch_execz .LBB234_10
; %bb.7:                                ;   in Loop: Header=BB234_6 Depth=1
	s_mov_b64 s[26:27], 0
	v_mov_b32_e32 v5, 0xff800000
	v_mov_b32_e32 v7, v4
	;; [unrolled: 1-line block ×4, first 2 shown]
.LBB234_8:                              ;   Parent Loop BB234_6 Depth=1
                                        ; =>  This Inner Loop Header: Depth=2
	ds_read_b32 v9, v7
	v_add_u32_e32 v8, 16, v8
	v_max_f32_e32 v6, v6, v6
	v_cmp_le_i32_e64 s[8:9], s15, v8
	v_max_f32_e32 v10, v5, v5
	s_waitcnt lgkmcnt(0)
	v_max_f32_e32 v11, v9, v9
	s_or_b64 s[26:27], s[8:9], s[26:27]
	v_max_f32_e32 v6, v11, v6
	v_cmp_gt_f32_e64 s[8:9], v9, v5
	v_add_u32_e32 v7, 64, v7
	v_cndmask_b32_e64 v6, v6, v5, s[8:9]
	v_max_f32_e32 v5, v11, v10
	s_andn2_b64 exec, exec, s[26:27]
	s_cbranch_execnz .LBB234_8
; %bb.9:                                ;   in Loop: Header=BB234_6 Depth=1
	s_or_b64 exec, exec, s[26:27]
.LBB234_10:                             ;   in Loop: Header=BB234_6 Depth=1
	s_or_b64 exec, exec, s[24:25]
	s_and_saveexec_b64 s[8:9], s[2:3]
	s_cbranch_execz .LBB234_5
; %bb.11:                               ;   in Loop: Header=BB234_6 Depth=1
	v_lshl_add_u32 v7, v3, 2, s7
	v_add_f32_e32 v5, v6, v5
	ds_write_b32 v7, v5
	s_branch .LBB234_5
.LBB234_12:
	s_or_b64 exec, exec, s[20:21]
	s_cmp_lt_i32 s14, 1
	s_waitcnt lgkmcnt(0)
	s_barrier
	s_cbranch_scc1 .LBB234_15
; %bb.13:
	v_mov_b32_e32 v2, s7
	s_mov_b32 s2, 0xff800000
	v_mov_b32_e32 v3, 0xff800000
.LBB234_14:                             ; =>This Inner Loop Header: Depth=1
	ds_read2_b32 v[4:5], v2 offset1:1
	ds_read2_b32 v[6:7], v2 offset0:2 offset1:3
	s_waitcnt lgkmcnt(1)
	v_cmp_nlg_f32_e32 vcc, s2, v4
	v_cndmask_b32_e64 v8, 0, 1, vcc
	v_cmp_lg_f32_e32 vcc, s2, v4
	v_cndmask_b32_e32 v4, v3, v4, vcc
	v_readfirstlane_b32 s3, v8
	v_cmp_gt_f32_e32 vcc, v5, v4
	s_lshl_b32 s3, s3, 2
	v_cndmask_b32_e32 v4, v4, v5, vcc
	s_and_b64 s[8:9], vcc, exec
	s_waitcnt lgkmcnt(0)
	v_cmp_gt_f32_e32 vcc, v6, v4
	v_cndmask_b32_e32 v4, v4, v6, vcc
	s_cselect_b32 s3, 1, s3
	s_and_b64 s[8:9], vcc, exec
	v_cmp_ngt_f32_e32 vcc, v7, v4
	s_cselect_b32 s3, 2, s3
	s_and_b64 s[8:9], vcc, exec
	s_cselect_b32 s3, s3, 3
	s_lshl_b32 s3, s3, 2
	s_add_i32 s3, s7, s3
	s_add_i32 s14, s14, -1
	v_mov_b32_e32 v4, s3
	s_cmp_lg_u32 s14, 0
	ds_write_b32 v4, v3
	s_cbranch_scc1 .LBB234_14
.LBB234_15:
	s_and_saveexec_b64 s[2:3], s[0:1]
	s_cbranch_execz .LBB234_20
; %bb.16:
	s_abs_i32 s20, s15
	v_cvt_f32_u32_e32 v3, s20
	s_load_dword s14, s[4:5], 0x4c
	s_ashr_i32 s21, s15, 31
	s_sub_i32 s15, 0, s20
	v_rcp_iflag_f32_e32 v4, v3
	v_lshl_add_u32 v2, v0, 2, 0
	s_waitcnt lgkmcnt(0)
	s_and_b32 s23, s14, 0xffff
	s_mov_b64 s[8:9], 0
	v_mul_f32_e32 v4, 0x4f7ffffe, v4
	v_cvt_u32_f32_e32 v4, v4
	s_mov_b32 s22, 0xff800000
	v_mov_b32_e32 v3, 0xff800000
	s_lshl_b32 s24, s23, 2
	v_mul_lo_u32 v5, s15, v4
	v_mul_hi_u32 v5, v4, v5
	v_add_u32_e32 v4, v4, v5
	v_mov_b32_e32 v5, v0
	s_branch .LBB234_18
.LBB234_17:                             ;   in Loop: Header=BB234_18 Depth=1
	s_or_b64 exec, exec, s[14:15]
	v_add_u32_e32 v5, s23, v5
	v_cmp_le_i32_e32 vcc, s12, v5
	s_or_b64 s[8:9], vcc, s[8:9]
	v_add_u32_e32 v2, s24, v2
	s_andn2_b64 exec, exec, s[8:9]
	s_cbranch_execz .LBB234_20
.LBB234_18:                             ; =>This Inner Loop Header: Depth=1
	v_sub_u32_e32 v7, 0, v5
	v_max_i32_e32 v7, v5, v7
	v_mul_hi_u32 v8, v7, v4
	v_mul_lo_u32 v9, v8, s20
	v_sub_u32_e32 v7, v7, v9
	v_add_u32_e32 v9, 1, v8
	v_cmp_le_u32_e32 vcc, s20, v7
	v_cndmask_b32_e32 v8, v8, v9, vcc
	v_subrev_u32_e32 v9, s20, v7
	v_cndmask_b32_e32 v7, v7, v9, vcc
	v_ashrrev_i32_e32 v6, 31, v5
	v_add_u32_e32 v9, 1, v8
	v_cmp_le_u32_e32 vcc, s20, v7
	v_xor_b32_e32 v6, s21, v6
	v_cndmask_b32_e32 v7, v8, v9, vcc
	v_xor_b32_e32 v7, v7, v6
	v_sub_u32_e32 v6, v7, v6
	v_lshl_add_u32 v6, v6, 2, s7
	ds_read_b32 v6, v6
	s_waitcnt lgkmcnt(0)
	v_cmp_neq_f32_e32 vcc, s22, v6
	s_and_saveexec_b64 s[14:15], vcc
	s_cbranch_execz .LBB234_17
; %bb.19:                               ;   in Loop: Header=BB234_18 Depth=1
	ds_write_b32 v2, v3
	s_branch .LBB234_17
.LBB234_20:
	s_or_b64 exec, exec, s[2:3]
	s_cmp_lt_i32 s13, 1
	s_waitcnt lgkmcnt(0)
	s_barrier
	s_cbranch_scc1 .LBB234_27
; %bb.21:
	s_add_u32 s2, s4, 64
	s_addc_u32 s3, s5, 0
	s_mov_b32 s7, 0
	v_mov_b32_e32 v4, 0
	v_mov_b32_e32 v5, 0xff800000
                                        ; implicit-def: $vgpr3
                                        ; implicit-def: $vgpr2
	s_branch .LBB234_23
.LBB234_22:                             ;   in Loop: Header=BB234_23 Depth=1
	s_or_b64 exec, exec, s[8:9]
	v_mov_b32_dpp v9, v7 quad_perm:[1,0,3,2] row_mask:0xf bank_mask:0xf
	v_cmp_lt_f32_e32 vcc, v7, v9
	v_cndmask_b32_e32 v7, v7, v9, vcc
	v_mov_b32_dpp v8, v6 quad_perm:[1,0,3,2] row_mask:0xf bank_mask:0xf
	v_cndmask_b32_e32 v6, v6, v8, vcc
	v_mov_b32_dpp v9, v7 quad_perm:[2,3,0,1] row_mask:0xf bank_mask:0xf
	v_cmp_gt_f32_e32 vcc, v9, v7
	v_cndmask_b32_e32 v7, v7, v9, vcc
	v_mov_b32_dpp v8, v6 quad_perm:[2,3,0,1] row_mask:0xf bank_mask:0xf
	v_cndmask_b32_e32 v6, v6, v8, vcc
	v_mov_b32_dpp v9, v7 row_half_mirror row_mask:0xf bank_mask:0xf
	v_cmp_gt_f32_e32 vcc, v9, v7
	v_cndmask_b32_e32 v7, v7, v9, vcc
	v_mov_b32_dpp v8, v6 row_half_mirror row_mask:0xf bank_mask:0xf
	v_cndmask_b32_e32 v6, v6, v8, vcc
	v_mov_b32_dpp v9, v7 row_mirror row_mask:0xf bank_mask:0xf
	v_cmp_gt_f32_e32 vcc, v9, v7
	v_cndmask_b32_e32 v7, v7, v9, vcc
	v_mov_b32_dpp v8, v6 row_mirror row_mask:0xf bank_mask:0xf
	v_cndmask_b32_e32 v6, v6, v8, vcc
	v_mov_b32_dpp v9, v7 row_bcast:15 row_mask:0xf bank_mask:0xf
	v_cmp_gt_f32_e32 vcc, v9, v7
	v_mov_b32_dpp v8, v6 row_bcast:15 row_mask:0xf bank_mask:0xf
	v_cndmask_b32_e32 v7, v7, v9, vcc
	v_cndmask_b32_e32 v6, v6, v8, vcc
	s_nop 0
	v_mov_b32_dpp v9, v7 row_bcast:31 row_mask:0xf bank_mask:0xf
	v_mov_b32_dpp v8, v6 row_bcast:31 row_mask:0xf bank_mask:0xf
	v_cmp_gt_f32_e32 vcc, v9, v7
	v_cndmask_b32_e32 v6, v6, v8, vcc
	v_readlane_b32 s8, v6, 63
	s_ashr_i32 s9, s8, 31
	s_lshl_b64 s[14:15], s[8:9], 1
	s_add_u32 s14, s16, s14
	s_addc_u32 s15, s17, s15
	global_load_ushort v6, v4, s[14:15]
	v_cndmask_b32_e32 v7, v7, v9, vcc
	v_readlane_b32 s9, v7, 63
	v_mov_b32_e32 v7, s8
	s_lshl_b32 s8, s8, 2
	v_cmp_eq_u32_e32 vcc, s7, v0
	s_add_i32 s8, s8, 0
	v_cndmask_b32_e32 v2, v2, v7, vcc
	v_mov_b32_e32 v7, s8
	ds_write_b32 v7, v5
	s_add_i32 s7, s7, 1
	s_cmp_eq_u32 s7, s13
	s_waitcnt vmcnt(0)
	v_and_b32_e32 v7, 0xff, v6
	v_lshlrev_b32_e32 v6, 16, v6
	v_lshlrev_b32_e32 v7, 16, v7
	v_and_b32_e32 v6, 0xff000000, v6
	v_or_b32_e32 v6, v7, v6
	v_sub_f32_e32 v6, s9, v6
	v_cndmask_b32_e32 v3, v3, v6, vcc
	s_cbranch_scc1 .LBB234_28
.LBB234_23:                             ; =>This Loop Header: Depth=1
                                        ;     Child Loop BB234_25 Depth 2
	v_mov_b32_e32 v6, s7
	v_mov_b32_e32 v7, 0xff800000
	s_and_saveexec_b64 s[8:9], s[0:1]
	s_cbranch_execz .LBB234_22
; %bb.24:                               ;   in Loop: Header=BB234_23 Depth=1
	s_load_dword s20, s[2:3], 0xc
	s_mov_b64 s[14:15], 0
	v_mov_b32_e32 v6, s7
	v_mov_b32_e32 v7, 0xff800000
	;; [unrolled: 1-line block ×3, first 2 shown]
	s_waitcnt lgkmcnt(0)
	s_and_b32 s20, s20, 0xffff
	s_lshl_b32 s21, s20, 2
	v_mov_b32_e32 v9, v0
.LBB234_25:                             ;   Parent Loop BB234_23 Depth=1
                                        ; =>  This Inner Loop Header: Depth=2
	ds_read_b32 v10, v8
	v_add_u32_e32 v8, s21, v8
	s_waitcnt lgkmcnt(0)
	v_cmp_gt_f32_e32 vcc, v10, v7
	v_cndmask_b32_e32 v6, v6, v9, vcc
	v_add_u32_e32 v9, s20, v9
	v_cndmask_b32_e32 v7, v7, v10, vcc
	v_cmp_le_i32_e32 vcc, s12, v9
	s_or_b64 s[14:15], vcc, s[14:15]
	s_andn2_b64 exec, exec, s[14:15]
	s_cbranch_execnz .LBB234_25
; %bb.26:                               ;   in Loop: Header=BB234_23 Depth=1
	s_or_b64 exec, exec, s[14:15]
	s_branch .LBB234_22
.LBB234_27:
                                        ; implicit-def: $vgpr3
                                        ; implicit-def: $vgpr2
.LBB234_28:
	v_cmp_gt_i32_e32 vcc, s13, v0
	s_and_saveexec_b64 s[0:1], vcc
	s_cbranch_execz .LBB234_31
; %bb.29:
	s_load_dword s2, s[4:5], 0x38
	s_load_dwordx2 s[0:1], s[4:5], 0x20
	s_ashr_i32 s3, s6, 31
	s_load_dword s4, s[4:5], 0x4c
	v_mov_b32_e32 v4, s19
	s_waitcnt lgkmcnt(0)
	v_mul_f32_e32 v1, s2, v3
	s_mul_i32 s1, s6, s1
	s_mul_hi_u32 s2, s6, s0
	s_add_i32 s1, s2, s1
	s_mul_i32 s3, s3, s0
	s_add_i32 s5, s1, s3
	s_mul_i32 s2, s6, s0
	s_and_b32 s3, s4, 0xffff
	s_mov_b64 s[0:1], 0
	v_mov_b32_e32 v3, s5
	v_mov_b32_e32 v5, s11
.LBB234_30:                             ; =>This Inner Loop Header: Depth=1
	v_ashrrev_i32_e32 v7, 31, v0
	v_add_co_u32_e32 v6, vcc, s2, v0
	v_addc_co_u32_e32 v7, vcc, v3, v7, vcc
	v_add_u32_e32 v0, s3, v0
	v_cmp_le_i32_e32 vcc, s13, v0
	v_lshlrev_b64 v[6:7], 2, v[6:7]
	s_or_b64 s[0:1], vcc, s[0:1]
	v_add_co_u32_e32 v8, vcc, s18, v6
	v_addc_co_u32_e32 v9, vcc, v4, v7, vcc
	v_add_co_u32_e32 v6, vcc, s10, v6
	v_addc_co_u32_e32 v7, vcc, v5, v7, vcc
	global_store_dword v[8:9], v1, off
	global_store_dword v[6:7], v2, off
	s_andn2_b64 exec, exec, s[0:1]
	s_cbranch_execnz .LBB234_30
.LBB234_31:
	s_endpgm
	.section	.rodata,"a",@progbits
	.p2align	6, 0x0
	.amdhsa_kernel _ZN5aiter19grouped_topk_kernelIN3c108BFloat16EDv1_fLi4ELb0ELb1ELb0EEEvPT_PKS4_PfPimiiiif
		.amdhsa_group_segment_fixed_size 0
		.amdhsa_private_segment_fixed_size 0
		.amdhsa_kernarg_size 320
		.amdhsa_user_sgpr_count 6
		.amdhsa_user_sgpr_private_segment_buffer 1
		.amdhsa_user_sgpr_dispatch_ptr 0
		.amdhsa_user_sgpr_queue_ptr 0
		.amdhsa_user_sgpr_kernarg_segment_ptr 1
		.amdhsa_user_sgpr_dispatch_id 0
		.amdhsa_user_sgpr_flat_scratch_init 0
		.amdhsa_user_sgpr_kernarg_preload_length 0
		.amdhsa_user_sgpr_kernarg_preload_offset 0
		.amdhsa_user_sgpr_private_segment_size 0
		.amdhsa_uses_dynamic_stack 0
		.amdhsa_system_sgpr_private_segment_wavefront_offset 0
		.amdhsa_system_sgpr_workgroup_id_x 1
		.amdhsa_system_sgpr_workgroup_id_y 0
		.amdhsa_system_sgpr_workgroup_id_z 0
		.amdhsa_system_sgpr_workgroup_info 0
		.amdhsa_system_vgpr_workitem_id 0
		.amdhsa_next_free_vgpr 14
		.amdhsa_next_free_sgpr 30
		.amdhsa_accum_offset 16
		.amdhsa_reserve_vcc 1
		.amdhsa_reserve_flat_scratch 0
		.amdhsa_float_round_mode_32 0
		.amdhsa_float_round_mode_16_64 0
		.amdhsa_float_denorm_mode_32 3
		.amdhsa_float_denorm_mode_16_64 3
		.amdhsa_dx10_clamp 1
		.amdhsa_ieee_mode 1
		.amdhsa_fp16_overflow 0
		.amdhsa_tg_split 0
		.amdhsa_exception_fp_ieee_invalid_op 0
		.amdhsa_exception_fp_denorm_src 0
		.amdhsa_exception_fp_ieee_div_zero 0
		.amdhsa_exception_fp_ieee_overflow 0
		.amdhsa_exception_fp_ieee_underflow 0
		.amdhsa_exception_fp_ieee_inexact 0
		.amdhsa_exception_int_div_zero 0
	.end_amdhsa_kernel
	.section	.text._ZN5aiter19grouped_topk_kernelIN3c108BFloat16EDv1_fLi4ELb0ELb1ELb0EEEvPT_PKS4_PfPimiiiif,"axG",@progbits,_ZN5aiter19grouped_topk_kernelIN3c108BFloat16EDv1_fLi4ELb0ELb1ELb0EEEvPT_PKS4_PfPimiiiif,comdat
.Lfunc_end234:
	.size	_ZN5aiter19grouped_topk_kernelIN3c108BFloat16EDv1_fLi4ELb0ELb1ELb0EEEvPT_PKS4_PfPimiiiif, .Lfunc_end234-_ZN5aiter19grouped_topk_kernelIN3c108BFloat16EDv1_fLi4ELb0ELb1ELb0EEEvPT_PKS4_PfPimiiiif
                                        ; -- End function
	.section	.AMDGPU.csdata,"",@progbits
; Kernel info:
; codeLenInByte = 1808
; NumSgprs: 34
; NumVgprs: 14
; NumAgprs: 0
; TotalNumVgprs: 14
; ScratchSize: 0
; MemoryBound: 0
; FloatMode: 240
; IeeeMode: 1
; LDSByteSize: 0 bytes/workgroup (compile time only)
; SGPRBlocks: 4
; VGPRBlocks: 1
; NumSGPRsForWavesPerEU: 34
; NumVGPRsForWavesPerEU: 14
; AccumOffset: 16
; Occupancy: 8
; WaveLimiterHint : 0
; COMPUTE_PGM_RSRC2:SCRATCH_EN: 0
; COMPUTE_PGM_RSRC2:USER_SGPR: 6
; COMPUTE_PGM_RSRC2:TRAP_HANDLER: 0
; COMPUTE_PGM_RSRC2:TGID_X_EN: 1
; COMPUTE_PGM_RSRC2:TGID_Y_EN: 0
; COMPUTE_PGM_RSRC2:TGID_Z_EN: 0
; COMPUTE_PGM_RSRC2:TIDIG_COMP_CNT: 0
; COMPUTE_PGM_RSRC3_GFX90A:ACCUM_OFFSET: 3
; COMPUTE_PGM_RSRC3_GFX90A:TG_SPLIT: 0
	.section	.text._ZN5aiter19grouped_topk_kernelIfDv1_fLi4ELb0ELb0ELb1EEEvPT_PKS2_PfPimiiiif,"axG",@progbits,_ZN5aiter19grouped_topk_kernelIfDv1_fLi4ELb0ELb0ELb1EEEvPT_PKS2_PfPimiiiif,comdat
	.protected	_ZN5aiter19grouped_topk_kernelIfDv1_fLi4ELb0ELb0ELb1EEEvPT_PKS2_PfPimiiiif ; -- Begin function _ZN5aiter19grouped_topk_kernelIfDv1_fLi4ELb0ELb0ELb1EEEvPT_PKS2_PfPimiiiif
	.globl	_ZN5aiter19grouped_topk_kernelIfDv1_fLi4ELb0ELb0ELb1EEEvPT_PKS2_PfPimiiiif
	.p2align	8
	.type	_ZN5aiter19grouped_topk_kernelIfDv1_fLi4ELb0ELb0ELb1EEEvPT_PKS2_PfPimiiiif,@function
_ZN5aiter19grouped_topk_kernelIfDv1_fLi4ELb0ELb0ELb1EEEvPT_PKS2_PfPimiiiif: ; @_ZN5aiter19grouped_topk_kernelIfDv1_fLi4ELb0ELb0ELb1EEEvPT_PKS2_PfPimiiiif
; %bb.0:
	s_load_dwordx4 s[8:11], s[4:5], 0x28
	s_load_dwordx4 s[12:15], s[4:5], 0x10
	v_mov_b32_e32 v2, 0xff800000
	v_lshl_add_u32 v1, v0, 2, 0
	s_waitcnt lgkmcnt(0)
	v_cmp_gt_i32_e64 s[0:1], s8, v0
	s_and_saveexec_b64 s[2:3], s[0:1]
	s_cbranch_execz .LBB235_4
; %bb.1:
	s_load_dword s11, s[4:5], 0x4c
	s_load_dwordx2 s[16:17], s[4:5], 0x0
	s_mul_i32 s7, s6, s8
	v_lshl_add_u32 v3, v0, 2, 0
	s_mov_b64 s[18:19], 0
	s_waitcnt lgkmcnt(0)
	s_and_b32 s11, s11, 0xffff
	s_lshl_b32 s20, s11, 2
	v_mov_b32_e32 v2, 0xff800000
	v_mov_b32_e32 v4, s17
	;; [unrolled: 1-line block ×3, first 2 shown]
.LBB235_2:                              ; =>This Inner Loop Header: Depth=1
	v_add_u32_e32 v6, s7, v5
	v_ashrrev_i32_e32 v7, 31, v6
	v_lshlrev_b64 v[6:7], 2, v[6:7]
	v_add_co_u32_e32 v6, vcc, s16, v6
	v_addc_co_u32_e32 v7, vcc, v4, v7, vcc
	global_load_dword v6, v[6:7], off
	v_add_u32_e32 v5, s11, v5
	v_cmp_le_i32_e32 vcc, s8, v5
	s_or_b64 s[18:19], vcc, s[18:19]
	s_waitcnt vmcnt(0)
	v_cmp_gt_f32_e32 vcc, v6, v2
	ds_write_b32 v3, v6
	v_cndmask_b32_e32 v2, v2, v6, vcc
	v_add_u32_e32 v3, s20, v3
	s_andn2_b64 exec, exec, s[18:19]
	s_cbranch_execnz .LBB235_2
; %bb.3:
	s_or_b64 exec, exec, s[18:19]
.LBB235_4:
	s_or_b64 exec, exec, s[2:3]
	v_mov_b32_dpp v3, v2 quad_perm:[1,0,3,2] row_mask:0xf bank_mask:0xf
	v_cmp_lt_f32_e32 vcc, v2, v3
	v_cndmask_b32_e32 v2, v2, v3, vcc
	v_bfrev_b32_e32 v4, 0.5
	s_waitcnt lgkmcnt(0)
	v_mov_b32_dpp v3, v2 quad_perm:[2,3,0,1] row_mask:0xf bank_mask:0xf
	v_cmp_lt_f32_e32 vcc, v2, v3
	v_cndmask_b32_e32 v2, v2, v3, vcc
	s_barrier
	s_nop 0
	v_mov_b32_dpp v3, v2 row_half_mirror row_mask:0xf bank_mask:0xf
	v_cmp_lt_f32_e32 vcc, v2, v3
	v_cndmask_b32_e32 v2, v2, v3, vcc
	s_nop 1
	v_mov_b32_dpp v3, v2 row_mirror row_mask:0xf bank_mask:0xf
	v_cmp_lt_f32_e32 vcc, v2, v3
	v_cndmask_b32_e32 v2, v2, v3, vcc
	s_nop 1
	v_mov_b32_dpp v3, v2 row_bcast:15 row_mask:0xf bank_mask:0xf
	v_cmp_lt_f32_e32 vcc, v2, v3
	v_cndmask_b32_e32 v2, v2, v3, vcc
	s_nop 1
	v_mov_b32_dpp v3, v2 row_bcast:31 row_mask:0xf bank_mask:0xf
	v_cmp_lt_f32_e32 vcc, v2, v3
	v_cndmask_b32_e32 v3, v2, v3, vcc
	v_mbcnt_lo_u32_b32 v2, -1, 0
	v_mbcnt_hi_u32_b32 v2, -1, v2
	v_lshl_or_b32 v2, v2, 2, v4
	ds_bpermute_b32 v4, v2, v3
	v_mov_b32_e32 v3, 0
	s_and_saveexec_b64 s[2:3], s[0:1]
	s_cbranch_execz .LBB235_8
; %bb.5:
	s_load_dword s11, s[4:5], 0x4c
	v_lshl_add_u32 v5, v0, 2, 0
	s_mov_b64 s[16:17], 0
	v_mov_b32_e32 v3, 0
	s_mov_b32 s7, 0x3fb8aa3b
	s_waitcnt lgkmcnt(0)
	s_and_b32 s11, s11, 0xffff
	s_lshl_b32 s18, s11, 2
	s_mov_b32 s19, 0xc2ce8ed0
	s_mov_b32 s20, 0x42b17218
	v_mov_b32_e32 v6, 0x7f800000
	v_mov_b32_e32 v7, v0
.LBB235_6:                              ; =>This Inner Loop Header: Depth=1
	ds_read_b32 v8, v5
	v_add_u32_e32 v7, s11, v7
	s_waitcnt lgkmcnt(0)
	v_sub_f32_e32 v8, v8, v4
	v_mul_f32_e32 v9, 0x3fb8aa3b, v8
	v_fma_f32 v10, v8, s7, -v9
	v_rndne_f32_e32 v11, v9
	v_fmac_f32_e32 v10, 0x32a5705f, v8
	v_sub_f32_e32 v9, v9, v11
	v_add_f32_e32 v9, v9, v10
	v_cvt_i32_f32_e32 v11, v11
	v_exp_f32_e32 v9, v9
	v_cmp_ngt_f32_e32 vcc, s19, v8
	v_ldexp_f32 v9, v9, v11
	v_cndmask_b32_e32 v9, 0, v9, vcc
	v_cmp_nlt_f32_e32 vcc, s20, v8
	v_cndmask_b32_e32 v8, v6, v9, vcc
	v_cmp_le_i32_e32 vcc, s8, v7
	ds_write_b32 v5, v8
	v_add_f32_e32 v3, v3, v8
	s_or_b64 s[16:17], vcc, s[16:17]
	v_add_u32_e32 v5, s18, v5
	s_andn2_b64 exec, exec, s[16:17]
	s_cbranch_execnz .LBB235_6
; %bb.7:
	s_or_b64 exec, exec, s[16:17]
.LBB235_8:
	s_or_b64 exec, exec, s[2:3]
	s_waitcnt lgkmcnt(0)
	v_mov_b32_dpp v4, v3 quad_perm:[1,0,3,2] row_mask:0xf bank_mask:0xf
	v_add_f32_e32 v3, v3, v4
	s_barrier
	s_nop 0
	v_mov_b32_dpp v4, v3 quad_perm:[2,3,0,1] row_mask:0xf bank_mask:0xf
	v_add_f32_e32 v3, v3, v4
	s_nop 1
	v_mov_b32_dpp v4, v3 row_half_mirror row_mask:0xf bank_mask:0xf
	v_add_f32_e32 v3, v3, v4
	s_nop 1
	v_mov_b32_dpp v4, v3 row_mirror row_mask:0xf bank_mask:0xf
	v_add_f32_e32 v3, v3, v4
	s_nop 1
	v_mov_b32_dpp v4, v3 row_bcast:15 row_mask:0xf bank_mask:0xf
	v_add_f32_e32 v3, v3, v4
	s_nop 1
	v_mov_b32_dpp v4, v3 row_bcast:31 row_mask:0xf bank_mask:0xf
	v_add_f32_e32 v3, v3, v4
	ds_bpermute_b32 v2, v2, v3
	s_and_saveexec_b64 s[2:3], s[0:1]
	s_cbranch_execz .LBB235_11
; %bb.9:
	s_load_dword s7, s[4:5], 0x4c
	v_lshl_add_u32 v3, v0, 2, 0
	s_mov_b64 s[16:17], 0
	v_mov_b32_e32 v4, v0
	s_waitcnt lgkmcnt(0)
	s_and_b32 s7, s7, 0xffff
	s_lshl_b32 s11, s7, 2
.LBB235_10:                             ; =>This Inner Loop Header: Depth=1
	ds_read_b32 v5, v3
	v_add_u32_e32 v4, s7, v4
	v_cmp_le_i32_e32 vcc, s8, v4
	s_or_b64 s[16:17], vcc, s[16:17]
	s_waitcnt lgkmcnt(0)
	v_div_scale_f32 v6, s[18:19], v2, v2, v5
	v_rcp_f32_e32 v7, v6
	v_div_scale_f32 v8, vcc, v5, v2, v5
	v_fma_f32 v9, -v6, v7, 1.0
	v_fmac_f32_e32 v7, v9, v7
	v_mul_f32_e32 v9, v8, v7
	v_fma_f32 v10, -v6, v9, v8
	v_fmac_f32_e32 v9, v10, v7
	v_fma_f32 v6, -v6, v9, v8
	v_div_fmas_f32 v6, v6, v7, v9
	v_div_fixup_f32 v5, v6, v2, v5
	ds_write_b32 v3, v5
	v_add_u32_e32 v3, s11, v3
	s_andn2_b64 exec, exec, s[16:17]
	s_cbranch_execnz .LBB235_10
.LBB235_11:
	s_or_b64 exec, exec, s[2:3]
	s_ashr_i32 s2, s8, 31
	s_lshr_b32 s2, s2, 30
	s_add_i32 s2, s8, s2
	s_ashr_i32 s11, s2, 2
	s_lshl_b32 s2, s8, 2
	s_add_i32 s7, s2, 0
	v_cmp_gt_u32_e32 vcc, 4, v0
	s_waitcnt lgkmcnt(0)
	s_barrier
	s_and_saveexec_b64 s[16:17], vcc
	s_cbranch_execz .LBB235_18
; %bb.12:
	s_load_dword s2, s[4:5], 0x4c
	v_mul_lo_u32 v2, v0, s11
	v_lshl_add_u32 v2, v2, 2, 0
	s_waitcnt lgkmcnt(0)
	s_and_b32 s22, s2, 0xffff
	s_cmp_gt_i32 s8, 3
	s_cselect_b64 s[2:3], -1, 0
	s_mul_i32 s18, s11, s22
	v_cndmask_b32_e64 v3, 0, 1, s[2:3]
	s_lshl_b32 s23, s18, 2
	s_mov_b64 s[18:19], 0
	v_cmp_ne_u32_e64 s[2:3], 1, v3
	v_mov_b32_e32 v3, v0
	s_branch .LBB235_14
.LBB235_13:                             ;   in Loop: Header=BB235_14 Depth=1
	v_lshl_add_u32 v5, v3, 2, s7
	v_add_u32_e32 v3, s22, v3
	v_cmp_lt_u32_e32 vcc, 3, v3
	s_or_b64 s[18:19], vcc, s[18:19]
	v_add_u32_e32 v2, s23, v2
	ds_write_b32 v5, v4
	s_andn2_b64 exec, exec, s[18:19]
	s_cbranch_execz .LBB235_18
.LBB235_14:                             ; =>This Loop Header: Depth=1
                                        ;     Child Loop BB235_16 Depth 2
	s_and_b64 vcc, exec, s[2:3]
	v_mov_b32_e32 v4, 0xff800000
	s_cbranch_vccnz .LBB235_13
; %bb.15:                               ;   in Loop: Header=BB235_14 Depth=1
	v_mul_lo_u32 v5, v3, s11
	v_add_u32_e32 v6, s11, v5
	s_mov_b64 s[20:21], 0
	v_mov_b32_e32 v4, 0xff800000
	v_mov_b32_e32 v7, v2
.LBB235_16:                             ;   Parent Loop BB235_14 Depth=1
                                        ; =>  This Inner Loop Header: Depth=2
	ds_read_b32 v8, v7
	v_add_u32_e32 v5, 1, v5
	v_cmp_ge_i32_e32 vcc, v5, v6
	s_or_b64 s[20:21], vcc, s[20:21]
	v_add_u32_e32 v7, 4, v7
	s_waitcnt lgkmcnt(0)
	v_cmp_gt_f32_e32 vcc, v8, v4
	v_cndmask_b32_e32 v4, v4, v8, vcc
	s_andn2_b64 exec, exec, s[20:21]
	s_cbranch_execnz .LBB235_16
; %bb.17:                               ;   in Loop: Header=BB235_14 Depth=1
	s_or_b64 exec, exec, s[20:21]
	s_branch .LBB235_13
.LBB235_18:
	s_or_b64 exec, exec, s[16:17]
	s_cmp_lt_i32 s10, 1
	s_waitcnt lgkmcnt(0)
	s_barrier
	s_cbranch_scc1 .LBB235_21
; %bb.19:
	v_mov_b32_e32 v2, s7
	s_mov_b32 s2, 0xff800000
	v_mov_b32_e32 v3, 0xff800000
.LBB235_20:                             ; =>This Inner Loop Header: Depth=1
	ds_read2_b32 v[4:5], v2 offset1:1
	ds_read2_b32 v[6:7], v2 offset0:2 offset1:3
	s_waitcnt lgkmcnt(1)
	v_cmp_nlg_f32_e32 vcc, s2, v4
	v_cndmask_b32_e64 v8, 0, 1, vcc
	v_cmp_lg_f32_e32 vcc, s2, v4
	v_cndmask_b32_e32 v4, v3, v4, vcc
	v_readfirstlane_b32 s3, v8
	v_cmp_gt_f32_e32 vcc, v5, v4
	s_lshl_b32 s3, s3, 2
	v_cndmask_b32_e32 v4, v4, v5, vcc
	s_and_b64 s[16:17], vcc, exec
	s_waitcnt lgkmcnt(0)
	v_cmp_gt_f32_e32 vcc, v6, v4
	v_cndmask_b32_e32 v4, v4, v6, vcc
	s_cselect_b32 s3, 1, s3
	s_and_b64 s[16:17], vcc, exec
	v_cmp_ngt_f32_e32 vcc, v7, v4
	s_cselect_b32 s3, 2, s3
	s_and_b64 s[16:17], vcc, exec
	s_cselect_b32 s3, s3, 3
	s_lshl_b32 s3, s3, 2
	s_add_i32 s3, s7, s3
	s_add_i32 s10, s10, -1
	v_mov_b32_e32 v4, s3
	s_cmp_lg_u32 s10, 0
	ds_write_b32 v4, v3
	s_cbranch_scc1 .LBB235_20
.LBB235_21:
	s_and_saveexec_b64 s[2:3], s[0:1]
	s_cbranch_execz .LBB235_26
; %bb.22:
	s_abs_i32 s18, s11
	v_cvt_f32_u32_e32 v3, s18
	s_load_dword s16, s[4:5], 0x4c
	s_sub_i32 s17, 0, s18
	s_ashr_i32 s19, s11, 31
	v_rcp_iflag_f32_e32 v4, v3
	v_lshl_add_u32 v2, v0, 2, 0
	s_waitcnt lgkmcnt(0)
	s_and_b32 s21, s16, 0xffff
	s_mov_b64 s[10:11], 0
	v_mul_f32_e32 v4, 0x4f7ffffe, v4
	v_cvt_u32_f32_e32 v4, v4
	s_mov_b32 s20, 0xff800000
	v_mov_b32_e32 v3, 0xff800000
	s_lshl_b32 s22, s21, 2
	v_mul_lo_u32 v5, s17, v4
	v_mul_hi_u32 v5, v4, v5
	v_add_u32_e32 v4, v4, v5
	v_mov_b32_e32 v5, v0
	s_branch .LBB235_24
.LBB235_23:                             ;   in Loop: Header=BB235_24 Depth=1
	s_or_b64 exec, exec, s[16:17]
	v_add_u32_e32 v5, s21, v5
	v_cmp_le_i32_e32 vcc, s8, v5
	s_or_b64 s[10:11], vcc, s[10:11]
	v_add_u32_e32 v2, s22, v2
	s_andn2_b64 exec, exec, s[10:11]
	s_cbranch_execz .LBB235_26
.LBB235_24:                             ; =>This Inner Loop Header: Depth=1
	v_sub_u32_e32 v7, 0, v5
	v_max_i32_e32 v7, v5, v7
	v_mul_hi_u32 v8, v7, v4
	v_mul_lo_u32 v9, v8, s18
	v_sub_u32_e32 v7, v7, v9
	v_add_u32_e32 v9, 1, v8
	v_cmp_le_u32_e32 vcc, s18, v7
	v_cndmask_b32_e32 v8, v8, v9, vcc
	v_subrev_u32_e32 v9, s18, v7
	v_cndmask_b32_e32 v7, v7, v9, vcc
	v_ashrrev_i32_e32 v6, 31, v5
	v_add_u32_e32 v9, 1, v8
	v_cmp_le_u32_e32 vcc, s18, v7
	v_xor_b32_e32 v6, s19, v6
	v_cndmask_b32_e32 v7, v8, v9, vcc
	v_xor_b32_e32 v7, v7, v6
	v_sub_u32_e32 v6, v7, v6
	v_lshl_add_u32 v6, v6, 2, s7
	ds_read_b32 v6, v6
	s_waitcnt lgkmcnt(0)
	v_cmp_neq_f32_e32 vcc, s20, v6
	s_and_saveexec_b64 s[16:17], vcc
	s_cbranch_execz .LBB235_23
; %bb.25:                               ;   in Loop: Header=BB235_24 Depth=1
	ds_write_b32 v2, v3
	s_branch .LBB235_23
.LBB235_26:
	s_or_b64 exec, exec, s[2:3]
	s_cmp_lt_i32 s9, 1
	s_waitcnt lgkmcnt(0)
	s_barrier
	s_cbranch_scc1 .LBB235_33
; %bb.27:
	s_add_u32 s2, s4, 64
	s_addc_u32 s3, s5, 0
	s_mov_b32 s7, 0
	v_mov_b32_e32 v4, 0xff800000
                                        ; implicit-def: $vgpr3
                                        ; implicit-def: $vgpr2
	s_branch .LBB235_29
.LBB235_28:                             ;   in Loop: Header=BB235_29 Depth=1
	s_or_b64 exec, exec, s[10:11]
	v_mov_b32_dpp v8, v6 quad_perm:[1,0,3,2] row_mask:0xf bank_mask:0xf
	v_cmp_lt_f32_e32 vcc, v6, v8
	v_cndmask_b32_e32 v6, v6, v8, vcc
	v_mov_b32_dpp v7, v5 quad_perm:[1,0,3,2] row_mask:0xf bank_mask:0xf
	v_cndmask_b32_e32 v5, v5, v7, vcc
	v_mov_b32_dpp v8, v6 quad_perm:[2,3,0,1] row_mask:0xf bank_mask:0xf
	v_cmp_gt_f32_e32 vcc, v8, v6
	v_cndmask_b32_e32 v6, v6, v8, vcc
	v_mov_b32_dpp v7, v5 quad_perm:[2,3,0,1] row_mask:0xf bank_mask:0xf
	v_cndmask_b32_e32 v5, v5, v7, vcc
	v_mov_b32_dpp v8, v6 row_half_mirror row_mask:0xf bank_mask:0xf
	v_cmp_gt_f32_e32 vcc, v8, v6
	v_cndmask_b32_e32 v6, v6, v8, vcc
	v_mov_b32_dpp v7, v5 row_half_mirror row_mask:0xf bank_mask:0xf
	v_cndmask_b32_e32 v5, v5, v7, vcc
	v_mov_b32_dpp v8, v6 row_mirror row_mask:0xf bank_mask:0xf
	v_cmp_gt_f32_e32 vcc, v8, v6
	v_cndmask_b32_e32 v6, v6, v8, vcc
	v_mov_b32_dpp v7, v5 row_mirror row_mask:0xf bank_mask:0xf
	v_cndmask_b32_e32 v5, v5, v7, vcc
	v_mov_b32_dpp v8, v6 row_bcast:15 row_mask:0xf bank_mask:0xf
	v_cmp_gt_f32_e32 vcc, v8, v6
	v_mov_b32_dpp v7, v5 row_bcast:15 row_mask:0xf bank_mask:0xf
	v_cndmask_b32_e32 v6, v6, v8, vcc
	v_cndmask_b32_e32 v5, v5, v7, vcc
	s_nop 0
	v_mov_b32_dpp v8, v6 row_bcast:31 row_mask:0xf bank_mask:0xf
	v_mov_b32_dpp v7, v5 row_bcast:31 row_mask:0xf bank_mask:0xf
	v_cmp_gt_f32_e32 vcc, v8, v6
	v_cndmask_b32_e32 v5, v5, v7, vcc
	v_readlane_b32 s11, v5, 63
	s_lshl_b32 s16, s11, 2
	s_add_i32 s16, s16, 0
	v_cndmask_b32_e32 v6, v6, v8, vcc
	v_mov_b32_e32 v5, s16
	v_readlane_b32 s10, v6, 63
	ds_write_b32 v5, v4
	v_mov_b32_e32 v5, s11
	v_cmp_eq_u32_e32 vcc, s7, v0
	v_cndmask_b32_e32 v2, v2, v5, vcc
	v_mov_b32_e32 v5, s10
	s_add_i32 s7, s7, 1
	s_cmp_eq_u32 s7, s9
	v_cndmask_b32_e32 v3, v3, v5, vcc
	s_cbranch_scc1 .LBB235_34
.LBB235_29:                             ; =>This Loop Header: Depth=1
                                        ;     Child Loop BB235_31 Depth 2
	v_mov_b32_e32 v5, s7
	v_mov_b32_e32 v6, 0xff800000
	s_and_saveexec_b64 s[10:11], s[0:1]
	s_cbranch_execz .LBB235_28
; %bb.30:                               ;   in Loop: Header=BB235_29 Depth=1
	s_load_dword s18, s[2:3], 0xc
	s_mov_b64 s[16:17], 0
	v_mov_b32_e32 v5, s7
	v_mov_b32_e32 v6, 0xff800000
	;; [unrolled: 1-line block ×3, first 2 shown]
	s_waitcnt lgkmcnt(0)
	s_and_b32 s18, s18, 0xffff
	s_lshl_b32 s19, s18, 2
	v_mov_b32_e32 v8, v0
.LBB235_31:                             ;   Parent Loop BB235_29 Depth=1
                                        ; =>  This Inner Loop Header: Depth=2
	ds_read_b32 v9, v7
	v_add_u32_e32 v7, s19, v7
	s_waitcnt lgkmcnt(0)
	v_cmp_gt_f32_e32 vcc, v9, v6
	v_cndmask_b32_e32 v5, v5, v8, vcc
	v_add_u32_e32 v8, s18, v8
	v_cndmask_b32_e32 v6, v6, v9, vcc
	v_cmp_le_i32_e32 vcc, s8, v8
	s_or_b64 s[16:17], vcc, s[16:17]
	s_andn2_b64 exec, exec, s[16:17]
	s_cbranch_execnz .LBB235_31
; %bb.32:                               ;   in Loop: Header=BB235_29 Depth=1
	s_or_b64 exec, exec, s[16:17]
	s_branch .LBB235_28
.LBB235_33:
                                        ; implicit-def: $vgpr3
                                        ; implicit-def: $vgpr2
.LBB235_34:
	v_cmp_gt_i32_e32 vcc, s9, v0
	s_and_saveexec_b64 s[0:1], vcc
	s_cbranch_execz .LBB235_37
; %bb.35:
	s_load_dword s2, s[4:5], 0x38
	s_load_dwordx2 s[0:1], s[4:5], 0x20
	s_ashr_i32 s3, s6, 31
	s_load_dword s4, s[4:5], 0x4c
	v_mov_b32_e32 v4, s13
	s_waitcnt lgkmcnt(0)
	v_mul_f32_e32 v1, s2, v3
	s_mul_i32 s1, s6, s1
	s_mul_hi_u32 s2, s6, s0
	s_add_i32 s1, s2, s1
	s_mul_i32 s3, s3, s0
	s_add_i32 s5, s1, s3
	s_mul_i32 s2, s6, s0
	s_and_b32 s3, s4, 0xffff
	s_mov_b64 s[0:1], 0
	v_mov_b32_e32 v3, s5
	v_mov_b32_e32 v5, s15
.LBB235_36:                             ; =>This Inner Loop Header: Depth=1
	v_ashrrev_i32_e32 v7, 31, v0
	v_add_co_u32_e32 v6, vcc, s2, v0
	v_addc_co_u32_e32 v7, vcc, v3, v7, vcc
	v_add_u32_e32 v0, s3, v0
	v_cmp_le_i32_e32 vcc, s9, v0
	v_lshlrev_b64 v[6:7], 2, v[6:7]
	s_or_b64 s[0:1], vcc, s[0:1]
	v_add_co_u32_e32 v8, vcc, s12, v6
	v_addc_co_u32_e32 v9, vcc, v4, v7, vcc
	v_add_co_u32_e32 v6, vcc, s14, v6
	v_addc_co_u32_e32 v7, vcc, v5, v7, vcc
	global_store_dword v[8:9], v1, off
	global_store_dword v[6:7], v2, off
	s_andn2_b64 exec, exec, s[0:1]
	s_cbranch_execnz .LBB235_36
.LBB235_37:
	s_endpgm
	.section	.rodata,"a",@progbits
	.p2align	6, 0x0
	.amdhsa_kernel _ZN5aiter19grouped_topk_kernelIfDv1_fLi4ELb0ELb0ELb1EEEvPT_PKS2_PfPimiiiif
		.amdhsa_group_segment_fixed_size 0
		.amdhsa_private_segment_fixed_size 0
		.amdhsa_kernarg_size 320
		.amdhsa_user_sgpr_count 6
		.amdhsa_user_sgpr_private_segment_buffer 1
		.amdhsa_user_sgpr_dispatch_ptr 0
		.amdhsa_user_sgpr_queue_ptr 0
		.amdhsa_user_sgpr_kernarg_segment_ptr 1
		.amdhsa_user_sgpr_dispatch_id 0
		.amdhsa_user_sgpr_flat_scratch_init 0
		.amdhsa_user_sgpr_kernarg_preload_length 0
		.amdhsa_user_sgpr_kernarg_preload_offset 0
		.amdhsa_user_sgpr_private_segment_size 0
		.amdhsa_uses_dynamic_stack 0
		.amdhsa_system_sgpr_private_segment_wavefront_offset 0
		.amdhsa_system_sgpr_workgroup_id_x 1
		.amdhsa_system_sgpr_workgroup_id_y 0
		.amdhsa_system_sgpr_workgroup_id_z 0
		.amdhsa_system_sgpr_workgroup_info 0
		.amdhsa_system_vgpr_workitem_id 0
		.amdhsa_next_free_vgpr 12
		.amdhsa_next_free_sgpr 24
		.amdhsa_accum_offset 12
		.amdhsa_reserve_vcc 1
		.amdhsa_reserve_flat_scratch 0
		.amdhsa_float_round_mode_32 0
		.amdhsa_float_round_mode_16_64 0
		.amdhsa_float_denorm_mode_32 3
		.amdhsa_float_denorm_mode_16_64 3
		.amdhsa_dx10_clamp 1
		.amdhsa_ieee_mode 1
		.amdhsa_fp16_overflow 0
		.amdhsa_tg_split 0
		.amdhsa_exception_fp_ieee_invalid_op 0
		.amdhsa_exception_fp_denorm_src 0
		.amdhsa_exception_fp_ieee_div_zero 0
		.amdhsa_exception_fp_ieee_overflow 0
		.amdhsa_exception_fp_ieee_underflow 0
		.amdhsa_exception_fp_ieee_inexact 0
		.amdhsa_exception_int_div_zero 0
	.end_amdhsa_kernel
	.section	.text._ZN5aiter19grouped_topk_kernelIfDv1_fLi4ELb0ELb0ELb1EEEvPT_PKS2_PfPimiiiif,"axG",@progbits,_ZN5aiter19grouped_topk_kernelIfDv1_fLi4ELb0ELb0ELb1EEEvPT_PKS2_PfPimiiiif,comdat
.Lfunc_end235:
	.size	_ZN5aiter19grouped_topk_kernelIfDv1_fLi4ELb0ELb0ELb1EEEvPT_PKS2_PfPimiiiif, .Lfunc_end235-_ZN5aiter19grouped_topk_kernelIfDv1_fLi4ELb0ELb0ELb1EEEvPT_PKS2_PfPimiiiif
                                        ; -- End function
	.section	.AMDGPU.csdata,"",@progbits
; Kernel info:
; codeLenInByte = 2128
; NumSgprs: 28
; NumVgprs: 12
; NumAgprs: 0
; TotalNumVgprs: 12
; ScratchSize: 0
; MemoryBound: 0
; FloatMode: 240
; IeeeMode: 1
; LDSByteSize: 0 bytes/workgroup (compile time only)
; SGPRBlocks: 3
; VGPRBlocks: 1
; NumSGPRsForWavesPerEU: 28
; NumVGPRsForWavesPerEU: 12
; AccumOffset: 12
; Occupancy: 8
; WaveLimiterHint : 0
; COMPUTE_PGM_RSRC2:SCRATCH_EN: 0
; COMPUTE_PGM_RSRC2:USER_SGPR: 6
; COMPUTE_PGM_RSRC2:TRAP_HANDLER: 0
; COMPUTE_PGM_RSRC2:TGID_X_EN: 1
; COMPUTE_PGM_RSRC2:TGID_Y_EN: 0
; COMPUTE_PGM_RSRC2:TGID_Z_EN: 0
; COMPUTE_PGM_RSRC2:TIDIG_COMP_CNT: 0
; COMPUTE_PGM_RSRC3_GFX90A:ACCUM_OFFSET: 2
; COMPUTE_PGM_RSRC3_GFX90A:TG_SPLIT: 0
	.section	.text._ZN5aiter19grouped_topk_kernelIN3c104HalfEDv1_fLi4ELb0ELb0ELb1EEEvPT_PKS4_PfPimiiiif,"axG",@progbits,_ZN5aiter19grouped_topk_kernelIN3c104HalfEDv1_fLi4ELb0ELb0ELb1EEEvPT_PKS4_PfPimiiiif,comdat
	.protected	_ZN5aiter19grouped_topk_kernelIN3c104HalfEDv1_fLi4ELb0ELb0ELb1EEEvPT_PKS4_PfPimiiiif ; -- Begin function _ZN5aiter19grouped_topk_kernelIN3c104HalfEDv1_fLi4ELb0ELb0ELb1EEEvPT_PKS4_PfPimiiiif
	.globl	_ZN5aiter19grouped_topk_kernelIN3c104HalfEDv1_fLi4ELb0ELb0ELb1EEEvPT_PKS4_PfPimiiiif
	.p2align	8
	.type	_ZN5aiter19grouped_topk_kernelIN3c104HalfEDv1_fLi4ELb0ELb0ELb1EEEvPT_PKS4_PfPimiiiif,@function
_ZN5aiter19grouped_topk_kernelIN3c104HalfEDv1_fLi4ELb0ELb0ELb1EEEvPT_PKS4_PfPimiiiif: ; @_ZN5aiter19grouped_topk_kernelIN3c104HalfEDv1_fLi4ELb0ELb0ELb1EEEvPT_PKS4_PfPimiiiif
; %bb.0:
	s_load_dwordx4 s[8:11], s[4:5], 0x28
	s_load_dwordx4 s[12:15], s[4:5], 0x10
	v_mov_b32_e32 v2, 0xff800000
	v_lshl_add_u32 v1, v0, 2, 0
	s_waitcnt lgkmcnt(0)
	v_cmp_gt_i32_e64 s[0:1], s8, v0
	s_and_saveexec_b64 s[2:3], s[0:1]
	s_cbranch_execz .LBB236_4
; %bb.1:
	s_load_dword s11, s[4:5], 0x4c
	s_load_dwordx2 s[16:17], s[4:5], 0x0
	s_mul_i32 s7, s6, s8
	v_lshl_add_u32 v3, v0, 2, 0
	s_mov_b64 s[18:19], 0
	s_waitcnt lgkmcnt(0)
	s_and_b32 s11, s11, 0xffff
	s_lshl_b32 s20, s11, 2
	v_mov_b32_e32 v2, 0xff800000
	v_mov_b32_e32 v4, s17
	;; [unrolled: 1-line block ×3, first 2 shown]
.LBB236_2:                              ; =>This Inner Loop Header: Depth=1
	v_add_u32_e32 v6, s7, v5
	v_ashrrev_i32_e32 v7, 31, v6
	v_lshlrev_b64 v[6:7], 1, v[6:7]
	v_add_co_u32_e32 v6, vcc, s16, v6
	v_addc_co_u32_e32 v7, vcc, v4, v7, vcc
	global_load_ushort v6, v[6:7], off
	v_add_u32_e32 v5, s11, v5
	v_cmp_le_i32_e32 vcc, s8, v5
	s_or_b64 s[18:19], vcc, s[18:19]
	s_waitcnt vmcnt(0)
	v_cvt_f32_f16_e32 v6, v6
	v_cmp_lt_f32_e32 vcc, v2, v6
	ds_write_b32 v3, v6
	v_cndmask_b32_e32 v2, v2, v6, vcc
	v_add_u32_e32 v3, s20, v3
	s_andn2_b64 exec, exec, s[18:19]
	s_cbranch_execnz .LBB236_2
; %bb.3:
	s_or_b64 exec, exec, s[18:19]
.LBB236_4:
	s_or_b64 exec, exec, s[2:3]
	v_mov_b32_dpp v3, v2 quad_perm:[1,0,3,2] row_mask:0xf bank_mask:0xf
	v_cmp_lt_f32_e32 vcc, v2, v3
	v_cndmask_b32_e32 v2, v2, v3, vcc
	v_bfrev_b32_e32 v4, 0.5
	s_waitcnt lgkmcnt(0)
	v_mov_b32_dpp v3, v2 quad_perm:[2,3,0,1] row_mask:0xf bank_mask:0xf
	v_cmp_lt_f32_e32 vcc, v2, v3
	v_cndmask_b32_e32 v2, v2, v3, vcc
	s_barrier
	s_nop 0
	v_mov_b32_dpp v3, v2 row_half_mirror row_mask:0xf bank_mask:0xf
	v_cmp_lt_f32_e32 vcc, v2, v3
	v_cndmask_b32_e32 v2, v2, v3, vcc
	s_nop 1
	v_mov_b32_dpp v3, v2 row_mirror row_mask:0xf bank_mask:0xf
	v_cmp_lt_f32_e32 vcc, v2, v3
	v_cndmask_b32_e32 v2, v2, v3, vcc
	s_nop 1
	v_mov_b32_dpp v3, v2 row_bcast:15 row_mask:0xf bank_mask:0xf
	v_cmp_lt_f32_e32 vcc, v2, v3
	v_cndmask_b32_e32 v2, v2, v3, vcc
	s_nop 1
	v_mov_b32_dpp v3, v2 row_bcast:31 row_mask:0xf bank_mask:0xf
	v_cmp_lt_f32_e32 vcc, v2, v3
	v_cndmask_b32_e32 v3, v2, v3, vcc
	v_mbcnt_lo_u32_b32 v2, -1, 0
	v_mbcnt_hi_u32_b32 v2, -1, v2
	v_lshl_or_b32 v2, v2, 2, v4
	ds_bpermute_b32 v4, v2, v3
	v_mov_b32_e32 v3, 0
	s_and_saveexec_b64 s[2:3], s[0:1]
	s_cbranch_execz .LBB236_8
; %bb.5:
	s_load_dword s11, s[4:5], 0x4c
	v_lshl_add_u32 v5, v0, 2, 0
	s_mov_b64 s[16:17], 0
	v_mov_b32_e32 v3, 0
	s_mov_b32 s7, 0x3fb8aa3b
	s_waitcnt lgkmcnt(0)
	s_and_b32 s11, s11, 0xffff
	s_lshl_b32 s18, s11, 2
	s_mov_b32 s19, 0xc2ce8ed0
	s_mov_b32 s20, 0x42b17218
	v_mov_b32_e32 v6, 0x7f800000
	v_mov_b32_e32 v7, v0
.LBB236_6:                              ; =>This Inner Loop Header: Depth=1
	ds_read_b32 v8, v5
	v_add_u32_e32 v7, s11, v7
	s_waitcnt lgkmcnt(0)
	v_sub_f32_e32 v8, v8, v4
	v_mul_f32_e32 v9, 0x3fb8aa3b, v8
	v_fma_f32 v10, v8, s7, -v9
	v_rndne_f32_e32 v11, v9
	v_fmac_f32_e32 v10, 0x32a5705f, v8
	v_sub_f32_e32 v9, v9, v11
	v_add_f32_e32 v9, v9, v10
	v_cvt_i32_f32_e32 v11, v11
	v_exp_f32_e32 v9, v9
	v_cmp_ngt_f32_e32 vcc, s19, v8
	v_ldexp_f32 v9, v9, v11
	v_cndmask_b32_e32 v9, 0, v9, vcc
	v_cmp_nlt_f32_e32 vcc, s20, v8
	v_cndmask_b32_e32 v8, v6, v9, vcc
	v_cmp_le_i32_e32 vcc, s8, v7
	ds_write_b32 v5, v8
	v_add_f32_e32 v3, v3, v8
	s_or_b64 s[16:17], vcc, s[16:17]
	v_add_u32_e32 v5, s18, v5
	s_andn2_b64 exec, exec, s[16:17]
	s_cbranch_execnz .LBB236_6
; %bb.7:
	s_or_b64 exec, exec, s[16:17]
.LBB236_8:
	s_or_b64 exec, exec, s[2:3]
	s_waitcnt lgkmcnt(0)
	v_mov_b32_dpp v4, v3 quad_perm:[1,0,3,2] row_mask:0xf bank_mask:0xf
	v_add_f32_e32 v3, v3, v4
	s_barrier
	s_nop 0
	v_mov_b32_dpp v4, v3 quad_perm:[2,3,0,1] row_mask:0xf bank_mask:0xf
	v_add_f32_e32 v3, v3, v4
	s_nop 1
	v_mov_b32_dpp v4, v3 row_half_mirror row_mask:0xf bank_mask:0xf
	v_add_f32_e32 v3, v3, v4
	s_nop 1
	v_mov_b32_dpp v4, v3 row_mirror row_mask:0xf bank_mask:0xf
	v_add_f32_e32 v3, v3, v4
	s_nop 1
	v_mov_b32_dpp v4, v3 row_bcast:15 row_mask:0xf bank_mask:0xf
	v_add_f32_e32 v3, v3, v4
	s_nop 1
	v_mov_b32_dpp v4, v3 row_bcast:31 row_mask:0xf bank_mask:0xf
	v_add_f32_e32 v3, v3, v4
	ds_bpermute_b32 v2, v2, v3
	s_and_saveexec_b64 s[2:3], s[0:1]
	s_cbranch_execz .LBB236_11
; %bb.9:
	s_load_dword s7, s[4:5], 0x4c
	v_lshl_add_u32 v3, v0, 2, 0
	s_mov_b64 s[16:17], 0
	v_mov_b32_e32 v4, v0
	s_waitcnt lgkmcnt(0)
	s_and_b32 s7, s7, 0xffff
	s_lshl_b32 s11, s7, 2
.LBB236_10:                             ; =>This Inner Loop Header: Depth=1
	ds_read_b32 v5, v3
	v_add_u32_e32 v4, s7, v4
	v_cmp_le_i32_e32 vcc, s8, v4
	s_or_b64 s[16:17], vcc, s[16:17]
	s_waitcnt lgkmcnt(0)
	v_div_scale_f32 v6, s[18:19], v2, v2, v5
	v_rcp_f32_e32 v7, v6
	v_div_scale_f32 v8, vcc, v5, v2, v5
	v_fma_f32 v9, -v6, v7, 1.0
	v_fmac_f32_e32 v7, v9, v7
	v_mul_f32_e32 v9, v8, v7
	v_fma_f32 v10, -v6, v9, v8
	v_fmac_f32_e32 v9, v10, v7
	v_fma_f32 v6, -v6, v9, v8
	v_div_fmas_f32 v6, v6, v7, v9
	v_div_fixup_f32 v5, v6, v2, v5
	ds_write_b32 v3, v5
	v_add_u32_e32 v3, s11, v3
	s_andn2_b64 exec, exec, s[16:17]
	s_cbranch_execnz .LBB236_10
.LBB236_11:
	s_or_b64 exec, exec, s[2:3]
	s_ashr_i32 s2, s8, 31
	s_lshr_b32 s2, s2, 30
	s_add_i32 s2, s8, s2
	s_ashr_i32 s11, s2, 2
	s_lshl_b32 s2, s8, 2
	s_add_i32 s7, s2, 0
	v_cmp_gt_u32_e32 vcc, 4, v0
	s_waitcnt lgkmcnt(0)
	s_barrier
	s_and_saveexec_b64 s[16:17], vcc
	s_cbranch_execz .LBB236_18
; %bb.12:
	s_load_dword s2, s[4:5], 0x4c
	v_mul_lo_u32 v2, v0, s11
	v_lshl_add_u32 v2, v2, 2, 0
	s_waitcnt lgkmcnt(0)
	s_and_b32 s22, s2, 0xffff
	s_cmp_gt_i32 s8, 3
	s_cselect_b64 s[2:3], -1, 0
	s_mul_i32 s18, s11, s22
	v_cndmask_b32_e64 v3, 0, 1, s[2:3]
	s_lshl_b32 s23, s18, 2
	s_mov_b64 s[18:19], 0
	v_cmp_ne_u32_e64 s[2:3], 1, v3
	v_mov_b32_e32 v3, v0
	s_branch .LBB236_14
.LBB236_13:                             ;   in Loop: Header=BB236_14 Depth=1
	v_lshl_add_u32 v5, v3, 2, s7
	v_add_u32_e32 v3, s22, v3
	v_cmp_lt_u32_e32 vcc, 3, v3
	s_or_b64 s[18:19], vcc, s[18:19]
	v_add_u32_e32 v2, s23, v2
	ds_write_b32 v5, v4
	s_andn2_b64 exec, exec, s[18:19]
	s_cbranch_execz .LBB236_18
.LBB236_14:                             ; =>This Loop Header: Depth=1
                                        ;     Child Loop BB236_16 Depth 2
	s_and_b64 vcc, exec, s[2:3]
	v_mov_b32_e32 v4, 0xff800000
	s_cbranch_vccnz .LBB236_13
; %bb.15:                               ;   in Loop: Header=BB236_14 Depth=1
	v_mul_lo_u32 v5, v3, s11
	v_add_u32_e32 v6, s11, v5
	s_mov_b64 s[20:21], 0
	v_mov_b32_e32 v4, 0xff800000
	v_mov_b32_e32 v7, v2
.LBB236_16:                             ;   Parent Loop BB236_14 Depth=1
                                        ; =>  This Inner Loop Header: Depth=2
	ds_read_b32 v8, v7
	v_add_u32_e32 v5, 1, v5
	v_cmp_ge_i32_e32 vcc, v5, v6
	s_or_b64 s[20:21], vcc, s[20:21]
	v_add_u32_e32 v7, 4, v7
	s_waitcnt lgkmcnt(0)
	v_cmp_gt_f32_e32 vcc, v8, v4
	v_cndmask_b32_e32 v4, v4, v8, vcc
	s_andn2_b64 exec, exec, s[20:21]
	s_cbranch_execnz .LBB236_16
; %bb.17:                               ;   in Loop: Header=BB236_14 Depth=1
	s_or_b64 exec, exec, s[20:21]
	s_branch .LBB236_13
.LBB236_18:
	s_or_b64 exec, exec, s[16:17]
	s_cmp_lt_i32 s10, 1
	s_waitcnt lgkmcnt(0)
	s_barrier
	s_cbranch_scc1 .LBB236_21
; %bb.19:
	v_mov_b32_e32 v2, s7
	s_mov_b32 s2, 0xff800000
	v_mov_b32_e32 v3, 0xff800000
.LBB236_20:                             ; =>This Inner Loop Header: Depth=1
	ds_read2_b32 v[4:5], v2 offset1:1
	ds_read2_b32 v[6:7], v2 offset0:2 offset1:3
	s_waitcnt lgkmcnt(1)
	v_cmp_nlg_f32_e32 vcc, s2, v4
	v_cndmask_b32_e64 v8, 0, 1, vcc
	v_cmp_lg_f32_e32 vcc, s2, v4
	v_cndmask_b32_e32 v4, v3, v4, vcc
	v_readfirstlane_b32 s3, v8
	v_cmp_gt_f32_e32 vcc, v5, v4
	s_lshl_b32 s3, s3, 2
	v_cndmask_b32_e32 v4, v4, v5, vcc
	s_and_b64 s[16:17], vcc, exec
	s_waitcnt lgkmcnt(0)
	v_cmp_gt_f32_e32 vcc, v6, v4
	v_cndmask_b32_e32 v4, v4, v6, vcc
	s_cselect_b32 s3, 1, s3
	s_and_b64 s[16:17], vcc, exec
	v_cmp_ngt_f32_e32 vcc, v7, v4
	s_cselect_b32 s3, 2, s3
	s_and_b64 s[16:17], vcc, exec
	s_cselect_b32 s3, s3, 3
	s_lshl_b32 s3, s3, 2
	s_add_i32 s3, s7, s3
	s_add_i32 s10, s10, -1
	v_mov_b32_e32 v4, s3
	s_cmp_lg_u32 s10, 0
	ds_write_b32 v4, v3
	s_cbranch_scc1 .LBB236_20
.LBB236_21:
	s_and_saveexec_b64 s[2:3], s[0:1]
	s_cbranch_execz .LBB236_26
; %bb.22:
	s_abs_i32 s18, s11
	v_cvt_f32_u32_e32 v3, s18
	s_load_dword s16, s[4:5], 0x4c
	s_sub_i32 s17, 0, s18
	s_ashr_i32 s19, s11, 31
	v_rcp_iflag_f32_e32 v4, v3
	v_lshl_add_u32 v2, v0, 2, 0
	s_waitcnt lgkmcnt(0)
	s_and_b32 s21, s16, 0xffff
	s_mov_b64 s[10:11], 0
	v_mul_f32_e32 v4, 0x4f7ffffe, v4
	v_cvt_u32_f32_e32 v4, v4
	s_mov_b32 s20, 0xff800000
	v_mov_b32_e32 v3, 0xff800000
	s_lshl_b32 s22, s21, 2
	v_mul_lo_u32 v5, s17, v4
	v_mul_hi_u32 v5, v4, v5
	v_add_u32_e32 v4, v4, v5
	v_mov_b32_e32 v5, v0
	s_branch .LBB236_24
.LBB236_23:                             ;   in Loop: Header=BB236_24 Depth=1
	s_or_b64 exec, exec, s[16:17]
	v_add_u32_e32 v5, s21, v5
	v_cmp_le_i32_e32 vcc, s8, v5
	s_or_b64 s[10:11], vcc, s[10:11]
	v_add_u32_e32 v2, s22, v2
	s_andn2_b64 exec, exec, s[10:11]
	s_cbranch_execz .LBB236_26
.LBB236_24:                             ; =>This Inner Loop Header: Depth=1
	v_sub_u32_e32 v7, 0, v5
	v_max_i32_e32 v7, v5, v7
	v_mul_hi_u32 v8, v7, v4
	v_mul_lo_u32 v9, v8, s18
	v_sub_u32_e32 v7, v7, v9
	v_add_u32_e32 v9, 1, v8
	v_cmp_le_u32_e32 vcc, s18, v7
	v_cndmask_b32_e32 v8, v8, v9, vcc
	v_subrev_u32_e32 v9, s18, v7
	v_cndmask_b32_e32 v7, v7, v9, vcc
	v_ashrrev_i32_e32 v6, 31, v5
	v_add_u32_e32 v9, 1, v8
	v_cmp_le_u32_e32 vcc, s18, v7
	v_xor_b32_e32 v6, s19, v6
	v_cndmask_b32_e32 v7, v8, v9, vcc
	v_xor_b32_e32 v7, v7, v6
	v_sub_u32_e32 v6, v7, v6
	v_lshl_add_u32 v6, v6, 2, s7
	ds_read_b32 v6, v6
	s_waitcnt lgkmcnt(0)
	v_cmp_neq_f32_e32 vcc, s20, v6
	s_and_saveexec_b64 s[16:17], vcc
	s_cbranch_execz .LBB236_23
; %bb.25:                               ;   in Loop: Header=BB236_24 Depth=1
	ds_write_b32 v2, v3
	s_branch .LBB236_23
.LBB236_26:
	s_or_b64 exec, exec, s[2:3]
	s_cmp_lt_i32 s9, 1
	s_waitcnt lgkmcnt(0)
	s_barrier
	s_cbranch_scc1 .LBB236_33
; %bb.27:
	s_add_u32 s2, s4, 64
	s_addc_u32 s3, s5, 0
	s_mov_b32 s7, 0
	v_mov_b32_e32 v4, 0xff800000
                                        ; implicit-def: $vgpr3
                                        ; implicit-def: $vgpr2
	s_branch .LBB236_29
.LBB236_28:                             ;   in Loop: Header=BB236_29 Depth=1
	s_or_b64 exec, exec, s[10:11]
	v_mov_b32_dpp v8, v6 quad_perm:[1,0,3,2] row_mask:0xf bank_mask:0xf
	v_cmp_lt_f32_e32 vcc, v6, v8
	v_cndmask_b32_e32 v6, v6, v8, vcc
	v_mov_b32_dpp v7, v5 quad_perm:[1,0,3,2] row_mask:0xf bank_mask:0xf
	v_cndmask_b32_e32 v5, v5, v7, vcc
	v_mov_b32_dpp v8, v6 quad_perm:[2,3,0,1] row_mask:0xf bank_mask:0xf
	v_cmp_gt_f32_e32 vcc, v8, v6
	v_cndmask_b32_e32 v6, v6, v8, vcc
	v_mov_b32_dpp v7, v5 quad_perm:[2,3,0,1] row_mask:0xf bank_mask:0xf
	v_cndmask_b32_e32 v5, v5, v7, vcc
	v_mov_b32_dpp v8, v6 row_half_mirror row_mask:0xf bank_mask:0xf
	v_cmp_gt_f32_e32 vcc, v8, v6
	v_cndmask_b32_e32 v6, v6, v8, vcc
	v_mov_b32_dpp v7, v5 row_half_mirror row_mask:0xf bank_mask:0xf
	v_cndmask_b32_e32 v5, v5, v7, vcc
	v_mov_b32_dpp v8, v6 row_mirror row_mask:0xf bank_mask:0xf
	v_cmp_gt_f32_e32 vcc, v8, v6
	v_cndmask_b32_e32 v6, v6, v8, vcc
	v_mov_b32_dpp v7, v5 row_mirror row_mask:0xf bank_mask:0xf
	v_cndmask_b32_e32 v5, v5, v7, vcc
	v_mov_b32_dpp v8, v6 row_bcast:15 row_mask:0xf bank_mask:0xf
	v_cmp_gt_f32_e32 vcc, v8, v6
	v_mov_b32_dpp v7, v5 row_bcast:15 row_mask:0xf bank_mask:0xf
	v_cndmask_b32_e32 v6, v6, v8, vcc
	v_cndmask_b32_e32 v5, v5, v7, vcc
	s_nop 0
	v_mov_b32_dpp v8, v6 row_bcast:31 row_mask:0xf bank_mask:0xf
	v_mov_b32_dpp v7, v5 row_bcast:31 row_mask:0xf bank_mask:0xf
	v_cmp_gt_f32_e32 vcc, v8, v6
	v_cndmask_b32_e32 v5, v5, v7, vcc
	v_readlane_b32 s11, v5, 63
	s_lshl_b32 s16, s11, 2
	s_add_i32 s16, s16, 0
	v_cndmask_b32_e32 v6, v6, v8, vcc
	v_mov_b32_e32 v5, s16
	v_readlane_b32 s10, v6, 63
	ds_write_b32 v5, v4
	v_mov_b32_e32 v5, s11
	v_cmp_eq_u32_e32 vcc, s7, v0
	v_cndmask_b32_e32 v2, v2, v5, vcc
	v_mov_b32_e32 v5, s10
	s_add_i32 s7, s7, 1
	s_cmp_eq_u32 s7, s9
	v_cndmask_b32_e32 v3, v3, v5, vcc
	s_cbranch_scc1 .LBB236_34
.LBB236_29:                             ; =>This Loop Header: Depth=1
                                        ;     Child Loop BB236_31 Depth 2
	v_mov_b32_e32 v5, s7
	v_mov_b32_e32 v6, 0xff800000
	s_and_saveexec_b64 s[10:11], s[0:1]
	s_cbranch_execz .LBB236_28
; %bb.30:                               ;   in Loop: Header=BB236_29 Depth=1
	s_load_dword s18, s[2:3], 0xc
	s_mov_b64 s[16:17], 0
	v_mov_b32_e32 v5, s7
	v_mov_b32_e32 v6, 0xff800000
	;; [unrolled: 1-line block ×3, first 2 shown]
	s_waitcnt lgkmcnt(0)
	s_and_b32 s18, s18, 0xffff
	s_lshl_b32 s19, s18, 2
	v_mov_b32_e32 v8, v0
.LBB236_31:                             ;   Parent Loop BB236_29 Depth=1
                                        ; =>  This Inner Loop Header: Depth=2
	ds_read_b32 v9, v7
	v_add_u32_e32 v7, s19, v7
	s_waitcnt lgkmcnt(0)
	v_cmp_gt_f32_e32 vcc, v9, v6
	v_cndmask_b32_e32 v5, v5, v8, vcc
	v_add_u32_e32 v8, s18, v8
	v_cndmask_b32_e32 v6, v6, v9, vcc
	v_cmp_le_i32_e32 vcc, s8, v8
	s_or_b64 s[16:17], vcc, s[16:17]
	s_andn2_b64 exec, exec, s[16:17]
	s_cbranch_execnz .LBB236_31
; %bb.32:                               ;   in Loop: Header=BB236_29 Depth=1
	s_or_b64 exec, exec, s[16:17]
	s_branch .LBB236_28
.LBB236_33:
                                        ; implicit-def: $vgpr3
                                        ; implicit-def: $vgpr2
.LBB236_34:
	v_cmp_gt_i32_e32 vcc, s9, v0
	s_and_saveexec_b64 s[0:1], vcc
	s_cbranch_execz .LBB236_37
; %bb.35:
	s_load_dword s2, s[4:5], 0x38
	s_load_dwordx2 s[0:1], s[4:5], 0x20
	s_ashr_i32 s3, s6, 31
	s_load_dword s4, s[4:5], 0x4c
	v_mov_b32_e32 v4, s13
	s_waitcnt lgkmcnt(0)
	v_mul_f32_e32 v1, s2, v3
	s_mul_i32 s1, s6, s1
	s_mul_hi_u32 s2, s6, s0
	s_add_i32 s1, s2, s1
	s_mul_i32 s3, s3, s0
	s_add_i32 s5, s1, s3
	s_mul_i32 s2, s6, s0
	s_and_b32 s3, s4, 0xffff
	s_mov_b64 s[0:1], 0
	v_mov_b32_e32 v3, s5
	v_mov_b32_e32 v5, s15
.LBB236_36:                             ; =>This Inner Loop Header: Depth=1
	v_ashrrev_i32_e32 v7, 31, v0
	v_add_co_u32_e32 v6, vcc, s2, v0
	v_addc_co_u32_e32 v7, vcc, v3, v7, vcc
	v_add_u32_e32 v0, s3, v0
	v_cmp_le_i32_e32 vcc, s9, v0
	v_lshlrev_b64 v[6:7], 2, v[6:7]
	s_or_b64 s[0:1], vcc, s[0:1]
	v_add_co_u32_e32 v8, vcc, s12, v6
	v_addc_co_u32_e32 v9, vcc, v4, v7, vcc
	v_add_co_u32_e32 v6, vcc, s14, v6
	v_addc_co_u32_e32 v7, vcc, v5, v7, vcc
	global_store_dword v[8:9], v1, off
	global_store_dword v[6:7], v2, off
	s_andn2_b64 exec, exec, s[0:1]
	s_cbranch_execnz .LBB236_36
.LBB236_37:
	s_endpgm
	.section	.rodata,"a",@progbits
	.p2align	6, 0x0
	.amdhsa_kernel _ZN5aiter19grouped_topk_kernelIN3c104HalfEDv1_fLi4ELb0ELb0ELb1EEEvPT_PKS4_PfPimiiiif
		.amdhsa_group_segment_fixed_size 0
		.amdhsa_private_segment_fixed_size 0
		.amdhsa_kernarg_size 320
		.amdhsa_user_sgpr_count 6
		.amdhsa_user_sgpr_private_segment_buffer 1
		.amdhsa_user_sgpr_dispatch_ptr 0
		.amdhsa_user_sgpr_queue_ptr 0
		.amdhsa_user_sgpr_kernarg_segment_ptr 1
		.amdhsa_user_sgpr_dispatch_id 0
		.amdhsa_user_sgpr_flat_scratch_init 0
		.amdhsa_user_sgpr_kernarg_preload_length 0
		.amdhsa_user_sgpr_kernarg_preload_offset 0
		.amdhsa_user_sgpr_private_segment_size 0
		.amdhsa_uses_dynamic_stack 0
		.amdhsa_system_sgpr_private_segment_wavefront_offset 0
		.amdhsa_system_sgpr_workgroup_id_x 1
		.amdhsa_system_sgpr_workgroup_id_y 0
		.amdhsa_system_sgpr_workgroup_id_z 0
		.amdhsa_system_sgpr_workgroup_info 0
		.amdhsa_system_vgpr_workitem_id 0
		.amdhsa_next_free_vgpr 12
		.amdhsa_next_free_sgpr 24
		.amdhsa_accum_offset 12
		.amdhsa_reserve_vcc 1
		.amdhsa_reserve_flat_scratch 0
		.amdhsa_float_round_mode_32 0
		.amdhsa_float_round_mode_16_64 0
		.amdhsa_float_denorm_mode_32 3
		.amdhsa_float_denorm_mode_16_64 3
		.amdhsa_dx10_clamp 1
		.amdhsa_ieee_mode 1
		.amdhsa_fp16_overflow 0
		.amdhsa_tg_split 0
		.amdhsa_exception_fp_ieee_invalid_op 0
		.amdhsa_exception_fp_denorm_src 0
		.amdhsa_exception_fp_ieee_div_zero 0
		.amdhsa_exception_fp_ieee_overflow 0
		.amdhsa_exception_fp_ieee_underflow 0
		.amdhsa_exception_fp_ieee_inexact 0
		.amdhsa_exception_int_div_zero 0
	.end_amdhsa_kernel
	.section	.text._ZN5aiter19grouped_topk_kernelIN3c104HalfEDv1_fLi4ELb0ELb0ELb1EEEvPT_PKS4_PfPimiiiif,"axG",@progbits,_ZN5aiter19grouped_topk_kernelIN3c104HalfEDv1_fLi4ELb0ELb0ELb1EEEvPT_PKS4_PfPimiiiif,comdat
.Lfunc_end236:
	.size	_ZN5aiter19grouped_topk_kernelIN3c104HalfEDv1_fLi4ELb0ELb0ELb1EEEvPT_PKS4_PfPimiiiif, .Lfunc_end236-_ZN5aiter19grouped_topk_kernelIN3c104HalfEDv1_fLi4ELb0ELb0ELb1EEEvPT_PKS4_PfPimiiiif
                                        ; -- End function
	.section	.AMDGPU.csdata,"",@progbits
; Kernel info:
; codeLenInByte = 2132
; NumSgprs: 28
; NumVgprs: 12
; NumAgprs: 0
; TotalNumVgprs: 12
; ScratchSize: 0
; MemoryBound: 0
; FloatMode: 240
; IeeeMode: 1
; LDSByteSize: 0 bytes/workgroup (compile time only)
; SGPRBlocks: 3
; VGPRBlocks: 1
; NumSGPRsForWavesPerEU: 28
; NumVGPRsForWavesPerEU: 12
; AccumOffset: 12
; Occupancy: 8
; WaveLimiterHint : 0
; COMPUTE_PGM_RSRC2:SCRATCH_EN: 0
; COMPUTE_PGM_RSRC2:USER_SGPR: 6
; COMPUTE_PGM_RSRC2:TRAP_HANDLER: 0
; COMPUTE_PGM_RSRC2:TGID_X_EN: 1
; COMPUTE_PGM_RSRC2:TGID_Y_EN: 0
; COMPUTE_PGM_RSRC2:TGID_Z_EN: 0
; COMPUTE_PGM_RSRC2:TIDIG_COMP_CNT: 0
; COMPUTE_PGM_RSRC3_GFX90A:ACCUM_OFFSET: 2
; COMPUTE_PGM_RSRC3_GFX90A:TG_SPLIT: 0
	.section	.text._ZN5aiter19grouped_topk_kernelIN3c108BFloat16EDv1_fLi4ELb0ELb0ELb1EEEvPT_PKS4_PfPimiiiif,"axG",@progbits,_ZN5aiter19grouped_topk_kernelIN3c108BFloat16EDv1_fLi4ELb0ELb0ELb1EEEvPT_PKS4_PfPimiiiif,comdat
	.protected	_ZN5aiter19grouped_topk_kernelIN3c108BFloat16EDv1_fLi4ELb0ELb0ELb1EEEvPT_PKS4_PfPimiiiif ; -- Begin function _ZN5aiter19grouped_topk_kernelIN3c108BFloat16EDv1_fLi4ELb0ELb0ELb1EEEvPT_PKS4_PfPimiiiif
	.globl	_ZN5aiter19grouped_topk_kernelIN3c108BFloat16EDv1_fLi4ELb0ELb0ELb1EEEvPT_PKS4_PfPimiiiif
	.p2align	8
	.type	_ZN5aiter19grouped_topk_kernelIN3c108BFloat16EDv1_fLi4ELb0ELb0ELb1EEEvPT_PKS4_PfPimiiiif,@function
_ZN5aiter19grouped_topk_kernelIN3c108BFloat16EDv1_fLi4ELb0ELb0ELb1EEEvPT_PKS4_PfPimiiiif: ; @_ZN5aiter19grouped_topk_kernelIN3c108BFloat16EDv1_fLi4ELb0ELb0ELb1EEEvPT_PKS4_PfPimiiiif
; %bb.0:
	s_load_dwordx4 s[8:11], s[4:5], 0x28
	s_load_dwordx4 s[12:15], s[4:5], 0x10
	v_mov_b32_e32 v2, 0xff800000
	v_lshl_add_u32 v1, v0, 2, 0
	s_waitcnt lgkmcnt(0)
	v_cmp_gt_i32_e64 s[0:1], s8, v0
	s_and_saveexec_b64 s[2:3], s[0:1]
	s_cbranch_execz .LBB237_4
; %bb.1:
	s_load_dword s11, s[4:5], 0x4c
	s_load_dwordx2 s[16:17], s[4:5], 0x0
	s_mul_i32 s7, s6, s8
	v_lshl_add_u32 v3, v0, 2, 0
	s_mov_b64 s[18:19], 0
	s_waitcnt lgkmcnt(0)
	s_and_b32 s11, s11, 0xffff
	s_lshl_b32 s20, s11, 2
	v_mov_b32_e32 v2, 0xff800000
	v_mov_b32_e32 v4, s17
	;; [unrolled: 1-line block ×3, first 2 shown]
.LBB237_2:                              ; =>This Inner Loop Header: Depth=1
	v_add_u32_e32 v6, s7, v5
	v_ashrrev_i32_e32 v7, 31, v6
	v_lshlrev_b64 v[6:7], 1, v[6:7]
	v_add_co_u32_e32 v6, vcc, s16, v6
	v_addc_co_u32_e32 v7, vcc, v4, v7, vcc
	global_load_ushort v6, v[6:7], off
	v_add_u32_e32 v5, s11, v5
	v_cmp_le_i32_e32 vcc, s8, v5
	s_or_b64 s[18:19], vcc, s[18:19]
	s_waitcnt vmcnt(0)
	v_lshrrev_b16_e32 v7, 8, v6
	v_and_b32_e32 v6, 0xff, v6
	v_lshlrev_b32_e32 v6, 16, v6
	v_lshl_or_b32 v6, v7, 24, v6
	v_cmp_lt_f32_e32 vcc, v2, v6
	ds_write_b32 v3, v6
	v_cndmask_b32_e32 v2, v2, v6, vcc
	v_add_u32_e32 v3, s20, v3
	s_andn2_b64 exec, exec, s[18:19]
	s_cbranch_execnz .LBB237_2
; %bb.3:
	s_or_b64 exec, exec, s[18:19]
.LBB237_4:
	s_or_b64 exec, exec, s[2:3]
	v_mov_b32_dpp v3, v2 quad_perm:[1,0,3,2] row_mask:0xf bank_mask:0xf
	v_cmp_lt_f32_e32 vcc, v2, v3
	v_cndmask_b32_e32 v2, v2, v3, vcc
	v_bfrev_b32_e32 v4, 0.5
	s_waitcnt lgkmcnt(0)
	v_mov_b32_dpp v3, v2 quad_perm:[2,3,0,1] row_mask:0xf bank_mask:0xf
	v_cmp_lt_f32_e32 vcc, v2, v3
	v_cndmask_b32_e32 v2, v2, v3, vcc
	s_barrier
	s_nop 0
	v_mov_b32_dpp v3, v2 row_half_mirror row_mask:0xf bank_mask:0xf
	v_cmp_lt_f32_e32 vcc, v2, v3
	v_cndmask_b32_e32 v2, v2, v3, vcc
	s_nop 1
	v_mov_b32_dpp v3, v2 row_mirror row_mask:0xf bank_mask:0xf
	v_cmp_lt_f32_e32 vcc, v2, v3
	v_cndmask_b32_e32 v2, v2, v3, vcc
	s_nop 1
	v_mov_b32_dpp v3, v2 row_bcast:15 row_mask:0xf bank_mask:0xf
	v_cmp_lt_f32_e32 vcc, v2, v3
	v_cndmask_b32_e32 v2, v2, v3, vcc
	s_nop 1
	v_mov_b32_dpp v3, v2 row_bcast:31 row_mask:0xf bank_mask:0xf
	v_cmp_lt_f32_e32 vcc, v2, v3
	v_cndmask_b32_e32 v3, v2, v3, vcc
	v_mbcnt_lo_u32_b32 v2, -1, 0
	v_mbcnt_hi_u32_b32 v2, -1, v2
	v_lshl_or_b32 v2, v2, 2, v4
	ds_bpermute_b32 v4, v2, v3
	v_mov_b32_e32 v3, 0
	s_and_saveexec_b64 s[2:3], s[0:1]
	s_cbranch_execz .LBB237_8
; %bb.5:
	s_load_dword s11, s[4:5], 0x4c
	v_lshl_add_u32 v5, v0, 2, 0
	s_mov_b64 s[16:17], 0
	v_mov_b32_e32 v3, 0
	s_mov_b32 s7, 0x3fb8aa3b
	s_waitcnt lgkmcnt(0)
	s_and_b32 s11, s11, 0xffff
	s_lshl_b32 s18, s11, 2
	s_mov_b32 s19, 0xc2ce8ed0
	s_mov_b32 s20, 0x42b17218
	v_mov_b32_e32 v6, 0x7f800000
	v_mov_b32_e32 v7, v0
.LBB237_6:                              ; =>This Inner Loop Header: Depth=1
	ds_read_b32 v8, v5
	v_add_u32_e32 v7, s11, v7
	s_waitcnt lgkmcnt(0)
	v_sub_f32_e32 v8, v8, v4
	v_mul_f32_e32 v9, 0x3fb8aa3b, v8
	v_fma_f32 v10, v8, s7, -v9
	v_rndne_f32_e32 v11, v9
	v_fmac_f32_e32 v10, 0x32a5705f, v8
	v_sub_f32_e32 v9, v9, v11
	v_add_f32_e32 v9, v9, v10
	v_cvt_i32_f32_e32 v11, v11
	v_exp_f32_e32 v9, v9
	v_cmp_ngt_f32_e32 vcc, s19, v8
	v_ldexp_f32 v9, v9, v11
	v_cndmask_b32_e32 v9, 0, v9, vcc
	v_cmp_nlt_f32_e32 vcc, s20, v8
	v_cndmask_b32_e32 v8, v6, v9, vcc
	v_cmp_le_i32_e32 vcc, s8, v7
	ds_write_b32 v5, v8
	v_add_f32_e32 v3, v3, v8
	s_or_b64 s[16:17], vcc, s[16:17]
	v_add_u32_e32 v5, s18, v5
	s_andn2_b64 exec, exec, s[16:17]
	s_cbranch_execnz .LBB237_6
; %bb.7:
	s_or_b64 exec, exec, s[16:17]
.LBB237_8:
	s_or_b64 exec, exec, s[2:3]
	s_waitcnt lgkmcnt(0)
	v_mov_b32_dpp v4, v3 quad_perm:[1,0,3,2] row_mask:0xf bank_mask:0xf
	v_add_f32_e32 v3, v3, v4
	s_barrier
	s_nop 0
	v_mov_b32_dpp v4, v3 quad_perm:[2,3,0,1] row_mask:0xf bank_mask:0xf
	v_add_f32_e32 v3, v3, v4
	s_nop 1
	v_mov_b32_dpp v4, v3 row_half_mirror row_mask:0xf bank_mask:0xf
	v_add_f32_e32 v3, v3, v4
	s_nop 1
	v_mov_b32_dpp v4, v3 row_mirror row_mask:0xf bank_mask:0xf
	v_add_f32_e32 v3, v3, v4
	s_nop 1
	v_mov_b32_dpp v4, v3 row_bcast:15 row_mask:0xf bank_mask:0xf
	v_add_f32_e32 v3, v3, v4
	s_nop 1
	v_mov_b32_dpp v4, v3 row_bcast:31 row_mask:0xf bank_mask:0xf
	v_add_f32_e32 v3, v3, v4
	ds_bpermute_b32 v2, v2, v3
	s_and_saveexec_b64 s[2:3], s[0:1]
	s_cbranch_execz .LBB237_11
; %bb.9:
	s_load_dword s7, s[4:5], 0x4c
	v_lshl_add_u32 v3, v0, 2, 0
	s_mov_b64 s[16:17], 0
	v_mov_b32_e32 v4, v0
	s_waitcnt lgkmcnt(0)
	s_and_b32 s7, s7, 0xffff
	s_lshl_b32 s11, s7, 2
.LBB237_10:                             ; =>This Inner Loop Header: Depth=1
	ds_read_b32 v5, v3
	v_add_u32_e32 v4, s7, v4
	v_cmp_le_i32_e32 vcc, s8, v4
	s_or_b64 s[16:17], vcc, s[16:17]
	s_waitcnt lgkmcnt(0)
	v_div_scale_f32 v6, s[18:19], v2, v2, v5
	v_rcp_f32_e32 v7, v6
	v_div_scale_f32 v8, vcc, v5, v2, v5
	v_fma_f32 v9, -v6, v7, 1.0
	v_fmac_f32_e32 v7, v9, v7
	v_mul_f32_e32 v9, v8, v7
	v_fma_f32 v10, -v6, v9, v8
	v_fmac_f32_e32 v9, v10, v7
	v_fma_f32 v6, -v6, v9, v8
	v_div_fmas_f32 v6, v6, v7, v9
	v_div_fixup_f32 v5, v6, v2, v5
	ds_write_b32 v3, v5
	v_add_u32_e32 v3, s11, v3
	s_andn2_b64 exec, exec, s[16:17]
	s_cbranch_execnz .LBB237_10
.LBB237_11:
	s_or_b64 exec, exec, s[2:3]
	s_ashr_i32 s2, s8, 31
	s_lshr_b32 s2, s2, 30
	s_add_i32 s2, s8, s2
	s_ashr_i32 s11, s2, 2
	s_lshl_b32 s2, s8, 2
	s_add_i32 s7, s2, 0
	v_cmp_gt_u32_e32 vcc, 4, v0
	s_waitcnt lgkmcnt(0)
	s_barrier
	s_and_saveexec_b64 s[16:17], vcc
	s_cbranch_execz .LBB237_18
; %bb.12:
	s_load_dword s2, s[4:5], 0x4c
	v_mul_lo_u32 v2, v0, s11
	v_lshl_add_u32 v2, v2, 2, 0
	s_waitcnt lgkmcnt(0)
	s_and_b32 s22, s2, 0xffff
	s_cmp_gt_i32 s8, 3
	s_cselect_b64 s[2:3], -1, 0
	s_mul_i32 s18, s11, s22
	v_cndmask_b32_e64 v3, 0, 1, s[2:3]
	s_lshl_b32 s23, s18, 2
	s_mov_b64 s[18:19], 0
	v_cmp_ne_u32_e64 s[2:3], 1, v3
	v_mov_b32_e32 v3, v0
	s_branch .LBB237_14
.LBB237_13:                             ;   in Loop: Header=BB237_14 Depth=1
	v_lshl_add_u32 v5, v3, 2, s7
	v_add_u32_e32 v3, s22, v3
	v_cmp_lt_u32_e32 vcc, 3, v3
	s_or_b64 s[18:19], vcc, s[18:19]
	v_add_u32_e32 v2, s23, v2
	ds_write_b32 v5, v4
	s_andn2_b64 exec, exec, s[18:19]
	s_cbranch_execz .LBB237_18
.LBB237_14:                             ; =>This Loop Header: Depth=1
                                        ;     Child Loop BB237_16 Depth 2
	s_and_b64 vcc, exec, s[2:3]
	v_mov_b32_e32 v4, 0xff800000
	s_cbranch_vccnz .LBB237_13
; %bb.15:                               ;   in Loop: Header=BB237_14 Depth=1
	v_mul_lo_u32 v5, v3, s11
	v_add_u32_e32 v6, s11, v5
	s_mov_b64 s[20:21], 0
	v_mov_b32_e32 v4, 0xff800000
	v_mov_b32_e32 v7, v2
.LBB237_16:                             ;   Parent Loop BB237_14 Depth=1
                                        ; =>  This Inner Loop Header: Depth=2
	ds_read_b32 v8, v7
	v_add_u32_e32 v5, 1, v5
	v_cmp_ge_i32_e32 vcc, v5, v6
	s_or_b64 s[20:21], vcc, s[20:21]
	v_add_u32_e32 v7, 4, v7
	s_waitcnt lgkmcnt(0)
	v_cmp_gt_f32_e32 vcc, v8, v4
	v_cndmask_b32_e32 v4, v4, v8, vcc
	s_andn2_b64 exec, exec, s[20:21]
	s_cbranch_execnz .LBB237_16
; %bb.17:                               ;   in Loop: Header=BB237_14 Depth=1
	s_or_b64 exec, exec, s[20:21]
	s_branch .LBB237_13
.LBB237_18:
	s_or_b64 exec, exec, s[16:17]
	s_cmp_lt_i32 s10, 1
	s_waitcnt lgkmcnt(0)
	s_barrier
	s_cbranch_scc1 .LBB237_21
; %bb.19:
	v_mov_b32_e32 v2, s7
	s_mov_b32 s2, 0xff800000
	v_mov_b32_e32 v3, 0xff800000
.LBB237_20:                             ; =>This Inner Loop Header: Depth=1
	ds_read2_b32 v[4:5], v2 offset1:1
	ds_read2_b32 v[6:7], v2 offset0:2 offset1:3
	s_waitcnt lgkmcnt(1)
	v_cmp_nlg_f32_e32 vcc, s2, v4
	v_cndmask_b32_e64 v8, 0, 1, vcc
	v_cmp_lg_f32_e32 vcc, s2, v4
	v_cndmask_b32_e32 v4, v3, v4, vcc
	v_readfirstlane_b32 s3, v8
	v_cmp_gt_f32_e32 vcc, v5, v4
	s_lshl_b32 s3, s3, 2
	v_cndmask_b32_e32 v4, v4, v5, vcc
	s_and_b64 s[16:17], vcc, exec
	s_waitcnt lgkmcnt(0)
	v_cmp_gt_f32_e32 vcc, v6, v4
	v_cndmask_b32_e32 v4, v4, v6, vcc
	s_cselect_b32 s3, 1, s3
	s_and_b64 s[16:17], vcc, exec
	v_cmp_ngt_f32_e32 vcc, v7, v4
	s_cselect_b32 s3, 2, s3
	s_and_b64 s[16:17], vcc, exec
	s_cselect_b32 s3, s3, 3
	s_lshl_b32 s3, s3, 2
	s_add_i32 s3, s7, s3
	s_add_i32 s10, s10, -1
	v_mov_b32_e32 v4, s3
	s_cmp_lg_u32 s10, 0
	ds_write_b32 v4, v3
	s_cbranch_scc1 .LBB237_20
.LBB237_21:
	s_and_saveexec_b64 s[2:3], s[0:1]
	s_cbranch_execz .LBB237_26
; %bb.22:
	s_abs_i32 s18, s11
	v_cvt_f32_u32_e32 v3, s18
	s_load_dword s16, s[4:5], 0x4c
	s_sub_i32 s17, 0, s18
	s_ashr_i32 s19, s11, 31
	v_rcp_iflag_f32_e32 v4, v3
	v_lshl_add_u32 v2, v0, 2, 0
	s_waitcnt lgkmcnt(0)
	s_and_b32 s21, s16, 0xffff
	s_mov_b64 s[10:11], 0
	v_mul_f32_e32 v4, 0x4f7ffffe, v4
	v_cvt_u32_f32_e32 v4, v4
	s_mov_b32 s20, 0xff800000
	v_mov_b32_e32 v3, 0xff800000
	s_lshl_b32 s22, s21, 2
	v_mul_lo_u32 v5, s17, v4
	v_mul_hi_u32 v5, v4, v5
	v_add_u32_e32 v4, v4, v5
	v_mov_b32_e32 v5, v0
	s_branch .LBB237_24
.LBB237_23:                             ;   in Loop: Header=BB237_24 Depth=1
	s_or_b64 exec, exec, s[16:17]
	v_add_u32_e32 v5, s21, v5
	v_cmp_le_i32_e32 vcc, s8, v5
	s_or_b64 s[10:11], vcc, s[10:11]
	v_add_u32_e32 v2, s22, v2
	s_andn2_b64 exec, exec, s[10:11]
	s_cbranch_execz .LBB237_26
.LBB237_24:                             ; =>This Inner Loop Header: Depth=1
	v_sub_u32_e32 v7, 0, v5
	v_max_i32_e32 v7, v5, v7
	v_mul_hi_u32 v8, v7, v4
	v_mul_lo_u32 v9, v8, s18
	v_sub_u32_e32 v7, v7, v9
	v_add_u32_e32 v9, 1, v8
	v_cmp_le_u32_e32 vcc, s18, v7
	v_cndmask_b32_e32 v8, v8, v9, vcc
	v_subrev_u32_e32 v9, s18, v7
	v_cndmask_b32_e32 v7, v7, v9, vcc
	v_ashrrev_i32_e32 v6, 31, v5
	v_add_u32_e32 v9, 1, v8
	v_cmp_le_u32_e32 vcc, s18, v7
	v_xor_b32_e32 v6, s19, v6
	v_cndmask_b32_e32 v7, v8, v9, vcc
	v_xor_b32_e32 v7, v7, v6
	v_sub_u32_e32 v6, v7, v6
	v_lshl_add_u32 v6, v6, 2, s7
	ds_read_b32 v6, v6
	s_waitcnt lgkmcnt(0)
	v_cmp_neq_f32_e32 vcc, s20, v6
	s_and_saveexec_b64 s[16:17], vcc
	s_cbranch_execz .LBB237_23
; %bb.25:                               ;   in Loop: Header=BB237_24 Depth=1
	ds_write_b32 v2, v3
	s_branch .LBB237_23
.LBB237_26:
	s_or_b64 exec, exec, s[2:3]
	s_cmp_lt_i32 s9, 1
	s_waitcnt lgkmcnt(0)
	s_barrier
	s_cbranch_scc1 .LBB237_33
; %bb.27:
	s_add_u32 s2, s4, 64
	s_addc_u32 s3, s5, 0
	s_mov_b32 s7, 0
	v_mov_b32_e32 v4, 0xff800000
                                        ; implicit-def: $vgpr3
                                        ; implicit-def: $vgpr2
	s_branch .LBB237_29
.LBB237_28:                             ;   in Loop: Header=BB237_29 Depth=1
	s_or_b64 exec, exec, s[10:11]
	v_mov_b32_dpp v8, v6 quad_perm:[1,0,3,2] row_mask:0xf bank_mask:0xf
	v_cmp_lt_f32_e32 vcc, v6, v8
	v_cndmask_b32_e32 v6, v6, v8, vcc
	v_mov_b32_dpp v7, v5 quad_perm:[1,0,3,2] row_mask:0xf bank_mask:0xf
	v_cndmask_b32_e32 v5, v5, v7, vcc
	v_mov_b32_dpp v8, v6 quad_perm:[2,3,0,1] row_mask:0xf bank_mask:0xf
	v_cmp_gt_f32_e32 vcc, v8, v6
	v_cndmask_b32_e32 v6, v6, v8, vcc
	v_mov_b32_dpp v7, v5 quad_perm:[2,3,0,1] row_mask:0xf bank_mask:0xf
	v_cndmask_b32_e32 v5, v5, v7, vcc
	v_mov_b32_dpp v8, v6 row_half_mirror row_mask:0xf bank_mask:0xf
	v_cmp_gt_f32_e32 vcc, v8, v6
	v_cndmask_b32_e32 v6, v6, v8, vcc
	v_mov_b32_dpp v7, v5 row_half_mirror row_mask:0xf bank_mask:0xf
	v_cndmask_b32_e32 v5, v5, v7, vcc
	v_mov_b32_dpp v8, v6 row_mirror row_mask:0xf bank_mask:0xf
	v_cmp_gt_f32_e32 vcc, v8, v6
	v_cndmask_b32_e32 v6, v6, v8, vcc
	v_mov_b32_dpp v7, v5 row_mirror row_mask:0xf bank_mask:0xf
	v_cndmask_b32_e32 v5, v5, v7, vcc
	v_mov_b32_dpp v8, v6 row_bcast:15 row_mask:0xf bank_mask:0xf
	v_cmp_gt_f32_e32 vcc, v8, v6
	v_mov_b32_dpp v7, v5 row_bcast:15 row_mask:0xf bank_mask:0xf
	v_cndmask_b32_e32 v6, v6, v8, vcc
	v_cndmask_b32_e32 v5, v5, v7, vcc
	s_nop 0
	v_mov_b32_dpp v8, v6 row_bcast:31 row_mask:0xf bank_mask:0xf
	v_mov_b32_dpp v7, v5 row_bcast:31 row_mask:0xf bank_mask:0xf
	v_cmp_gt_f32_e32 vcc, v8, v6
	v_cndmask_b32_e32 v5, v5, v7, vcc
	v_readlane_b32 s11, v5, 63
	s_lshl_b32 s16, s11, 2
	s_add_i32 s16, s16, 0
	v_cndmask_b32_e32 v6, v6, v8, vcc
	v_mov_b32_e32 v5, s16
	v_readlane_b32 s10, v6, 63
	ds_write_b32 v5, v4
	v_mov_b32_e32 v5, s11
	v_cmp_eq_u32_e32 vcc, s7, v0
	v_cndmask_b32_e32 v2, v2, v5, vcc
	v_mov_b32_e32 v5, s10
	s_add_i32 s7, s7, 1
	s_cmp_eq_u32 s7, s9
	v_cndmask_b32_e32 v3, v3, v5, vcc
	s_cbranch_scc1 .LBB237_34
.LBB237_29:                             ; =>This Loop Header: Depth=1
                                        ;     Child Loop BB237_31 Depth 2
	v_mov_b32_e32 v5, s7
	v_mov_b32_e32 v6, 0xff800000
	s_and_saveexec_b64 s[10:11], s[0:1]
	s_cbranch_execz .LBB237_28
; %bb.30:                               ;   in Loop: Header=BB237_29 Depth=1
	s_load_dword s18, s[2:3], 0xc
	s_mov_b64 s[16:17], 0
	v_mov_b32_e32 v5, s7
	v_mov_b32_e32 v6, 0xff800000
	;; [unrolled: 1-line block ×3, first 2 shown]
	s_waitcnt lgkmcnt(0)
	s_and_b32 s18, s18, 0xffff
	s_lshl_b32 s19, s18, 2
	v_mov_b32_e32 v8, v0
.LBB237_31:                             ;   Parent Loop BB237_29 Depth=1
                                        ; =>  This Inner Loop Header: Depth=2
	ds_read_b32 v9, v7
	v_add_u32_e32 v7, s19, v7
	s_waitcnt lgkmcnt(0)
	v_cmp_gt_f32_e32 vcc, v9, v6
	v_cndmask_b32_e32 v5, v5, v8, vcc
	v_add_u32_e32 v8, s18, v8
	v_cndmask_b32_e32 v6, v6, v9, vcc
	v_cmp_le_i32_e32 vcc, s8, v8
	s_or_b64 s[16:17], vcc, s[16:17]
	s_andn2_b64 exec, exec, s[16:17]
	s_cbranch_execnz .LBB237_31
; %bb.32:                               ;   in Loop: Header=BB237_29 Depth=1
	s_or_b64 exec, exec, s[16:17]
	s_branch .LBB237_28
.LBB237_33:
                                        ; implicit-def: $vgpr3
                                        ; implicit-def: $vgpr2
.LBB237_34:
	v_cmp_gt_i32_e32 vcc, s9, v0
	s_and_saveexec_b64 s[0:1], vcc
	s_cbranch_execz .LBB237_37
; %bb.35:
	s_load_dword s2, s[4:5], 0x38
	s_load_dwordx2 s[0:1], s[4:5], 0x20
	s_ashr_i32 s3, s6, 31
	s_load_dword s4, s[4:5], 0x4c
	v_mov_b32_e32 v4, s13
	s_waitcnt lgkmcnt(0)
	v_mul_f32_e32 v1, s2, v3
	s_mul_i32 s1, s6, s1
	s_mul_hi_u32 s2, s6, s0
	s_add_i32 s1, s2, s1
	s_mul_i32 s3, s3, s0
	s_add_i32 s5, s1, s3
	s_mul_i32 s2, s6, s0
	s_and_b32 s3, s4, 0xffff
	s_mov_b64 s[0:1], 0
	v_mov_b32_e32 v3, s5
	v_mov_b32_e32 v5, s15
.LBB237_36:                             ; =>This Inner Loop Header: Depth=1
	v_ashrrev_i32_e32 v7, 31, v0
	v_add_co_u32_e32 v6, vcc, s2, v0
	v_addc_co_u32_e32 v7, vcc, v3, v7, vcc
	v_add_u32_e32 v0, s3, v0
	v_cmp_le_i32_e32 vcc, s9, v0
	v_lshlrev_b64 v[6:7], 2, v[6:7]
	s_or_b64 s[0:1], vcc, s[0:1]
	v_add_co_u32_e32 v8, vcc, s12, v6
	v_addc_co_u32_e32 v9, vcc, v4, v7, vcc
	v_add_co_u32_e32 v6, vcc, s14, v6
	v_addc_co_u32_e32 v7, vcc, v5, v7, vcc
	global_store_dword v[8:9], v1, off
	global_store_dword v[6:7], v2, off
	s_andn2_b64 exec, exec, s[0:1]
	s_cbranch_execnz .LBB237_36
.LBB237_37:
	s_endpgm
	.section	.rodata,"a",@progbits
	.p2align	6, 0x0
	.amdhsa_kernel _ZN5aiter19grouped_topk_kernelIN3c108BFloat16EDv1_fLi4ELb0ELb0ELb1EEEvPT_PKS4_PfPimiiiif
		.amdhsa_group_segment_fixed_size 0
		.amdhsa_private_segment_fixed_size 0
		.amdhsa_kernarg_size 320
		.amdhsa_user_sgpr_count 6
		.amdhsa_user_sgpr_private_segment_buffer 1
		.amdhsa_user_sgpr_dispatch_ptr 0
		.amdhsa_user_sgpr_queue_ptr 0
		.amdhsa_user_sgpr_kernarg_segment_ptr 1
		.amdhsa_user_sgpr_dispatch_id 0
		.amdhsa_user_sgpr_flat_scratch_init 0
		.amdhsa_user_sgpr_kernarg_preload_length 0
		.amdhsa_user_sgpr_kernarg_preload_offset 0
		.amdhsa_user_sgpr_private_segment_size 0
		.amdhsa_uses_dynamic_stack 0
		.amdhsa_system_sgpr_private_segment_wavefront_offset 0
		.amdhsa_system_sgpr_workgroup_id_x 1
		.amdhsa_system_sgpr_workgroup_id_y 0
		.amdhsa_system_sgpr_workgroup_id_z 0
		.amdhsa_system_sgpr_workgroup_info 0
		.amdhsa_system_vgpr_workitem_id 0
		.amdhsa_next_free_vgpr 12
		.amdhsa_next_free_sgpr 24
		.amdhsa_accum_offset 12
		.amdhsa_reserve_vcc 1
		.amdhsa_reserve_flat_scratch 0
		.amdhsa_float_round_mode_32 0
		.amdhsa_float_round_mode_16_64 0
		.amdhsa_float_denorm_mode_32 3
		.amdhsa_float_denorm_mode_16_64 3
		.amdhsa_dx10_clamp 1
		.amdhsa_ieee_mode 1
		.amdhsa_fp16_overflow 0
		.amdhsa_tg_split 0
		.amdhsa_exception_fp_ieee_invalid_op 0
		.amdhsa_exception_fp_denorm_src 0
		.amdhsa_exception_fp_ieee_div_zero 0
		.amdhsa_exception_fp_ieee_overflow 0
		.amdhsa_exception_fp_ieee_underflow 0
		.amdhsa_exception_fp_ieee_inexact 0
		.amdhsa_exception_int_div_zero 0
	.end_amdhsa_kernel
	.section	.text._ZN5aiter19grouped_topk_kernelIN3c108BFloat16EDv1_fLi4ELb0ELb0ELb1EEEvPT_PKS4_PfPimiiiif,"axG",@progbits,_ZN5aiter19grouped_topk_kernelIN3c108BFloat16EDv1_fLi4ELb0ELb0ELb1EEEvPT_PKS4_PfPimiiiif,comdat
.Lfunc_end237:
	.size	_ZN5aiter19grouped_topk_kernelIN3c108BFloat16EDv1_fLi4ELb0ELb0ELb1EEEvPT_PKS4_PfPimiiiif, .Lfunc_end237-_ZN5aiter19grouped_topk_kernelIN3c108BFloat16EDv1_fLi4ELb0ELb0ELb1EEEvPT_PKS4_PfPimiiiif
                                        ; -- End function
	.section	.AMDGPU.csdata,"",@progbits
; Kernel info:
; codeLenInByte = 2152
; NumSgprs: 28
; NumVgprs: 12
; NumAgprs: 0
; TotalNumVgprs: 12
; ScratchSize: 0
; MemoryBound: 0
; FloatMode: 240
; IeeeMode: 1
; LDSByteSize: 0 bytes/workgroup (compile time only)
; SGPRBlocks: 3
; VGPRBlocks: 1
; NumSGPRsForWavesPerEU: 28
; NumVGPRsForWavesPerEU: 12
; AccumOffset: 12
; Occupancy: 8
; WaveLimiterHint : 0
; COMPUTE_PGM_RSRC2:SCRATCH_EN: 0
; COMPUTE_PGM_RSRC2:USER_SGPR: 6
; COMPUTE_PGM_RSRC2:TRAP_HANDLER: 0
; COMPUTE_PGM_RSRC2:TGID_X_EN: 1
; COMPUTE_PGM_RSRC2:TGID_Y_EN: 0
; COMPUTE_PGM_RSRC2:TGID_Z_EN: 0
; COMPUTE_PGM_RSRC2:TIDIG_COMP_CNT: 0
; COMPUTE_PGM_RSRC3_GFX90A:ACCUM_OFFSET: 2
; COMPUTE_PGM_RSRC3_GFX90A:TG_SPLIT: 0
	.section	.text._ZN5aiter19grouped_topk_kernelIfDv1_fLi4ELb0ELb0ELb0EEEvPT_PKS2_PfPimiiiif,"axG",@progbits,_ZN5aiter19grouped_topk_kernelIfDv1_fLi4ELb0ELb0ELb0EEEvPT_PKS2_PfPimiiiif,comdat
	.protected	_ZN5aiter19grouped_topk_kernelIfDv1_fLi4ELb0ELb0ELb0EEEvPT_PKS2_PfPimiiiif ; -- Begin function _ZN5aiter19grouped_topk_kernelIfDv1_fLi4ELb0ELb0ELb0EEEvPT_PKS2_PfPimiiiif
	.globl	_ZN5aiter19grouped_topk_kernelIfDv1_fLi4ELb0ELb0ELb0EEEvPT_PKS2_PfPimiiiif
	.p2align	8
	.type	_ZN5aiter19grouped_topk_kernelIfDv1_fLi4ELb0ELb0ELb0EEEvPT_PKS2_PfPimiiiif,@function
_ZN5aiter19grouped_topk_kernelIfDv1_fLi4ELb0ELb0ELb0EEEvPT_PKS2_PfPimiiiif: ; @_ZN5aiter19grouped_topk_kernelIfDv1_fLi4ELb0ELb0ELb0EEEvPT_PKS2_PfPimiiiif
; %bb.0:
	s_load_dwordx4 s[8:11], s[4:5], 0x28
	s_load_dwordx4 s[12:15], s[4:5], 0x10
	v_lshl_add_u32 v1, v0, 2, 0
	s_waitcnt lgkmcnt(0)
	v_cmp_gt_i32_e64 s[0:1], s8, v0
	s_and_saveexec_b64 s[2:3], s[0:1]
	s_cbranch_execz .LBB238_3
; %bb.1:
	s_load_dwordx2 s[16:17], s[4:5], 0x0
	s_load_dword s11, s[4:5], 0x4c
	s_mul_i32 s18, s6, s8
	s_ashr_i32 s19, s18, 31
	s_lshl_b64 s[18:19], s[18:19], 2
	s_waitcnt lgkmcnt(0)
	s_add_u32 s7, s16, s18
	s_addc_u32 s19, s17, s19
	s_and_b32 s11, s11, 0xffff
	v_lshl_add_u32 v4, v0, 2, 0
	s_lshl_b32 s18, s11, 2
	s_mov_b64 s[16:17], 0
	v_mov_b32_e32 v5, s19
	s_mov_b32 s19, 0xbfb8aa3b
	s_mov_b32 s20, 0x42ce8ed0
	;; [unrolled: 1-line block ×3, first 2 shown]
	v_mov_b32_e32 v6, 0x7f800000
	v_mov_b32_e32 v2, v0
.LBB238_2:                              ; =>This Inner Loop Header: Depth=1
	v_ashrrev_i32_e32 v3, 31, v2
	v_lshlrev_b64 v[8:9], 2, v[2:3]
	v_add_co_u32_e32 v8, vcc, s7, v8
	v_addc_co_u32_e32 v9, vcc, v5, v9, vcc
	global_load_dword v3, v[8:9], off
	v_add_u32_e32 v2, s11, v2
	v_cmp_le_i32_e32 vcc, s8, v2
	s_or_b64 s[16:17], vcc, s[16:17]
	s_waitcnt vmcnt(0)
	v_mul_f32_e32 v7, 0xbfb8aa3b, v3
	v_fma_f32 v8, v3, s19, -v7
	v_rndne_f32_e32 v9, v7
	v_fmac_f32_e32 v8, 0xb2a5705f, v3
	v_sub_f32_e32 v7, v7, v9
	v_add_f32_e32 v7, v7, v8
	v_cvt_i32_f32_e32 v9, v9
	v_exp_f32_e32 v7, v7
	v_cmp_nlt_f32_e32 vcc, s20, v3
	v_ldexp_f32 v7, v7, v9
	v_cndmask_b32_e32 v7, 0, v7, vcc
	v_cmp_ngt_f32_e32 vcc, s21, v3
	v_cndmask_b32_e32 v3, v6, v7, vcc
	v_add_f32_e32 v3, 1.0, v3
	v_div_scale_f32 v7, s[22:23], v3, v3, 1.0
	v_rcp_f32_e32 v8, v7
	v_div_scale_f32 v9, vcc, 1.0, v3, 1.0
	v_fma_f32 v10, -v7, v8, 1.0
	v_fmac_f32_e32 v8, v10, v8
	v_mul_f32_e32 v10, v9, v8
	v_fma_f32 v11, -v7, v10, v9
	v_fmac_f32_e32 v10, v11, v8
	v_fma_f32 v7, -v7, v10, v9
	v_div_fmas_f32 v7, v7, v8, v10
	v_div_fixup_f32 v3, v7, v3, 1.0
	ds_write_b32 v4, v3
	v_add_u32_e32 v4, s18, v4
	s_andn2_b64 exec, exec, s[16:17]
	s_cbranch_execnz .LBB238_2
.LBB238_3:
	s_or_b64 exec, exec, s[2:3]
	s_ashr_i32 s2, s8, 31
	s_lshr_b32 s2, s2, 30
	s_add_i32 s2, s8, s2
	s_ashr_i32 s11, s2, 2
	s_lshl_b32 s2, s8, 2
	s_add_i32 s7, s2, 0
	v_cmp_gt_u32_e32 vcc, 4, v0
	s_waitcnt lgkmcnt(0)
	s_barrier
	s_and_saveexec_b64 s[16:17], vcc
	s_cbranch_execz .LBB238_10
; %bb.4:
	s_load_dword s2, s[4:5], 0x4c
	v_mul_lo_u32 v2, v0, s11
	v_lshl_add_u32 v2, v2, 2, 0
	s_waitcnt lgkmcnt(0)
	s_and_b32 s22, s2, 0xffff
	s_cmp_gt_i32 s8, 3
	s_cselect_b64 s[2:3], -1, 0
	s_mul_i32 s18, s11, s22
	v_cndmask_b32_e64 v3, 0, 1, s[2:3]
	s_lshl_b32 s23, s18, 2
	s_mov_b64 s[18:19], 0
	v_cmp_ne_u32_e64 s[2:3], 1, v3
	v_mov_b32_e32 v3, v0
	s_branch .LBB238_6
.LBB238_5:                              ;   in Loop: Header=BB238_6 Depth=1
	v_lshl_add_u32 v5, v3, 2, s7
	v_add_u32_e32 v3, s22, v3
	v_cmp_lt_u32_e32 vcc, 3, v3
	s_or_b64 s[18:19], vcc, s[18:19]
	v_add_u32_e32 v2, s23, v2
	ds_write_b32 v5, v4
	s_andn2_b64 exec, exec, s[18:19]
	s_cbranch_execz .LBB238_10
.LBB238_6:                              ; =>This Loop Header: Depth=1
                                        ;     Child Loop BB238_8 Depth 2
	s_and_b64 vcc, exec, s[2:3]
	v_mov_b32_e32 v4, 0xff800000
	s_cbranch_vccnz .LBB238_5
; %bb.7:                                ;   in Loop: Header=BB238_6 Depth=1
	v_mul_lo_u32 v5, v3, s11
	v_add_u32_e32 v6, s11, v5
	s_mov_b64 s[20:21], 0
	v_mov_b32_e32 v4, 0xff800000
	v_mov_b32_e32 v7, v2
.LBB238_8:                              ;   Parent Loop BB238_6 Depth=1
                                        ; =>  This Inner Loop Header: Depth=2
	ds_read_b32 v8, v7
	v_add_u32_e32 v5, 1, v5
	v_cmp_ge_i32_e32 vcc, v5, v6
	s_or_b64 s[20:21], vcc, s[20:21]
	v_add_u32_e32 v7, 4, v7
	s_waitcnt lgkmcnt(0)
	v_cmp_gt_f32_e32 vcc, v8, v4
	v_cndmask_b32_e32 v4, v4, v8, vcc
	s_andn2_b64 exec, exec, s[20:21]
	s_cbranch_execnz .LBB238_8
; %bb.9:                                ;   in Loop: Header=BB238_6 Depth=1
	s_or_b64 exec, exec, s[20:21]
	s_branch .LBB238_5
.LBB238_10:
	s_or_b64 exec, exec, s[16:17]
	s_cmp_lt_i32 s10, 1
	s_waitcnt lgkmcnt(0)
	s_barrier
	s_cbranch_scc1 .LBB238_13
; %bb.11:
	v_mov_b32_e32 v2, s7
	s_mov_b32 s2, 0xff800000
	v_mov_b32_e32 v3, 0xff800000
.LBB238_12:                             ; =>This Inner Loop Header: Depth=1
	ds_read2_b32 v[4:5], v2 offset1:1
	ds_read2_b32 v[6:7], v2 offset0:2 offset1:3
	s_waitcnt lgkmcnt(1)
	v_cmp_nlg_f32_e32 vcc, s2, v4
	v_cndmask_b32_e64 v8, 0, 1, vcc
	v_cmp_lg_f32_e32 vcc, s2, v4
	v_cndmask_b32_e32 v4, v3, v4, vcc
	v_readfirstlane_b32 s3, v8
	v_cmp_gt_f32_e32 vcc, v5, v4
	s_lshl_b32 s3, s3, 2
	v_cndmask_b32_e32 v4, v4, v5, vcc
	s_and_b64 s[16:17], vcc, exec
	s_waitcnt lgkmcnt(0)
	v_cmp_gt_f32_e32 vcc, v6, v4
	v_cndmask_b32_e32 v4, v4, v6, vcc
	s_cselect_b32 s3, 1, s3
	s_and_b64 s[16:17], vcc, exec
	v_cmp_ngt_f32_e32 vcc, v7, v4
	s_cselect_b32 s3, 2, s3
	s_and_b64 s[16:17], vcc, exec
	s_cselect_b32 s3, s3, 3
	s_lshl_b32 s3, s3, 2
	s_add_i32 s3, s7, s3
	s_add_i32 s10, s10, -1
	v_mov_b32_e32 v4, s3
	s_cmp_lg_u32 s10, 0
	ds_write_b32 v4, v3
	s_cbranch_scc1 .LBB238_12
.LBB238_13:
	s_and_saveexec_b64 s[2:3], s[0:1]
	s_cbranch_execz .LBB238_18
; %bb.14:
	s_abs_i32 s18, s11
	v_cvt_f32_u32_e32 v3, s18
	s_load_dword s16, s[4:5], 0x4c
	s_sub_i32 s17, 0, s18
	s_ashr_i32 s19, s11, 31
	v_rcp_iflag_f32_e32 v4, v3
	v_lshl_add_u32 v2, v0, 2, 0
	s_waitcnt lgkmcnt(0)
	s_and_b32 s21, s16, 0xffff
	s_mov_b64 s[10:11], 0
	v_mul_f32_e32 v4, 0x4f7ffffe, v4
	v_cvt_u32_f32_e32 v4, v4
	s_mov_b32 s20, 0xff800000
	v_mov_b32_e32 v3, 0xff800000
	s_lshl_b32 s22, s21, 2
	v_mul_lo_u32 v5, s17, v4
	v_mul_hi_u32 v5, v4, v5
	v_add_u32_e32 v4, v4, v5
	v_mov_b32_e32 v5, v0
	s_branch .LBB238_16
.LBB238_15:                             ;   in Loop: Header=BB238_16 Depth=1
	s_or_b64 exec, exec, s[16:17]
	v_add_u32_e32 v5, s21, v5
	v_cmp_le_i32_e32 vcc, s8, v5
	s_or_b64 s[10:11], vcc, s[10:11]
	v_add_u32_e32 v2, s22, v2
	s_andn2_b64 exec, exec, s[10:11]
	s_cbranch_execz .LBB238_18
.LBB238_16:                             ; =>This Inner Loop Header: Depth=1
	v_sub_u32_e32 v7, 0, v5
	v_max_i32_e32 v7, v5, v7
	v_mul_hi_u32 v8, v7, v4
	v_mul_lo_u32 v9, v8, s18
	v_sub_u32_e32 v7, v7, v9
	v_add_u32_e32 v9, 1, v8
	v_cmp_le_u32_e32 vcc, s18, v7
	v_cndmask_b32_e32 v8, v8, v9, vcc
	v_subrev_u32_e32 v9, s18, v7
	v_cndmask_b32_e32 v7, v7, v9, vcc
	v_ashrrev_i32_e32 v6, 31, v5
	v_add_u32_e32 v9, 1, v8
	v_cmp_le_u32_e32 vcc, s18, v7
	v_xor_b32_e32 v6, s19, v6
	v_cndmask_b32_e32 v7, v8, v9, vcc
	v_xor_b32_e32 v7, v7, v6
	v_sub_u32_e32 v6, v7, v6
	v_lshl_add_u32 v6, v6, 2, s7
	ds_read_b32 v6, v6
	s_waitcnt lgkmcnt(0)
	v_cmp_neq_f32_e32 vcc, s20, v6
	s_and_saveexec_b64 s[16:17], vcc
	s_cbranch_execz .LBB238_15
; %bb.17:                               ;   in Loop: Header=BB238_16 Depth=1
	ds_write_b32 v2, v3
	s_branch .LBB238_15
.LBB238_18:
	s_or_b64 exec, exec, s[2:3]
	s_cmp_lt_i32 s9, 1
	s_waitcnt lgkmcnt(0)
	s_barrier
	s_cbranch_scc1 .LBB238_25
; %bb.19:
	s_add_u32 s2, s4, 64
	s_addc_u32 s3, s5, 0
	s_mov_b32 s7, 0
	v_mov_b32_e32 v4, 0xff800000
                                        ; implicit-def: $vgpr3
                                        ; implicit-def: $vgpr2
	s_branch .LBB238_21
.LBB238_20:                             ;   in Loop: Header=BB238_21 Depth=1
	s_or_b64 exec, exec, s[10:11]
	v_mov_b32_dpp v8, v6 quad_perm:[1,0,3,2] row_mask:0xf bank_mask:0xf
	v_cmp_lt_f32_e32 vcc, v6, v8
	v_cndmask_b32_e32 v6, v6, v8, vcc
	v_mov_b32_dpp v7, v5 quad_perm:[1,0,3,2] row_mask:0xf bank_mask:0xf
	v_cndmask_b32_e32 v5, v5, v7, vcc
	v_mov_b32_dpp v8, v6 quad_perm:[2,3,0,1] row_mask:0xf bank_mask:0xf
	v_cmp_gt_f32_e32 vcc, v8, v6
	v_cndmask_b32_e32 v6, v6, v8, vcc
	v_mov_b32_dpp v7, v5 quad_perm:[2,3,0,1] row_mask:0xf bank_mask:0xf
	v_cndmask_b32_e32 v5, v5, v7, vcc
	v_mov_b32_dpp v8, v6 row_half_mirror row_mask:0xf bank_mask:0xf
	v_cmp_gt_f32_e32 vcc, v8, v6
	v_cndmask_b32_e32 v6, v6, v8, vcc
	v_mov_b32_dpp v7, v5 row_half_mirror row_mask:0xf bank_mask:0xf
	v_cndmask_b32_e32 v5, v5, v7, vcc
	v_mov_b32_dpp v8, v6 row_mirror row_mask:0xf bank_mask:0xf
	v_cmp_gt_f32_e32 vcc, v8, v6
	v_cndmask_b32_e32 v6, v6, v8, vcc
	v_mov_b32_dpp v7, v5 row_mirror row_mask:0xf bank_mask:0xf
	v_cndmask_b32_e32 v5, v5, v7, vcc
	v_mov_b32_dpp v8, v6 row_bcast:15 row_mask:0xf bank_mask:0xf
	v_cmp_gt_f32_e32 vcc, v8, v6
	v_mov_b32_dpp v7, v5 row_bcast:15 row_mask:0xf bank_mask:0xf
	v_cndmask_b32_e32 v6, v6, v8, vcc
	v_cndmask_b32_e32 v5, v5, v7, vcc
	s_nop 0
	v_mov_b32_dpp v8, v6 row_bcast:31 row_mask:0xf bank_mask:0xf
	v_mov_b32_dpp v7, v5 row_bcast:31 row_mask:0xf bank_mask:0xf
	v_cmp_gt_f32_e32 vcc, v8, v6
	v_cndmask_b32_e32 v5, v5, v7, vcc
	v_readlane_b32 s11, v5, 63
	s_lshl_b32 s16, s11, 2
	s_add_i32 s16, s16, 0
	v_cndmask_b32_e32 v6, v6, v8, vcc
	v_mov_b32_e32 v5, s16
	v_readlane_b32 s10, v6, 63
	ds_write_b32 v5, v4
	v_mov_b32_e32 v5, s11
	v_cmp_eq_u32_e32 vcc, s7, v0
	v_cndmask_b32_e32 v2, v2, v5, vcc
	v_mov_b32_e32 v5, s10
	s_add_i32 s7, s7, 1
	s_cmp_eq_u32 s7, s9
	v_cndmask_b32_e32 v3, v3, v5, vcc
	s_cbranch_scc1 .LBB238_26
.LBB238_21:                             ; =>This Loop Header: Depth=1
                                        ;     Child Loop BB238_23 Depth 2
	v_mov_b32_e32 v5, s7
	v_mov_b32_e32 v6, 0xff800000
	s_and_saveexec_b64 s[10:11], s[0:1]
	s_cbranch_execz .LBB238_20
; %bb.22:                               ;   in Loop: Header=BB238_21 Depth=1
	s_load_dword s18, s[2:3], 0xc
	s_mov_b64 s[16:17], 0
	v_mov_b32_e32 v5, s7
	v_mov_b32_e32 v6, 0xff800000
	;; [unrolled: 1-line block ×3, first 2 shown]
	s_waitcnt lgkmcnt(0)
	s_and_b32 s18, s18, 0xffff
	s_lshl_b32 s19, s18, 2
	v_mov_b32_e32 v8, v0
.LBB238_23:                             ;   Parent Loop BB238_21 Depth=1
                                        ; =>  This Inner Loop Header: Depth=2
	ds_read_b32 v9, v7
	v_add_u32_e32 v7, s19, v7
	s_waitcnt lgkmcnt(0)
	v_cmp_gt_f32_e32 vcc, v9, v6
	v_cndmask_b32_e32 v5, v5, v8, vcc
	v_add_u32_e32 v8, s18, v8
	v_cndmask_b32_e32 v6, v6, v9, vcc
	v_cmp_le_i32_e32 vcc, s8, v8
	s_or_b64 s[16:17], vcc, s[16:17]
	s_andn2_b64 exec, exec, s[16:17]
	s_cbranch_execnz .LBB238_23
; %bb.24:                               ;   in Loop: Header=BB238_21 Depth=1
	s_or_b64 exec, exec, s[16:17]
	s_branch .LBB238_20
.LBB238_25:
                                        ; implicit-def: $vgpr3
                                        ; implicit-def: $vgpr2
.LBB238_26:
	v_cmp_gt_i32_e32 vcc, s9, v0
	s_and_saveexec_b64 s[0:1], vcc
	s_cbranch_execz .LBB238_29
; %bb.27:
	s_load_dword s2, s[4:5], 0x38
	s_load_dwordx2 s[0:1], s[4:5], 0x20
	s_ashr_i32 s3, s6, 31
	s_load_dword s4, s[4:5], 0x4c
	v_mov_b32_e32 v4, s13
	s_waitcnt lgkmcnt(0)
	v_mul_f32_e32 v1, s2, v3
	s_mul_i32 s1, s6, s1
	s_mul_hi_u32 s2, s6, s0
	s_add_i32 s1, s2, s1
	s_mul_i32 s3, s3, s0
	s_add_i32 s5, s1, s3
	s_mul_i32 s2, s6, s0
	s_and_b32 s3, s4, 0xffff
	s_mov_b64 s[0:1], 0
	v_mov_b32_e32 v3, s5
	v_mov_b32_e32 v5, s15
.LBB238_28:                             ; =>This Inner Loop Header: Depth=1
	v_ashrrev_i32_e32 v7, 31, v0
	v_add_co_u32_e32 v6, vcc, s2, v0
	v_addc_co_u32_e32 v7, vcc, v3, v7, vcc
	v_add_u32_e32 v0, s3, v0
	v_cmp_le_i32_e32 vcc, s9, v0
	v_lshlrev_b64 v[6:7], 2, v[6:7]
	s_or_b64 s[0:1], vcc, s[0:1]
	v_add_co_u32_e32 v8, vcc, s12, v6
	v_addc_co_u32_e32 v9, vcc, v4, v7, vcc
	v_add_co_u32_e32 v6, vcc, s14, v6
	v_addc_co_u32_e32 v7, vcc, v5, v7, vcc
	global_store_dword v[8:9], v1, off
	global_store_dword v[6:7], v2, off
	s_andn2_b64 exec, exec, s[0:1]
	s_cbranch_execnz .LBB238_28
.LBB238_29:
	s_endpgm
	.section	.rodata,"a",@progbits
	.p2align	6, 0x0
	.amdhsa_kernel _ZN5aiter19grouped_topk_kernelIfDv1_fLi4ELb0ELb0ELb0EEEvPT_PKS2_PfPimiiiif
		.amdhsa_group_segment_fixed_size 0
		.amdhsa_private_segment_fixed_size 0
		.amdhsa_kernarg_size 320
		.amdhsa_user_sgpr_count 6
		.amdhsa_user_sgpr_private_segment_buffer 1
		.amdhsa_user_sgpr_dispatch_ptr 0
		.amdhsa_user_sgpr_queue_ptr 0
		.amdhsa_user_sgpr_kernarg_segment_ptr 1
		.amdhsa_user_sgpr_dispatch_id 0
		.amdhsa_user_sgpr_flat_scratch_init 0
		.amdhsa_user_sgpr_kernarg_preload_length 0
		.amdhsa_user_sgpr_kernarg_preload_offset 0
		.amdhsa_user_sgpr_private_segment_size 0
		.amdhsa_uses_dynamic_stack 0
		.amdhsa_system_sgpr_private_segment_wavefront_offset 0
		.amdhsa_system_sgpr_workgroup_id_x 1
		.amdhsa_system_sgpr_workgroup_id_y 0
		.amdhsa_system_sgpr_workgroup_id_z 0
		.amdhsa_system_sgpr_workgroup_info 0
		.amdhsa_system_vgpr_workitem_id 0
		.amdhsa_next_free_vgpr 12
		.amdhsa_next_free_sgpr 24
		.amdhsa_accum_offset 12
		.amdhsa_reserve_vcc 1
		.amdhsa_reserve_flat_scratch 0
		.amdhsa_float_round_mode_32 0
		.amdhsa_float_round_mode_16_64 0
		.amdhsa_float_denorm_mode_32 3
		.amdhsa_float_denorm_mode_16_64 3
		.amdhsa_dx10_clamp 1
		.amdhsa_ieee_mode 1
		.amdhsa_fp16_overflow 0
		.amdhsa_tg_split 0
		.amdhsa_exception_fp_ieee_invalid_op 0
		.amdhsa_exception_fp_denorm_src 0
		.amdhsa_exception_fp_ieee_div_zero 0
		.amdhsa_exception_fp_ieee_overflow 0
		.amdhsa_exception_fp_ieee_underflow 0
		.amdhsa_exception_fp_ieee_inexact 0
		.amdhsa_exception_int_div_zero 0
	.end_amdhsa_kernel
	.section	.text._ZN5aiter19grouped_topk_kernelIfDv1_fLi4ELb0ELb0ELb0EEEvPT_PKS2_PfPimiiiif,"axG",@progbits,_ZN5aiter19grouped_topk_kernelIfDv1_fLi4ELb0ELb0ELb0EEEvPT_PKS2_PfPimiiiif,comdat
.Lfunc_end238:
	.size	_ZN5aiter19grouped_topk_kernelIfDv1_fLi4ELb0ELb0ELb0EEEvPT_PKS2_PfPimiiiif, .Lfunc_end238-_ZN5aiter19grouped_topk_kernelIfDv1_fLi4ELb0ELb0ELb0EEEvPT_PKS2_PfPimiiiif
                                        ; -- End function
	.section	.AMDGPU.csdata,"",@progbits
; Kernel info:
; codeLenInByte = 1640
; NumSgprs: 28
; NumVgprs: 12
; NumAgprs: 0
; TotalNumVgprs: 12
; ScratchSize: 0
; MemoryBound: 0
; FloatMode: 240
; IeeeMode: 1
; LDSByteSize: 0 bytes/workgroup (compile time only)
; SGPRBlocks: 3
; VGPRBlocks: 1
; NumSGPRsForWavesPerEU: 28
; NumVGPRsForWavesPerEU: 12
; AccumOffset: 12
; Occupancy: 8
; WaveLimiterHint : 0
; COMPUTE_PGM_RSRC2:SCRATCH_EN: 0
; COMPUTE_PGM_RSRC2:USER_SGPR: 6
; COMPUTE_PGM_RSRC2:TRAP_HANDLER: 0
; COMPUTE_PGM_RSRC2:TGID_X_EN: 1
; COMPUTE_PGM_RSRC2:TGID_Y_EN: 0
; COMPUTE_PGM_RSRC2:TGID_Z_EN: 0
; COMPUTE_PGM_RSRC2:TIDIG_COMP_CNT: 0
; COMPUTE_PGM_RSRC3_GFX90A:ACCUM_OFFSET: 2
; COMPUTE_PGM_RSRC3_GFX90A:TG_SPLIT: 0
	.section	.text._ZN5aiter19grouped_topk_kernelIN3c104HalfEDv1_fLi4ELb0ELb0ELb0EEEvPT_PKS4_PfPimiiiif,"axG",@progbits,_ZN5aiter19grouped_topk_kernelIN3c104HalfEDv1_fLi4ELb0ELb0ELb0EEEvPT_PKS4_PfPimiiiif,comdat
	.protected	_ZN5aiter19grouped_topk_kernelIN3c104HalfEDv1_fLi4ELb0ELb0ELb0EEEvPT_PKS4_PfPimiiiif ; -- Begin function _ZN5aiter19grouped_topk_kernelIN3c104HalfEDv1_fLi4ELb0ELb0ELb0EEEvPT_PKS4_PfPimiiiif
	.globl	_ZN5aiter19grouped_topk_kernelIN3c104HalfEDv1_fLi4ELb0ELb0ELb0EEEvPT_PKS4_PfPimiiiif
	.p2align	8
	.type	_ZN5aiter19grouped_topk_kernelIN3c104HalfEDv1_fLi4ELb0ELb0ELb0EEEvPT_PKS4_PfPimiiiif,@function
_ZN5aiter19grouped_topk_kernelIN3c104HalfEDv1_fLi4ELb0ELb0ELb0EEEvPT_PKS4_PfPimiiiif: ; @_ZN5aiter19grouped_topk_kernelIN3c104HalfEDv1_fLi4ELb0ELb0ELb0EEEvPT_PKS4_PfPimiiiif
; %bb.0:
	s_load_dwordx4 s[8:11], s[4:5], 0x28
	s_load_dwordx4 s[12:15], s[4:5], 0x10
	v_lshl_add_u32 v1, v0, 2, 0
	s_waitcnt lgkmcnt(0)
	v_cmp_gt_i32_e64 s[0:1], s8, v0
	s_and_saveexec_b64 s[2:3], s[0:1]
	s_cbranch_execz .LBB239_3
; %bb.1:
	s_load_dwordx2 s[16:17], s[4:5], 0x0
	s_load_dword s11, s[4:5], 0x4c
	s_mul_i32 s18, s6, s8
	s_ashr_i32 s19, s18, 31
	s_lshl_b64 s[18:19], s[18:19], 1
	s_waitcnt lgkmcnt(0)
	s_add_u32 s7, s16, s18
	s_addc_u32 s19, s17, s19
	s_and_b32 s11, s11, 0xffff
	v_lshl_add_u32 v4, v0, 2, 0
	s_lshl_b32 s18, s11, 2
	s_mov_b64 s[16:17], 0
	v_mov_b32_e32 v5, s19
	s_mov_b32 s19, 0x3fb8aa3b
	s_mov_b32 s20, 0x32a5705f
	;; [unrolled: 1-line block ×4, first 2 shown]
	v_mov_b32_e32 v6, 0x7f800000
	v_mov_b32_e32 v2, v0
.LBB239_2:                              ; =>This Inner Loop Header: Depth=1
	v_ashrrev_i32_e32 v3, 31, v2
	v_lshlrev_b64 v[8:9], 1, v[2:3]
	v_add_co_u32_e32 v8, vcc, s7, v8
	v_addc_co_u32_e32 v9, vcc, v5, v9, vcc
	global_load_ushort v3, v[8:9], off
	v_add_u32_e32 v2, s11, v2
	v_cmp_le_i32_e32 vcc, s8, v2
	s_or_b64 s[16:17], vcc, s[16:17]
	s_waitcnt vmcnt(0)
	v_cvt_f32_f16_e64 v7, -v3
	v_mul_f32_e32 v8, 0x3fb8aa3b, v7
	v_fma_mix_f32 v9, -v3, s19, -v8 op_sel_hi:[1,0,0]
	v_rndne_f32_e32 v10, v8
	v_fma_mix_f32 v3, -v3, s20, v9 op_sel_hi:[1,0,0]
	v_sub_f32_e32 v8, v8, v10
	v_add_f32_e32 v3, v8, v3
	v_cvt_i32_f32_e32 v9, v10
	v_exp_f32_e32 v3, v3
	v_cmp_ngt_f32_e32 vcc, s21, v7
	v_ldexp_f32 v3, v3, v9
	v_cndmask_b32_e32 v3, 0, v3, vcc
	v_cmp_nlt_f32_e32 vcc, s22, v7
	v_cndmask_b32_e32 v3, v6, v3, vcc
	v_add_f32_e32 v3, 1.0, v3
	v_div_scale_f32 v7, s[24:25], v3, v3, 1.0
	v_rcp_f32_e32 v8, v7
	v_div_scale_f32 v9, vcc, 1.0, v3, 1.0
	v_fma_f32 v10, -v7, v8, 1.0
	v_fmac_f32_e32 v8, v10, v8
	v_mul_f32_e32 v10, v9, v8
	v_fma_f32 v11, -v7, v10, v9
	v_fmac_f32_e32 v10, v11, v8
	v_fma_f32 v7, -v7, v10, v9
	v_div_fmas_f32 v7, v7, v8, v10
	v_div_fixup_f32 v3, v7, v3, 1.0
	ds_write_b32 v4, v3
	v_add_u32_e32 v4, s18, v4
	s_andn2_b64 exec, exec, s[16:17]
	s_cbranch_execnz .LBB239_2
.LBB239_3:
	s_or_b64 exec, exec, s[2:3]
	s_ashr_i32 s2, s8, 31
	s_lshr_b32 s2, s2, 30
	s_add_i32 s2, s8, s2
	s_ashr_i32 s11, s2, 2
	s_lshl_b32 s2, s8, 2
	s_add_i32 s7, s2, 0
	v_cmp_gt_u32_e32 vcc, 4, v0
	s_waitcnt lgkmcnt(0)
	s_barrier
	s_and_saveexec_b64 s[16:17], vcc
	s_cbranch_execz .LBB239_10
; %bb.4:
	s_load_dword s2, s[4:5], 0x4c
	v_mul_lo_u32 v2, v0, s11
	v_lshl_add_u32 v2, v2, 2, 0
	s_waitcnt lgkmcnt(0)
	s_and_b32 s22, s2, 0xffff
	s_cmp_gt_i32 s8, 3
	s_cselect_b64 s[2:3], -1, 0
	s_mul_i32 s18, s11, s22
	v_cndmask_b32_e64 v3, 0, 1, s[2:3]
	s_lshl_b32 s23, s18, 2
	s_mov_b64 s[18:19], 0
	v_cmp_ne_u32_e64 s[2:3], 1, v3
	v_mov_b32_e32 v3, v0
	s_branch .LBB239_6
.LBB239_5:                              ;   in Loop: Header=BB239_6 Depth=1
	v_lshl_add_u32 v5, v3, 2, s7
	v_add_u32_e32 v3, s22, v3
	v_cmp_lt_u32_e32 vcc, 3, v3
	s_or_b64 s[18:19], vcc, s[18:19]
	v_add_u32_e32 v2, s23, v2
	ds_write_b32 v5, v4
	s_andn2_b64 exec, exec, s[18:19]
	s_cbranch_execz .LBB239_10
.LBB239_6:                              ; =>This Loop Header: Depth=1
                                        ;     Child Loop BB239_8 Depth 2
	s_and_b64 vcc, exec, s[2:3]
	v_mov_b32_e32 v4, 0xff800000
	s_cbranch_vccnz .LBB239_5
; %bb.7:                                ;   in Loop: Header=BB239_6 Depth=1
	v_mul_lo_u32 v5, v3, s11
	v_add_u32_e32 v6, s11, v5
	s_mov_b64 s[20:21], 0
	v_mov_b32_e32 v4, 0xff800000
	v_mov_b32_e32 v7, v2
.LBB239_8:                              ;   Parent Loop BB239_6 Depth=1
                                        ; =>  This Inner Loop Header: Depth=2
	ds_read_b32 v8, v7
	v_add_u32_e32 v5, 1, v5
	v_cmp_ge_i32_e32 vcc, v5, v6
	s_or_b64 s[20:21], vcc, s[20:21]
	v_add_u32_e32 v7, 4, v7
	s_waitcnt lgkmcnt(0)
	v_cmp_gt_f32_e32 vcc, v8, v4
	v_cndmask_b32_e32 v4, v4, v8, vcc
	s_andn2_b64 exec, exec, s[20:21]
	s_cbranch_execnz .LBB239_8
; %bb.9:                                ;   in Loop: Header=BB239_6 Depth=1
	s_or_b64 exec, exec, s[20:21]
	s_branch .LBB239_5
.LBB239_10:
	s_or_b64 exec, exec, s[16:17]
	s_cmp_lt_i32 s10, 1
	s_waitcnt lgkmcnt(0)
	s_barrier
	s_cbranch_scc1 .LBB239_13
; %bb.11:
	v_mov_b32_e32 v2, s7
	s_mov_b32 s2, 0xff800000
	v_mov_b32_e32 v3, 0xff800000
.LBB239_12:                             ; =>This Inner Loop Header: Depth=1
	ds_read2_b32 v[4:5], v2 offset1:1
	ds_read2_b32 v[6:7], v2 offset0:2 offset1:3
	s_waitcnt lgkmcnt(1)
	v_cmp_nlg_f32_e32 vcc, s2, v4
	v_cndmask_b32_e64 v8, 0, 1, vcc
	v_cmp_lg_f32_e32 vcc, s2, v4
	v_cndmask_b32_e32 v4, v3, v4, vcc
	v_readfirstlane_b32 s3, v8
	v_cmp_gt_f32_e32 vcc, v5, v4
	s_lshl_b32 s3, s3, 2
	v_cndmask_b32_e32 v4, v4, v5, vcc
	s_and_b64 s[16:17], vcc, exec
	s_waitcnt lgkmcnt(0)
	v_cmp_gt_f32_e32 vcc, v6, v4
	v_cndmask_b32_e32 v4, v4, v6, vcc
	s_cselect_b32 s3, 1, s3
	s_and_b64 s[16:17], vcc, exec
	v_cmp_ngt_f32_e32 vcc, v7, v4
	s_cselect_b32 s3, 2, s3
	s_and_b64 s[16:17], vcc, exec
	s_cselect_b32 s3, s3, 3
	s_lshl_b32 s3, s3, 2
	s_add_i32 s3, s7, s3
	s_add_i32 s10, s10, -1
	v_mov_b32_e32 v4, s3
	s_cmp_lg_u32 s10, 0
	ds_write_b32 v4, v3
	s_cbranch_scc1 .LBB239_12
.LBB239_13:
	s_and_saveexec_b64 s[2:3], s[0:1]
	s_cbranch_execz .LBB239_18
; %bb.14:
	s_abs_i32 s18, s11
	v_cvt_f32_u32_e32 v3, s18
	s_load_dword s16, s[4:5], 0x4c
	s_sub_i32 s17, 0, s18
	s_ashr_i32 s19, s11, 31
	v_rcp_iflag_f32_e32 v4, v3
	v_lshl_add_u32 v2, v0, 2, 0
	s_waitcnt lgkmcnt(0)
	s_and_b32 s21, s16, 0xffff
	s_mov_b64 s[10:11], 0
	v_mul_f32_e32 v4, 0x4f7ffffe, v4
	v_cvt_u32_f32_e32 v4, v4
	s_mov_b32 s20, 0xff800000
	v_mov_b32_e32 v3, 0xff800000
	s_lshl_b32 s22, s21, 2
	v_mul_lo_u32 v5, s17, v4
	v_mul_hi_u32 v5, v4, v5
	v_add_u32_e32 v4, v4, v5
	v_mov_b32_e32 v5, v0
	s_branch .LBB239_16
.LBB239_15:                             ;   in Loop: Header=BB239_16 Depth=1
	s_or_b64 exec, exec, s[16:17]
	v_add_u32_e32 v5, s21, v5
	v_cmp_le_i32_e32 vcc, s8, v5
	s_or_b64 s[10:11], vcc, s[10:11]
	v_add_u32_e32 v2, s22, v2
	s_andn2_b64 exec, exec, s[10:11]
	s_cbranch_execz .LBB239_18
.LBB239_16:                             ; =>This Inner Loop Header: Depth=1
	v_sub_u32_e32 v7, 0, v5
	v_max_i32_e32 v7, v5, v7
	v_mul_hi_u32 v8, v7, v4
	v_mul_lo_u32 v9, v8, s18
	v_sub_u32_e32 v7, v7, v9
	v_add_u32_e32 v9, 1, v8
	v_cmp_le_u32_e32 vcc, s18, v7
	v_cndmask_b32_e32 v8, v8, v9, vcc
	v_subrev_u32_e32 v9, s18, v7
	v_cndmask_b32_e32 v7, v7, v9, vcc
	v_ashrrev_i32_e32 v6, 31, v5
	v_add_u32_e32 v9, 1, v8
	v_cmp_le_u32_e32 vcc, s18, v7
	v_xor_b32_e32 v6, s19, v6
	v_cndmask_b32_e32 v7, v8, v9, vcc
	v_xor_b32_e32 v7, v7, v6
	v_sub_u32_e32 v6, v7, v6
	v_lshl_add_u32 v6, v6, 2, s7
	ds_read_b32 v6, v6
	s_waitcnt lgkmcnt(0)
	v_cmp_neq_f32_e32 vcc, s20, v6
	s_and_saveexec_b64 s[16:17], vcc
	s_cbranch_execz .LBB239_15
; %bb.17:                               ;   in Loop: Header=BB239_16 Depth=1
	ds_write_b32 v2, v3
	s_branch .LBB239_15
.LBB239_18:
	s_or_b64 exec, exec, s[2:3]
	s_cmp_lt_i32 s9, 1
	s_waitcnt lgkmcnt(0)
	s_barrier
	s_cbranch_scc1 .LBB239_25
; %bb.19:
	s_add_u32 s2, s4, 64
	s_addc_u32 s3, s5, 0
	s_mov_b32 s7, 0
	v_mov_b32_e32 v4, 0xff800000
                                        ; implicit-def: $vgpr3
                                        ; implicit-def: $vgpr2
	s_branch .LBB239_21
.LBB239_20:                             ;   in Loop: Header=BB239_21 Depth=1
	s_or_b64 exec, exec, s[10:11]
	v_mov_b32_dpp v8, v6 quad_perm:[1,0,3,2] row_mask:0xf bank_mask:0xf
	v_cmp_lt_f32_e32 vcc, v6, v8
	v_cndmask_b32_e32 v6, v6, v8, vcc
	v_mov_b32_dpp v7, v5 quad_perm:[1,0,3,2] row_mask:0xf bank_mask:0xf
	v_cndmask_b32_e32 v5, v5, v7, vcc
	v_mov_b32_dpp v8, v6 quad_perm:[2,3,0,1] row_mask:0xf bank_mask:0xf
	v_cmp_gt_f32_e32 vcc, v8, v6
	v_cndmask_b32_e32 v6, v6, v8, vcc
	v_mov_b32_dpp v7, v5 quad_perm:[2,3,0,1] row_mask:0xf bank_mask:0xf
	v_cndmask_b32_e32 v5, v5, v7, vcc
	v_mov_b32_dpp v8, v6 row_half_mirror row_mask:0xf bank_mask:0xf
	v_cmp_gt_f32_e32 vcc, v8, v6
	v_cndmask_b32_e32 v6, v6, v8, vcc
	v_mov_b32_dpp v7, v5 row_half_mirror row_mask:0xf bank_mask:0xf
	v_cndmask_b32_e32 v5, v5, v7, vcc
	v_mov_b32_dpp v8, v6 row_mirror row_mask:0xf bank_mask:0xf
	v_cmp_gt_f32_e32 vcc, v8, v6
	v_cndmask_b32_e32 v6, v6, v8, vcc
	v_mov_b32_dpp v7, v5 row_mirror row_mask:0xf bank_mask:0xf
	v_cndmask_b32_e32 v5, v5, v7, vcc
	v_mov_b32_dpp v8, v6 row_bcast:15 row_mask:0xf bank_mask:0xf
	v_cmp_gt_f32_e32 vcc, v8, v6
	v_mov_b32_dpp v7, v5 row_bcast:15 row_mask:0xf bank_mask:0xf
	v_cndmask_b32_e32 v6, v6, v8, vcc
	v_cndmask_b32_e32 v5, v5, v7, vcc
	s_nop 0
	v_mov_b32_dpp v8, v6 row_bcast:31 row_mask:0xf bank_mask:0xf
	v_mov_b32_dpp v7, v5 row_bcast:31 row_mask:0xf bank_mask:0xf
	v_cmp_gt_f32_e32 vcc, v8, v6
	v_cndmask_b32_e32 v5, v5, v7, vcc
	v_readlane_b32 s11, v5, 63
	s_lshl_b32 s16, s11, 2
	s_add_i32 s16, s16, 0
	v_cndmask_b32_e32 v6, v6, v8, vcc
	v_mov_b32_e32 v5, s16
	v_readlane_b32 s10, v6, 63
	ds_write_b32 v5, v4
	v_mov_b32_e32 v5, s11
	v_cmp_eq_u32_e32 vcc, s7, v0
	v_cndmask_b32_e32 v2, v2, v5, vcc
	v_mov_b32_e32 v5, s10
	s_add_i32 s7, s7, 1
	s_cmp_eq_u32 s7, s9
	v_cndmask_b32_e32 v3, v3, v5, vcc
	s_cbranch_scc1 .LBB239_26
.LBB239_21:                             ; =>This Loop Header: Depth=1
                                        ;     Child Loop BB239_23 Depth 2
	v_mov_b32_e32 v5, s7
	v_mov_b32_e32 v6, 0xff800000
	s_and_saveexec_b64 s[10:11], s[0:1]
	s_cbranch_execz .LBB239_20
; %bb.22:                               ;   in Loop: Header=BB239_21 Depth=1
	s_load_dword s18, s[2:3], 0xc
	s_mov_b64 s[16:17], 0
	v_mov_b32_e32 v5, s7
	v_mov_b32_e32 v6, 0xff800000
	;; [unrolled: 1-line block ×3, first 2 shown]
	s_waitcnt lgkmcnt(0)
	s_and_b32 s18, s18, 0xffff
	s_lshl_b32 s19, s18, 2
	v_mov_b32_e32 v8, v0
.LBB239_23:                             ;   Parent Loop BB239_21 Depth=1
                                        ; =>  This Inner Loop Header: Depth=2
	ds_read_b32 v9, v7
	v_add_u32_e32 v7, s19, v7
	s_waitcnt lgkmcnt(0)
	v_cmp_gt_f32_e32 vcc, v9, v6
	v_cndmask_b32_e32 v5, v5, v8, vcc
	v_add_u32_e32 v8, s18, v8
	v_cndmask_b32_e32 v6, v6, v9, vcc
	v_cmp_le_i32_e32 vcc, s8, v8
	s_or_b64 s[16:17], vcc, s[16:17]
	s_andn2_b64 exec, exec, s[16:17]
	s_cbranch_execnz .LBB239_23
; %bb.24:                               ;   in Loop: Header=BB239_21 Depth=1
	s_or_b64 exec, exec, s[16:17]
	s_branch .LBB239_20
.LBB239_25:
                                        ; implicit-def: $vgpr3
                                        ; implicit-def: $vgpr2
.LBB239_26:
	v_cmp_gt_i32_e32 vcc, s9, v0
	s_and_saveexec_b64 s[0:1], vcc
	s_cbranch_execz .LBB239_29
; %bb.27:
	s_load_dword s2, s[4:5], 0x38
	s_load_dwordx2 s[0:1], s[4:5], 0x20
	s_ashr_i32 s3, s6, 31
	s_load_dword s4, s[4:5], 0x4c
	v_mov_b32_e32 v4, s13
	s_waitcnt lgkmcnt(0)
	v_mul_f32_e32 v1, s2, v3
	s_mul_i32 s1, s6, s1
	s_mul_hi_u32 s2, s6, s0
	s_add_i32 s1, s2, s1
	s_mul_i32 s3, s3, s0
	s_add_i32 s5, s1, s3
	s_mul_i32 s2, s6, s0
	s_and_b32 s3, s4, 0xffff
	s_mov_b64 s[0:1], 0
	v_mov_b32_e32 v3, s5
	v_mov_b32_e32 v5, s15
.LBB239_28:                             ; =>This Inner Loop Header: Depth=1
	v_ashrrev_i32_e32 v7, 31, v0
	v_add_co_u32_e32 v6, vcc, s2, v0
	v_addc_co_u32_e32 v7, vcc, v3, v7, vcc
	v_add_u32_e32 v0, s3, v0
	v_cmp_le_i32_e32 vcc, s9, v0
	v_lshlrev_b64 v[6:7], 2, v[6:7]
	s_or_b64 s[0:1], vcc, s[0:1]
	v_add_co_u32_e32 v8, vcc, s12, v6
	v_addc_co_u32_e32 v9, vcc, v4, v7, vcc
	v_add_co_u32_e32 v6, vcc, s14, v6
	v_addc_co_u32_e32 v7, vcc, v5, v7, vcc
	global_store_dword v[8:9], v1, off
	global_store_dword v[6:7], v2, off
	s_andn2_b64 exec, exec, s[0:1]
	s_cbranch_execnz .LBB239_28
.LBB239_29:
	s_endpgm
	.section	.rodata,"a",@progbits
	.p2align	6, 0x0
	.amdhsa_kernel _ZN5aiter19grouped_topk_kernelIN3c104HalfEDv1_fLi4ELb0ELb0ELb0EEEvPT_PKS4_PfPimiiiif
		.amdhsa_group_segment_fixed_size 0
		.amdhsa_private_segment_fixed_size 0
		.amdhsa_kernarg_size 320
		.amdhsa_user_sgpr_count 6
		.amdhsa_user_sgpr_private_segment_buffer 1
		.amdhsa_user_sgpr_dispatch_ptr 0
		.amdhsa_user_sgpr_queue_ptr 0
		.amdhsa_user_sgpr_kernarg_segment_ptr 1
		.amdhsa_user_sgpr_dispatch_id 0
		.amdhsa_user_sgpr_flat_scratch_init 0
		.amdhsa_user_sgpr_kernarg_preload_length 0
		.amdhsa_user_sgpr_kernarg_preload_offset 0
		.amdhsa_user_sgpr_private_segment_size 0
		.amdhsa_uses_dynamic_stack 0
		.amdhsa_system_sgpr_private_segment_wavefront_offset 0
		.amdhsa_system_sgpr_workgroup_id_x 1
		.amdhsa_system_sgpr_workgroup_id_y 0
		.amdhsa_system_sgpr_workgroup_id_z 0
		.amdhsa_system_sgpr_workgroup_info 0
		.amdhsa_system_vgpr_workitem_id 0
		.amdhsa_next_free_vgpr 12
		.amdhsa_next_free_sgpr 26
		.amdhsa_accum_offset 12
		.amdhsa_reserve_vcc 1
		.amdhsa_reserve_flat_scratch 0
		.amdhsa_float_round_mode_32 0
		.amdhsa_float_round_mode_16_64 0
		.amdhsa_float_denorm_mode_32 3
		.amdhsa_float_denorm_mode_16_64 3
		.amdhsa_dx10_clamp 1
		.amdhsa_ieee_mode 1
		.amdhsa_fp16_overflow 0
		.amdhsa_tg_split 0
		.amdhsa_exception_fp_ieee_invalid_op 0
		.amdhsa_exception_fp_denorm_src 0
		.amdhsa_exception_fp_ieee_div_zero 0
		.amdhsa_exception_fp_ieee_overflow 0
		.amdhsa_exception_fp_ieee_underflow 0
		.amdhsa_exception_fp_ieee_inexact 0
		.amdhsa_exception_int_div_zero 0
	.end_amdhsa_kernel
	.section	.text._ZN5aiter19grouped_topk_kernelIN3c104HalfEDv1_fLi4ELb0ELb0ELb0EEEvPT_PKS4_PfPimiiiif,"axG",@progbits,_ZN5aiter19grouped_topk_kernelIN3c104HalfEDv1_fLi4ELb0ELb0ELb0EEEvPT_PKS4_PfPimiiiif,comdat
.Lfunc_end239:
	.size	_ZN5aiter19grouped_topk_kernelIN3c104HalfEDv1_fLi4ELb0ELb0ELb0EEEvPT_PKS4_PfPimiiiif, .Lfunc_end239-_ZN5aiter19grouped_topk_kernelIN3c104HalfEDv1_fLi4ELb0ELb0ELb0EEEvPT_PKS4_PfPimiiiif
                                        ; -- End function
	.section	.AMDGPU.csdata,"",@progbits
; Kernel info:
; codeLenInByte = 1656
; NumSgprs: 30
; NumVgprs: 12
; NumAgprs: 0
; TotalNumVgprs: 12
; ScratchSize: 0
; MemoryBound: 0
; FloatMode: 240
; IeeeMode: 1
; LDSByteSize: 0 bytes/workgroup (compile time only)
; SGPRBlocks: 3
; VGPRBlocks: 1
; NumSGPRsForWavesPerEU: 30
; NumVGPRsForWavesPerEU: 12
; AccumOffset: 12
; Occupancy: 8
; WaveLimiterHint : 0
; COMPUTE_PGM_RSRC2:SCRATCH_EN: 0
; COMPUTE_PGM_RSRC2:USER_SGPR: 6
; COMPUTE_PGM_RSRC2:TRAP_HANDLER: 0
; COMPUTE_PGM_RSRC2:TGID_X_EN: 1
; COMPUTE_PGM_RSRC2:TGID_Y_EN: 0
; COMPUTE_PGM_RSRC2:TGID_Z_EN: 0
; COMPUTE_PGM_RSRC2:TIDIG_COMP_CNT: 0
; COMPUTE_PGM_RSRC3_GFX90A:ACCUM_OFFSET: 2
; COMPUTE_PGM_RSRC3_GFX90A:TG_SPLIT: 0
	.section	.text._ZN5aiter19grouped_topk_kernelIN3c108BFloat16EDv1_fLi4ELb0ELb0ELb0EEEvPT_PKS4_PfPimiiiif,"axG",@progbits,_ZN5aiter19grouped_topk_kernelIN3c108BFloat16EDv1_fLi4ELb0ELb0ELb0EEEvPT_PKS4_PfPimiiiif,comdat
	.protected	_ZN5aiter19grouped_topk_kernelIN3c108BFloat16EDv1_fLi4ELb0ELb0ELb0EEEvPT_PKS4_PfPimiiiif ; -- Begin function _ZN5aiter19grouped_topk_kernelIN3c108BFloat16EDv1_fLi4ELb0ELb0ELb0EEEvPT_PKS4_PfPimiiiif
	.globl	_ZN5aiter19grouped_topk_kernelIN3c108BFloat16EDv1_fLi4ELb0ELb0ELb0EEEvPT_PKS4_PfPimiiiif
	.p2align	8
	.type	_ZN5aiter19grouped_topk_kernelIN3c108BFloat16EDv1_fLi4ELb0ELb0ELb0EEEvPT_PKS4_PfPimiiiif,@function
_ZN5aiter19grouped_topk_kernelIN3c108BFloat16EDv1_fLi4ELb0ELb0ELb0EEEvPT_PKS4_PfPimiiiif: ; @_ZN5aiter19grouped_topk_kernelIN3c108BFloat16EDv1_fLi4ELb0ELb0ELb0EEEvPT_PKS4_PfPimiiiif
; %bb.0:
	s_load_dwordx4 s[8:11], s[4:5], 0x28
	s_load_dwordx4 s[12:15], s[4:5], 0x10
	v_lshl_add_u32 v1, v0, 2, 0
	s_waitcnt lgkmcnt(0)
	v_cmp_gt_i32_e64 s[0:1], s8, v0
	s_and_saveexec_b64 s[2:3], s[0:1]
	s_cbranch_execz .LBB240_3
; %bb.1:
	s_load_dwordx2 s[16:17], s[4:5], 0x0
	s_load_dword s11, s[4:5], 0x4c
	s_mul_i32 s18, s6, s8
	s_ashr_i32 s19, s18, 31
	s_lshl_b64 s[18:19], s[18:19], 1
	s_waitcnt lgkmcnt(0)
	s_add_u32 s7, s16, s18
	s_addc_u32 s19, s17, s19
	s_and_b32 s11, s11, 0xffff
	v_lshl_add_u32 v4, v0, 2, 0
	s_lshl_b32 s18, s11, 2
	s_mov_b64 s[16:17], 0
	v_mov_b32_e32 v5, s19
	s_mov_b32 s19, 0xbfb8aa3b
	s_mov_b32 s20, 0x42ce8ed0
	;; [unrolled: 1-line block ×3, first 2 shown]
	v_mov_b32_e32 v6, 0x7f800000
	v_mov_b32_e32 v2, v0
.LBB240_2:                              ; =>This Inner Loop Header: Depth=1
	v_ashrrev_i32_e32 v3, 31, v2
	v_lshlrev_b64 v[8:9], 1, v[2:3]
	v_add_co_u32_e32 v8, vcc, s7, v8
	v_addc_co_u32_e32 v9, vcc, v5, v9, vcc
	global_load_ushort v3, v[8:9], off
	v_add_u32_e32 v2, s11, v2
	v_cmp_le_i32_e32 vcc, s8, v2
	s_or_b64 s[16:17], vcc, s[16:17]
	s_waitcnt vmcnt(0)
	v_cvt_f32_u32_e32 v3, v3
	v_mul_f32_e32 v7, 0xbfb8aa3b, v3
	v_fma_f32 v8, v3, s19, -v7
	v_rndne_f32_e32 v9, v7
	v_fmac_f32_e32 v8, 0xb2a5705f, v3
	v_sub_f32_e32 v7, v7, v9
	v_add_f32_e32 v7, v7, v8
	v_cvt_i32_f32_e32 v9, v9
	v_exp_f32_e32 v7, v7
	v_cmp_nlt_f32_e32 vcc, s20, v3
	v_ldexp_f32 v7, v7, v9
	v_cndmask_b32_e32 v7, 0, v7, vcc
	v_cmp_ngt_f32_e32 vcc, s21, v3
	v_cndmask_b32_e32 v3, v6, v7, vcc
	v_add_f32_e32 v3, 1.0, v3
	v_div_scale_f32 v7, s[22:23], v3, v3, 1.0
	v_rcp_f32_e32 v8, v7
	v_div_scale_f32 v9, vcc, 1.0, v3, 1.0
	v_fma_f32 v10, -v7, v8, 1.0
	v_fmac_f32_e32 v8, v10, v8
	v_mul_f32_e32 v10, v9, v8
	v_fma_f32 v11, -v7, v10, v9
	v_fmac_f32_e32 v10, v11, v8
	v_fma_f32 v7, -v7, v10, v9
	v_div_fmas_f32 v7, v7, v8, v10
	v_div_fixup_f32 v3, v7, v3, 1.0
	ds_write_b32 v4, v3
	v_add_u32_e32 v4, s18, v4
	s_andn2_b64 exec, exec, s[16:17]
	s_cbranch_execnz .LBB240_2
.LBB240_3:
	s_or_b64 exec, exec, s[2:3]
	s_ashr_i32 s2, s8, 31
	s_lshr_b32 s2, s2, 30
	s_add_i32 s2, s8, s2
	s_ashr_i32 s11, s2, 2
	s_lshl_b32 s2, s8, 2
	s_add_i32 s7, s2, 0
	v_cmp_gt_u32_e32 vcc, 4, v0
	s_waitcnt lgkmcnt(0)
	s_barrier
	s_and_saveexec_b64 s[16:17], vcc
	s_cbranch_execz .LBB240_10
; %bb.4:
	s_load_dword s2, s[4:5], 0x4c
	v_mul_lo_u32 v2, v0, s11
	v_lshl_add_u32 v2, v2, 2, 0
	s_waitcnt lgkmcnt(0)
	s_and_b32 s22, s2, 0xffff
	s_cmp_gt_i32 s8, 3
	s_cselect_b64 s[2:3], -1, 0
	s_mul_i32 s18, s11, s22
	v_cndmask_b32_e64 v3, 0, 1, s[2:3]
	s_lshl_b32 s23, s18, 2
	s_mov_b64 s[18:19], 0
	v_cmp_ne_u32_e64 s[2:3], 1, v3
	v_mov_b32_e32 v3, v0
	s_branch .LBB240_6
.LBB240_5:                              ;   in Loop: Header=BB240_6 Depth=1
	v_lshl_add_u32 v5, v3, 2, s7
	v_add_u32_e32 v3, s22, v3
	v_cmp_lt_u32_e32 vcc, 3, v3
	s_or_b64 s[18:19], vcc, s[18:19]
	v_add_u32_e32 v2, s23, v2
	ds_write_b32 v5, v4
	s_andn2_b64 exec, exec, s[18:19]
	s_cbranch_execz .LBB240_10
.LBB240_6:                              ; =>This Loop Header: Depth=1
                                        ;     Child Loop BB240_8 Depth 2
	s_and_b64 vcc, exec, s[2:3]
	v_mov_b32_e32 v4, 0xff800000
	s_cbranch_vccnz .LBB240_5
; %bb.7:                                ;   in Loop: Header=BB240_6 Depth=1
	v_mul_lo_u32 v5, v3, s11
	v_add_u32_e32 v6, s11, v5
	s_mov_b64 s[20:21], 0
	v_mov_b32_e32 v4, 0xff800000
	v_mov_b32_e32 v7, v2
.LBB240_8:                              ;   Parent Loop BB240_6 Depth=1
                                        ; =>  This Inner Loop Header: Depth=2
	ds_read_b32 v8, v7
	v_add_u32_e32 v5, 1, v5
	v_cmp_ge_i32_e32 vcc, v5, v6
	s_or_b64 s[20:21], vcc, s[20:21]
	v_add_u32_e32 v7, 4, v7
	s_waitcnt lgkmcnt(0)
	v_cmp_gt_f32_e32 vcc, v8, v4
	v_cndmask_b32_e32 v4, v4, v8, vcc
	s_andn2_b64 exec, exec, s[20:21]
	s_cbranch_execnz .LBB240_8
; %bb.9:                                ;   in Loop: Header=BB240_6 Depth=1
	s_or_b64 exec, exec, s[20:21]
	s_branch .LBB240_5
.LBB240_10:
	s_or_b64 exec, exec, s[16:17]
	s_cmp_lt_i32 s10, 1
	s_waitcnt lgkmcnt(0)
	s_barrier
	s_cbranch_scc1 .LBB240_13
; %bb.11:
	v_mov_b32_e32 v2, s7
	s_mov_b32 s2, 0xff800000
	v_mov_b32_e32 v3, 0xff800000
.LBB240_12:                             ; =>This Inner Loop Header: Depth=1
	ds_read2_b32 v[4:5], v2 offset1:1
	ds_read2_b32 v[6:7], v2 offset0:2 offset1:3
	s_waitcnt lgkmcnt(1)
	v_cmp_nlg_f32_e32 vcc, s2, v4
	v_cndmask_b32_e64 v8, 0, 1, vcc
	v_cmp_lg_f32_e32 vcc, s2, v4
	v_cndmask_b32_e32 v4, v3, v4, vcc
	v_readfirstlane_b32 s3, v8
	v_cmp_gt_f32_e32 vcc, v5, v4
	s_lshl_b32 s3, s3, 2
	v_cndmask_b32_e32 v4, v4, v5, vcc
	s_and_b64 s[16:17], vcc, exec
	s_waitcnt lgkmcnt(0)
	v_cmp_gt_f32_e32 vcc, v6, v4
	v_cndmask_b32_e32 v4, v4, v6, vcc
	s_cselect_b32 s3, 1, s3
	s_and_b64 s[16:17], vcc, exec
	v_cmp_ngt_f32_e32 vcc, v7, v4
	s_cselect_b32 s3, 2, s3
	s_and_b64 s[16:17], vcc, exec
	s_cselect_b32 s3, s3, 3
	s_lshl_b32 s3, s3, 2
	s_add_i32 s3, s7, s3
	s_add_i32 s10, s10, -1
	v_mov_b32_e32 v4, s3
	s_cmp_lg_u32 s10, 0
	ds_write_b32 v4, v3
	s_cbranch_scc1 .LBB240_12
.LBB240_13:
	s_and_saveexec_b64 s[2:3], s[0:1]
	s_cbranch_execz .LBB240_18
; %bb.14:
	s_abs_i32 s18, s11
	v_cvt_f32_u32_e32 v3, s18
	s_load_dword s16, s[4:5], 0x4c
	s_sub_i32 s17, 0, s18
	s_ashr_i32 s19, s11, 31
	v_rcp_iflag_f32_e32 v4, v3
	v_lshl_add_u32 v2, v0, 2, 0
	s_waitcnt lgkmcnt(0)
	s_and_b32 s21, s16, 0xffff
	s_mov_b64 s[10:11], 0
	v_mul_f32_e32 v4, 0x4f7ffffe, v4
	v_cvt_u32_f32_e32 v4, v4
	s_mov_b32 s20, 0xff800000
	v_mov_b32_e32 v3, 0xff800000
	s_lshl_b32 s22, s21, 2
	v_mul_lo_u32 v5, s17, v4
	v_mul_hi_u32 v5, v4, v5
	v_add_u32_e32 v4, v4, v5
	v_mov_b32_e32 v5, v0
	s_branch .LBB240_16
.LBB240_15:                             ;   in Loop: Header=BB240_16 Depth=1
	s_or_b64 exec, exec, s[16:17]
	v_add_u32_e32 v5, s21, v5
	v_cmp_le_i32_e32 vcc, s8, v5
	s_or_b64 s[10:11], vcc, s[10:11]
	v_add_u32_e32 v2, s22, v2
	s_andn2_b64 exec, exec, s[10:11]
	s_cbranch_execz .LBB240_18
.LBB240_16:                             ; =>This Inner Loop Header: Depth=1
	v_sub_u32_e32 v7, 0, v5
	v_max_i32_e32 v7, v5, v7
	v_mul_hi_u32 v8, v7, v4
	v_mul_lo_u32 v9, v8, s18
	v_sub_u32_e32 v7, v7, v9
	v_add_u32_e32 v9, 1, v8
	v_cmp_le_u32_e32 vcc, s18, v7
	v_cndmask_b32_e32 v8, v8, v9, vcc
	v_subrev_u32_e32 v9, s18, v7
	v_cndmask_b32_e32 v7, v7, v9, vcc
	v_ashrrev_i32_e32 v6, 31, v5
	v_add_u32_e32 v9, 1, v8
	v_cmp_le_u32_e32 vcc, s18, v7
	v_xor_b32_e32 v6, s19, v6
	v_cndmask_b32_e32 v7, v8, v9, vcc
	v_xor_b32_e32 v7, v7, v6
	v_sub_u32_e32 v6, v7, v6
	v_lshl_add_u32 v6, v6, 2, s7
	ds_read_b32 v6, v6
	s_waitcnt lgkmcnt(0)
	v_cmp_neq_f32_e32 vcc, s20, v6
	s_and_saveexec_b64 s[16:17], vcc
	s_cbranch_execz .LBB240_15
; %bb.17:                               ;   in Loop: Header=BB240_16 Depth=1
	ds_write_b32 v2, v3
	s_branch .LBB240_15
.LBB240_18:
	s_or_b64 exec, exec, s[2:3]
	s_cmp_lt_i32 s9, 1
	s_waitcnt lgkmcnt(0)
	s_barrier
	s_cbranch_scc1 .LBB240_25
; %bb.19:
	s_add_u32 s2, s4, 64
	s_addc_u32 s3, s5, 0
	s_mov_b32 s7, 0
	v_mov_b32_e32 v4, 0xff800000
                                        ; implicit-def: $vgpr3
                                        ; implicit-def: $vgpr2
	s_branch .LBB240_21
.LBB240_20:                             ;   in Loop: Header=BB240_21 Depth=1
	s_or_b64 exec, exec, s[10:11]
	v_mov_b32_dpp v8, v6 quad_perm:[1,0,3,2] row_mask:0xf bank_mask:0xf
	v_cmp_lt_f32_e32 vcc, v6, v8
	v_cndmask_b32_e32 v6, v6, v8, vcc
	v_mov_b32_dpp v7, v5 quad_perm:[1,0,3,2] row_mask:0xf bank_mask:0xf
	v_cndmask_b32_e32 v5, v5, v7, vcc
	v_mov_b32_dpp v8, v6 quad_perm:[2,3,0,1] row_mask:0xf bank_mask:0xf
	v_cmp_gt_f32_e32 vcc, v8, v6
	v_cndmask_b32_e32 v6, v6, v8, vcc
	v_mov_b32_dpp v7, v5 quad_perm:[2,3,0,1] row_mask:0xf bank_mask:0xf
	v_cndmask_b32_e32 v5, v5, v7, vcc
	v_mov_b32_dpp v8, v6 row_half_mirror row_mask:0xf bank_mask:0xf
	v_cmp_gt_f32_e32 vcc, v8, v6
	v_cndmask_b32_e32 v6, v6, v8, vcc
	v_mov_b32_dpp v7, v5 row_half_mirror row_mask:0xf bank_mask:0xf
	v_cndmask_b32_e32 v5, v5, v7, vcc
	v_mov_b32_dpp v8, v6 row_mirror row_mask:0xf bank_mask:0xf
	v_cmp_gt_f32_e32 vcc, v8, v6
	v_cndmask_b32_e32 v6, v6, v8, vcc
	v_mov_b32_dpp v7, v5 row_mirror row_mask:0xf bank_mask:0xf
	v_cndmask_b32_e32 v5, v5, v7, vcc
	v_mov_b32_dpp v8, v6 row_bcast:15 row_mask:0xf bank_mask:0xf
	v_cmp_gt_f32_e32 vcc, v8, v6
	v_mov_b32_dpp v7, v5 row_bcast:15 row_mask:0xf bank_mask:0xf
	v_cndmask_b32_e32 v6, v6, v8, vcc
	v_cndmask_b32_e32 v5, v5, v7, vcc
	s_nop 0
	v_mov_b32_dpp v8, v6 row_bcast:31 row_mask:0xf bank_mask:0xf
	v_mov_b32_dpp v7, v5 row_bcast:31 row_mask:0xf bank_mask:0xf
	v_cmp_gt_f32_e32 vcc, v8, v6
	v_cndmask_b32_e32 v5, v5, v7, vcc
	v_readlane_b32 s11, v5, 63
	s_lshl_b32 s16, s11, 2
	s_add_i32 s16, s16, 0
	v_cndmask_b32_e32 v6, v6, v8, vcc
	v_mov_b32_e32 v5, s16
	v_readlane_b32 s10, v6, 63
	ds_write_b32 v5, v4
	v_mov_b32_e32 v5, s11
	v_cmp_eq_u32_e32 vcc, s7, v0
	v_cndmask_b32_e32 v2, v2, v5, vcc
	v_mov_b32_e32 v5, s10
	s_add_i32 s7, s7, 1
	s_cmp_eq_u32 s7, s9
	v_cndmask_b32_e32 v3, v3, v5, vcc
	s_cbranch_scc1 .LBB240_26
.LBB240_21:                             ; =>This Loop Header: Depth=1
                                        ;     Child Loop BB240_23 Depth 2
	v_mov_b32_e32 v5, s7
	v_mov_b32_e32 v6, 0xff800000
	s_and_saveexec_b64 s[10:11], s[0:1]
	s_cbranch_execz .LBB240_20
; %bb.22:                               ;   in Loop: Header=BB240_21 Depth=1
	s_load_dword s18, s[2:3], 0xc
	s_mov_b64 s[16:17], 0
	v_mov_b32_e32 v5, s7
	v_mov_b32_e32 v6, 0xff800000
	;; [unrolled: 1-line block ×3, first 2 shown]
	s_waitcnt lgkmcnt(0)
	s_and_b32 s18, s18, 0xffff
	s_lshl_b32 s19, s18, 2
	v_mov_b32_e32 v8, v0
.LBB240_23:                             ;   Parent Loop BB240_21 Depth=1
                                        ; =>  This Inner Loop Header: Depth=2
	ds_read_b32 v9, v7
	v_add_u32_e32 v7, s19, v7
	s_waitcnt lgkmcnt(0)
	v_cmp_gt_f32_e32 vcc, v9, v6
	v_cndmask_b32_e32 v5, v5, v8, vcc
	v_add_u32_e32 v8, s18, v8
	v_cndmask_b32_e32 v6, v6, v9, vcc
	v_cmp_le_i32_e32 vcc, s8, v8
	s_or_b64 s[16:17], vcc, s[16:17]
	s_andn2_b64 exec, exec, s[16:17]
	s_cbranch_execnz .LBB240_23
; %bb.24:                               ;   in Loop: Header=BB240_21 Depth=1
	s_or_b64 exec, exec, s[16:17]
	s_branch .LBB240_20
.LBB240_25:
                                        ; implicit-def: $vgpr3
                                        ; implicit-def: $vgpr2
.LBB240_26:
	v_cmp_gt_i32_e32 vcc, s9, v0
	s_and_saveexec_b64 s[0:1], vcc
	s_cbranch_execz .LBB240_29
; %bb.27:
	s_load_dword s2, s[4:5], 0x38
	s_load_dwordx2 s[0:1], s[4:5], 0x20
	s_ashr_i32 s3, s6, 31
	s_load_dword s4, s[4:5], 0x4c
	v_mov_b32_e32 v4, s13
	s_waitcnt lgkmcnt(0)
	v_mul_f32_e32 v1, s2, v3
	s_mul_i32 s1, s6, s1
	s_mul_hi_u32 s2, s6, s0
	s_add_i32 s1, s2, s1
	s_mul_i32 s3, s3, s0
	s_add_i32 s5, s1, s3
	s_mul_i32 s2, s6, s0
	s_and_b32 s3, s4, 0xffff
	s_mov_b64 s[0:1], 0
	v_mov_b32_e32 v3, s5
	v_mov_b32_e32 v5, s15
.LBB240_28:                             ; =>This Inner Loop Header: Depth=1
	v_ashrrev_i32_e32 v7, 31, v0
	v_add_co_u32_e32 v6, vcc, s2, v0
	v_addc_co_u32_e32 v7, vcc, v3, v7, vcc
	v_add_u32_e32 v0, s3, v0
	v_cmp_le_i32_e32 vcc, s9, v0
	v_lshlrev_b64 v[6:7], 2, v[6:7]
	s_or_b64 s[0:1], vcc, s[0:1]
	v_add_co_u32_e32 v8, vcc, s12, v6
	v_addc_co_u32_e32 v9, vcc, v4, v7, vcc
	v_add_co_u32_e32 v6, vcc, s14, v6
	v_addc_co_u32_e32 v7, vcc, v5, v7, vcc
	global_store_dword v[8:9], v1, off
	global_store_dword v[6:7], v2, off
	s_andn2_b64 exec, exec, s[0:1]
	s_cbranch_execnz .LBB240_28
.LBB240_29:
	s_endpgm
	.section	.rodata,"a",@progbits
	.p2align	6, 0x0
	.amdhsa_kernel _ZN5aiter19grouped_topk_kernelIN3c108BFloat16EDv1_fLi4ELb0ELb0ELb0EEEvPT_PKS4_PfPimiiiif
		.amdhsa_group_segment_fixed_size 0
		.amdhsa_private_segment_fixed_size 0
		.amdhsa_kernarg_size 320
		.amdhsa_user_sgpr_count 6
		.amdhsa_user_sgpr_private_segment_buffer 1
		.amdhsa_user_sgpr_dispatch_ptr 0
		.amdhsa_user_sgpr_queue_ptr 0
		.amdhsa_user_sgpr_kernarg_segment_ptr 1
		.amdhsa_user_sgpr_dispatch_id 0
		.amdhsa_user_sgpr_flat_scratch_init 0
		.amdhsa_user_sgpr_kernarg_preload_length 0
		.amdhsa_user_sgpr_kernarg_preload_offset 0
		.amdhsa_user_sgpr_private_segment_size 0
		.amdhsa_uses_dynamic_stack 0
		.amdhsa_system_sgpr_private_segment_wavefront_offset 0
		.amdhsa_system_sgpr_workgroup_id_x 1
		.amdhsa_system_sgpr_workgroup_id_y 0
		.amdhsa_system_sgpr_workgroup_id_z 0
		.amdhsa_system_sgpr_workgroup_info 0
		.amdhsa_system_vgpr_workitem_id 0
		.amdhsa_next_free_vgpr 12
		.amdhsa_next_free_sgpr 24
		.amdhsa_accum_offset 12
		.amdhsa_reserve_vcc 1
		.amdhsa_reserve_flat_scratch 0
		.amdhsa_float_round_mode_32 0
		.amdhsa_float_round_mode_16_64 0
		.amdhsa_float_denorm_mode_32 3
		.amdhsa_float_denorm_mode_16_64 3
		.amdhsa_dx10_clamp 1
		.amdhsa_ieee_mode 1
		.amdhsa_fp16_overflow 0
		.amdhsa_tg_split 0
		.amdhsa_exception_fp_ieee_invalid_op 0
		.amdhsa_exception_fp_denorm_src 0
		.amdhsa_exception_fp_ieee_div_zero 0
		.amdhsa_exception_fp_ieee_overflow 0
		.amdhsa_exception_fp_ieee_underflow 0
		.amdhsa_exception_fp_ieee_inexact 0
		.amdhsa_exception_int_div_zero 0
	.end_amdhsa_kernel
	.section	.text._ZN5aiter19grouped_topk_kernelIN3c108BFloat16EDv1_fLi4ELb0ELb0ELb0EEEvPT_PKS4_PfPimiiiif,"axG",@progbits,_ZN5aiter19grouped_topk_kernelIN3c108BFloat16EDv1_fLi4ELb0ELb0ELb0EEEvPT_PKS4_PfPimiiiif,comdat
.Lfunc_end240:
	.size	_ZN5aiter19grouped_topk_kernelIN3c108BFloat16EDv1_fLi4ELb0ELb0ELb0EEEvPT_PKS4_PfPimiiiif, .Lfunc_end240-_ZN5aiter19grouped_topk_kernelIN3c108BFloat16EDv1_fLi4ELb0ELb0ELb0EEEvPT_PKS4_PfPimiiiif
                                        ; -- End function
	.section	.AMDGPU.csdata,"",@progbits
; Kernel info:
; codeLenInByte = 1644
; NumSgprs: 28
; NumVgprs: 12
; NumAgprs: 0
; TotalNumVgprs: 12
; ScratchSize: 0
; MemoryBound: 0
; FloatMode: 240
; IeeeMode: 1
; LDSByteSize: 0 bytes/workgroup (compile time only)
; SGPRBlocks: 3
; VGPRBlocks: 1
; NumSGPRsForWavesPerEU: 28
; NumVGPRsForWavesPerEU: 12
; AccumOffset: 12
; Occupancy: 8
; WaveLimiterHint : 0
; COMPUTE_PGM_RSRC2:SCRATCH_EN: 0
; COMPUTE_PGM_RSRC2:USER_SGPR: 6
; COMPUTE_PGM_RSRC2:TRAP_HANDLER: 0
; COMPUTE_PGM_RSRC2:TGID_X_EN: 1
; COMPUTE_PGM_RSRC2:TGID_Y_EN: 0
; COMPUTE_PGM_RSRC2:TGID_Z_EN: 0
; COMPUTE_PGM_RSRC2:TIDIG_COMP_CNT: 0
; COMPUTE_PGM_RSRC3_GFX90A:ACCUM_OFFSET: 2
; COMPUTE_PGM_RSRC3_GFX90A:TG_SPLIT: 0
	.section	.text._ZN5aiter28grouped_topk_opt_sort_kernelIfDv1_fLi2ELb1ELb1ELb0EEEvPT_PKS2_PfPimiiiif,"axG",@progbits,_ZN5aiter28grouped_topk_opt_sort_kernelIfDv1_fLi2ELb1ELb1ELb0EEEvPT_PKS2_PfPimiiiif,comdat
	.protected	_ZN5aiter28grouped_topk_opt_sort_kernelIfDv1_fLi2ELb1ELb1ELb0EEEvPT_PKS2_PfPimiiiif ; -- Begin function _ZN5aiter28grouped_topk_opt_sort_kernelIfDv1_fLi2ELb1ELb1ELb0EEEvPT_PKS2_PfPimiiiif
	.globl	_ZN5aiter28grouped_topk_opt_sort_kernelIfDv1_fLi2ELb1ELb1ELb0EEEvPT_PKS2_PfPimiiiif
	.p2align	8
	.type	_ZN5aiter28grouped_topk_opt_sort_kernelIfDv1_fLi2ELb1ELb1ELb0EEEvPT_PKS2_PfPimiiiif,@function
_ZN5aiter28grouped_topk_opt_sort_kernelIfDv1_fLi2ELb1ELb1ELb0EEEvPT_PKS2_PfPimiiiif: ; @_ZN5aiter28grouped_topk_opt_sort_kernelIfDv1_fLi2ELb1ELb1ELb0EEEvPT_PKS2_PfPimiiiif
; %bb.0:
	s_load_dword s7, s[4:5], 0x28
	s_load_dwordx4 s[0:3], s[4:5], 0x0
	s_load_dword s8, s[4:5], 0x30
	v_lshlrev_b32_e32 v1, 2, v0
	v_mov_b32_e32 v5, 0x42800000
	s_waitcnt lgkmcnt(0)
	s_mul_i32 s4, s6, s7
	s_ashr_i32 s5, s4, 31
	s_lshl_b64 s[4:5], s[4:5], 2
	s_add_u32 s0, s0, s4
	s_addc_u32 s1, s1, s5
	global_load_dword v2, v1, s[0:1]
	global_load_dword v4, v1, s[2:3]
	s_mov_b32 s0, 0x652b82fe
	s_mov_b32 s1, 0xbff71547
	;; [unrolled: 1-line block ×3, first 2 shown]
	v_mov_b32_e32 v6, 0x1f800000
	v_mbcnt_lo_u32_b32 v8, -1, 0
	v_mov_b32_e32 v7, 0xff800000
	v_mov_b32_e32 v9, 0x7f800000
	v_add_u32_e32 v1, 0, v1
	s_waitcnt vmcnt(1)
	v_cvt_f64_f32_e32 v[2:3], v2
	v_mul_f64 v[2:3], v[2:3], s[0:1]
	v_cvt_f32_f64_e32 v2, v[2:3]
	v_cmp_gt_f32_e32 vcc, s2, v2
	v_cndmask_b32_e32 v3, 0, v5, vcc
	v_add_f32_e32 v2, v2, v3
	v_exp_f32_e32 v2, v2
	v_cndmask_b32_e32 v6, 1.0, v6, vcc
	v_mbcnt_hi_u32_b32 v5, -1, v8
	v_lshlrev_b32_e32 v3, 5, v0
	v_fma_f32 v2, v2, v6, 1.0
	v_rcp_f32_e32 v2, v2
	v_and_b32_e32 v5, 64, v5
	v_and_or_b32 v3, v3, 32, v5
	v_lshlrev_b32_e32 v3, 2, v3
	s_waitcnt vmcnt(0)
	v_add_f32_e32 v2, v4, v2
	v_cmp_o_f32_e32 vcc, v2, v2
	v_cndmask_b32_e32 v2, v7, v2, vcc
	v_add_f32_e32 v4, 0xff800000, v2
	ds_bpermute_b32 v3, v3, v4
	v_and_b32_e32 v4, 1, v0
	v_cmp_eq_u32_e32 vcc, 0, v4
	v_cndmask_b32_e32 v4, v7, v9, vcc
	v_lshlrev_b32_e32 v5, 2, v5
	s_waitcnt lgkmcnt(0)
	v_mov_b32_dpp v6, v3 quad_perm:[1,0,3,2] row_mask:0xf bank_mask:0xf bound_ctrl:1
	v_med3_f32 v4, v3, v6, v4
	ds_bpermute_b32 v4, v5, v4 offset:12
	ds_write_b32 v1, v2
	s_waitcnt lgkmcnt(1)
	v_cmp_gt_f32_e32 vcc, v3, v4
	v_cndmask_b32_e64 v1, 0, 1, vcc
	v_cmp_eq_f32_e64 s[0:1], v3, v4
	v_cndmask_b32_e64 v2, 0, 1, s[0:1]
	v_mov_b32_dpp v1, v1 row_shr:1 row_mask:0xf bank_mask:0xf bound_ctrl:1
	v_addc_co_u32_e32 v1, vcc, 0, v1, vcc
	v_readlane_b32 s4, v1, 1
	v_cmp_ge_f32_e64 s[2:3], v3, v4
	v_mov_b32_dpp v2, v2 row_shr:1 row_mask:0xf bank_mask:0xf bound_ctrl:1
	v_mov_b32_e32 v3, s4
	v_addc_co_u32_e64 v2, vcc, v2, v3, s[0:1]
	v_cndmask_b32_e64 v1, v1, v2, s[0:1]
	v_cmp_ge_i32_e32 vcc, s8, v1
	s_and_b64 s[0:1], s[2:3], vcc
	v_cmp_gt_u32_e32 vcc, 2, v0
	s_and_b64 s[2:3], vcc, s[0:1]
	s_and_saveexec_b64 s[0:1], s[2:3]
	s_cbranch_execz .LBB241_2
; %bb.1:
	s_lshl_b32 s2, s7, 2
	s_add_i32 s2, s2, 0
	v_lshl_add_u32 v1, v1, 2, s2
	ds_write_b32 v1, v0 offset:4
.LBB241_2:
	s_or_b64 exec, exec, s[0:1]
	s_waitcnt lgkmcnt(0)
	s_barrier
	s_endpgm
	.section	.rodata,"a",@progbits
	.p2align	6, 0x0
	.amdhsa_kernel _ZN5aiter28grouped_topk_opt_sort_kernelIfDv1_fLi2ELb1ELb1ELb0EEEvPT_PKS2_PfPimiiiif
		.amdhsa_group_segment_fixed_size 0
		.amdhsa_private_segment_fixed_size 0
		.amdhsa_kernarg_size 60
		.amdhsa_user_sgpr_count 6
		.amdhsa_user_sgpr_private_segment_buffer 1
		.amdhsa_user_sgpr_dispatch_ptr 0
		.amdhsa_user_sgpr_queue_ptr 0
		.amdhsa_user_sgpr_kernarg_segment_ptr 1
		.amdhsa_user_sgpr_dispatch_id 0
		.amdhsa_user_sgpr_flat_scratch_init 0
		.amdhsa_user_sgpr_kernarg_preload_length 0
		.amdhsa_user_sgpr_kernarg_preload_offset 0
		.amdhsa_user_sgpr_private_segment_size 0
		.amdhsa_uses_dynamic_stack 0
		.amdhsa_system_sgpr_private_segment_wavefront_offset 0
		.amdhsa_system_sgpr_workgroup_id_x 1
		.amdhsa_system_sgpr_workgroup_id_y 0
		.amdhsa_system_sgpr_workgroup_id_z 0
		.amdhsa_system_sgpr_workgroup_info 0
		.amdhsa_system_vgpr_workitem_id 0
		.amdhsa_next_free_vgpr 10
		.amdhsa_next_free_sgpr 9
		.amdhsa_accum_offset 12
		.amdhsa_reserve_vcc 1
		.amdhsa_reserve_flat_scratch 0
		.amdhsa_float_round_mode_32 0
		.amdhsa_float_round_mode_16_64 0
		.amdhsa_float_denorm_mode_32 3
		.amdhsa_float_denorm_mode_16_64 3
		.amdhsa_dx10_clamp 1
		.amdhsa_ieee_mode 1
		.amdhsa_fp16_overflow 0
		.amdhsa_tg_split 0
		.amdhsa_exception_fp_ieee_invalid_op 0
		.amdhsa_exception_fp_denorm_src 0
		.amdhsa_exception_fp_ieee_div_zero 0
		.amdhsa_exception_fp_ieee_overflow 0
		.amdhsa_exception_fp_ieee_underflow 0
		.amdhsa_exception_fp_ieee_inexact 0
		.amdhsa_exception_int_div_zero 0
	.end_amdhsa_kernel
	.section	.text._ZN5aiter28grouped_topk_opt_sort_kernelIfDv1_fLi2ELb1ELb1ELb0EEEvPT_PKS2_PfPimiiiif,"axG",@progbits,_ZN5aiter28grouped_topk_opt_sort_kernelIfDv1_fLi2ELb1ELb1ELb0EEEvPT_PKS2_PfPimiiiif,comdat
.Lfunc_end241:
	.size	_ZN5aiter28grouped_topk_opt_sort_kernelIfDv1_fLi2ELb1ELb1ELb0EEEvPT_PKS2_PfPimiiiif, .Lfunc_end241-_ZN5aiter28grouped_topk_opt_sort_kernelIfDv1_fLi2ELb1ELb1ELb0EEEvPT_PKS2_PfPimiiiif
                                        ; -- End function
	.section	.AMDGPU.csdata,"",@progbits
; Kernel info:
; codeLenInByte = 452
; NumSgprs: 13
; NumVgprs: 10
; NumAgprs: 0
; TotalNumVgprs: 10
; ScratchSize: 0
; MemoryBound: 0
; FloatMode: 240
; IeeeMode: 1
; LDSByteSize: 0 bytes/workgroup (compile time only)
; SGPRBlocks: 1
; VGPRBlocks: 1
; NumSGPRsForWavesPerEU: 13
; NumVGPRsForWavesPerEU: 10
; AccumOffset: 12
; Occupancy: 8
; WaveLimiterHint : 0
; COMPUTE_PGM_RSRC2:SCRATCH_EN: 0
; COMPUTE_PGM_RSRC2:USER_SGPR: 6
; COMPUTE_PGM_RSRC2:TRAP_HANDLER: 0
; COMPUTE_PGM_RSRC2:TGID_X_EN: 1
; COMPUTE_PGM_RSRC2:TGID_Y_EN: 0
; COMPUTE_PGM_RSRC2:TGID_Z_EN: 0
; COMPUTE_PGM_RSRC2:TIDIG_COMP_CNT: 0
; COMPUTE_PGM_RSRC3_GFX90A:ACCUM_OFFSET: 2
; COMPUTE_PGM_RSRC3_GFX90A:TG_SPLIT: 0
	.section	.text._ZN5aiter28grouped_topk_opt_sort_kernelIN3c104HalfEDv1_fLi2ELb1ELb1ELb0EEEvPT_PKS4_PfPimiiiif,"axG",@progbits,_ZN5aiter28grouped_topk_opt_sort_kernelIN3c104HalfEDv1_fLi2ELb1ELb1ELb0EEEvPT_PKS4_PfPimiiiif,comdat
	.protected	_ZN5aiter28grouped_topk_opt_sort_kernelIN3c104HalfEDv1_fLi2ELb1ELb1ELb0EEEvPT_PKS4_PfPimiiiif ; -- Begin function _ZN5aiter28grouped_topk_opt_sort_kernelIN3c104HalfEDv1_fLi2ELb1ELb1ELb0EEEvPT_PKS4_PfPimiiiif
	.globl	_ZN5aiter28grouped_topk_opt_sort_kernelIN3c104HalfEDv1_fLi2ELb1ELb1ELb0EEEvPT_PKS4_PfPimiiiif
	.p2align	8
	.type	_ZN5aiter28grouped_topk_opt_sort_kernelIN3c104HalfEDv1_fLi2ELb1ELb1ELb0EEEvPT_PKS4_PfPimiiiif,@function
_ZN5aiter28grouped_topk_opt_sort_kernelIN3c104HalfEDv1_fLi2ELb1ELb1ELb0EEEvPT_PKS4_PfPimiiiif: ; @_ZN5aiter28grouped_topk_opt_sort_kernelIN3c104HalfEDv1_fLi2ELb1ELb1ELb0EEEvPT_PKS4_PfPimiiiif
; %bb.0:
	s_load_dword s7, s[4:5], 0x28
	s_load_dwordx4 s[0:3], s[4:5], 0x0
	s_load_dword s8, s[4:5], 0x30
	v_lshlrev_b32_e32 v1, 1, v0
	v_mov_b32_e32 v5, 0x1f800000
	s_waitcnt lgkmcnt(0)
	s_mul_i32 s4, s6, s7
	s_ashr_i32 s5, s4, 31
	s_lshl_b64 s[4:5], s[4:5], 1
	s_add_u32 s0, s0, s4
	s_addc_u32 s1, s1, s5
	global_load_ushort v2, v1, s[0:1]
	global_load_ushort v4, v1, s[2:3]
	s_mov_b32 s0, 0x652b82fe
	s_mov_b32 s1, 0xbff71547
	;; [unrolled: 1-line block ×3, first 2 shown]
	v_mov_b32_e32 v1, 0x42800000
	v_mbcnt_lo_u32_b32 v7, -1, 0
	v_mov_b32_e32 v6, 0xff800000
	v_lshlrev_b32_e32 v9, 5, v0
	v_mov_b32_e32 v8, 0x7f800000
	s_waitcnt vmcnt(1)
	v_cvt_f32_f16_e32 v2, v2
	v_cvt_f64_f32_e32 v[2:3], v2
	v_mul_f64 v[2:3], v[2:3], s[0:1]
	v_cvt_f32_f64_e32 v2, v[2:3]
	v_cmp_gt_f32_e32 vcc, s2, v2
	v_cndmask_b32_e32 v1, 0, v1, vcc
	v_add_f32_e32 v1, v2, v1
	v_exp_f32_e32 v1, v1
	s_waitcnt vmcnt(0)
	v_cvt_f32_f16_e32 v3, v4
	v_cndmask_b32_e32 v4, 1.0, v5, vcc
	v_mbcnt_hi_u32_b32 v2, -1, v7
	v_fma_f32 v1, v1, v4, 1.0
	v_rcp_f32_e32 v1, v1
	v_and_b32_e32 v2, 64, v2
	v_and_or_b32 v4, v9, 32, v2
	v_lshlrev_b32_e32 v4, 2, v4
	v_add_f32_e32 v1, v1, v3
	v_cmp_o_f32_e32 vcc, v1, v1
	v_cndmask_b32_e32 v1, v6, v1, vcc
	v_add_f32_e32 v3, 0xff800000, v1
	ds_bpermute_b32 v3, v4, v3
	v_and_b32_e32 v4, 1, v0
	v_cmp_eq_u32_e32 vcc, 0, v4
	v_cndmask_b32_e32 v4, v6, v8, vcc
	v_lshlrev_b32_e32 v2, 2, v2
	s_waitcnt lgkmcnt(0)
	v_mov_b32_dpp v5, v3 quad_perm:[1,0,3,2] row_mask:0xf bank_mask:0xf bound_ctrl:1
	v_med3_f32 v4, v3, v5, v4
	ds_bpermute_b32 v2, v2, v4 offset:12
	v_lshl_add_u32 v4, v0, 2, 0
	ds_write_b32 v4, v1
	s_waitcnt lgkmcnt(1)
	v_cmp_gt_f32_e32 vcc, v3, v2
	v_cndmask_b32_e64 v1, 0, 1, vcc
	v_cmp_eq_f32_e64 s[0:1], v3, v2
	v_cndmask_b32_e64 v4, 0, 1, s[0:1]
	v_mov_b32_dpp v1, v1 row_shr:1 row_mask:0xf bank_mask:0xf bound_ctrl:1
	v_addc_co_u32_e32 v1, vcc, 0, v1, vcc
	v_readlane_b32 s4, v1, 1
	v_cmp_ge_f32_e64 s[2:3], v3, v2
	v_mov_b32_dpp v2, v4 row_shr:1 row_mask:0xf bank_mask:0xf bound_ctrl:1
	v_mov_b32_e32 v3, s4
	v_addc_co_u32_e64 v2, vcc, v2, v3, s[0:1]
	v_cndmask_b32_e64 v1, v1, v2, s[0:1]
	v_cmp_ge_i32_e32 vcc, s8, v1
	s_and_b64 s[0:1], s[2:3], vcc
	v_cmp_gt_u32_e32 vcc, 2, v0
	s_and_b64 s[2:3], vcc, s[0:1]
	s_and_saveexec_b64 s[0:1], s[2:3]
	s_cbranch_execz .LBB242_2
; %bb.1:
	s_lshl_b32 s2, s7, 2
	s_add_i32 s2, s2, 0
	v_lshl_add_u32 v1, v1, 2, s2
	ds_write_b32 v1, v0 offset:4
.LBB242_2:
	s_or_b64 exec, exec, s[0:1]
	s_waitcnt lgkmcnt(0)
	s_barrier
	s_endpgm
	.section	.rodata,"a",@progbits
	.p2align	6, 0x0
	.amdhsa_kernel _ZN5aiter28grouped_topk_opt_sort_kernelIN3c104HalfEDv1_fLi2ELb1ELb1ELb0EEEvPT_PKS4_PfPimiiiif
		.amdhsa_group_segment_fixed_size 0
		.amdhsa_private_segment_fixed_size 0
		.amdhsa_kernarg_size 60
		.amdhsa_user_sgpr_count 6
		.amdhsa_user_sgpr_private_segment_buffer 1
		.amdhsa_user_sgpr_dispatch_ptr 0
		.amdhsa_user_sgpr_queue_ptr 0
		.amdhsa_user_sgpr_kernarg_segment_ptr 1
		.amdhsa_user_sgpr_dispatch_id 0
		.amdhsa_user_sgpr_flat_scratch_init 0
		.amdhsa_user_sgpr_kernarg_preload_length 0
		.amdhsa_user_sgpr_kernarg_preload_offset 0
		.amdhsa_user_sgpr_private_segment_size 0
		.amdhsa_uses_dynamic_stack 0
		.amdhsa_system_sgpr_private_segment_wavefront_offset 0
		.amdhsa_system_sgpr_workgroup_id_x 1
		.amdhsa_system_sgpr_workgroup_id_y 0
		.amdhsa_system_sgpr_workgroup_id_z 0
		.amdhsa_system_sgpr_workgroup_info 0
		.amdhsa_system_vgpr_workitem_id 0
		.amdhsa_next_free_vgpr 10
		.amdhsa_next_free_sgpr 9
		.amdhsa_accum_offset 12
		.amdhsa_reserve_vcc 1
		.amdhsa_reserve_flat_scratch 0
		.amdhsa_float_round_mode_32 0
		.amdhsa_float_round_mode_16_64 0
		.amdhsa_float_denorm_mode_32 3
		.amdhsa_float_denorm_mode_16_64 3
		.amdhsa_dx10_clamp 1
		.amdhsa_ieee_mode 1
		.amdhsa_fp16_overflow 0
		.amdhsa_tg_split 0
		.amdhsa_exception_fp_ieee_invalid_op 0
		.amdhsa_exception_fp_denorm_src 0
		.amdhsa_exception_fp_ieee_div_zero 0
		.amdhsa_exception_fp_ieee_overflow 0
		.amdhsa_exception_fp_ieee_underflow 0
		.amdhsa_exception_fp_ieee_inexact 0
		.amdhsa_exception_int_div_zero 0
	.end_amdhsa_kernel
	.section	.text._ZN5aiter28grouped_topk_opt_sort_kernelIN3c104HalfEDv1_fLi2ELb1ELb1ELb0EEEvPT_PKS4_PfPimiiiif,"axG",@progbits,_ZN5aiter28grouped_topk_opt_sort_kernelIN3c104HalfEDv1_fLi2ELb1ELb1ELb0EEEvPT_PKS4_PfPimiiiif,comdat
.Lfunc_end242:
	.size	_ZN5aiter28grouped_topk_opt_sort_kernelIN3c104HalfEDv1_fLi2ELb1ELb1ELb0EEEvPT_PKS4_PfPimiiiif, .Lfunc_end242-_ZN5aiter28grouped_topk_opt_sort_kernelIN3c104HalfEDv1_fLi2ELb1ELb1ELb0EEEvPT_PKS4_PfPimiiiif
                                        ; -- End function
	.section	.AMDGPU.csdata,"",@progbits
; Kernel info:
; codeLenInByte = 464
; NumSgprs: 13
; NumVgprs: 10
; NumAgprs: 0
; TotalNumVgprs: 10
; ScratchSize: 0
; MemoryBound: 0
; FloatMode: 240
; IeeeMode: 1
; LDSByteSize: 0 bytes/workgroup (compile time only)
; SGPRBlocks: 1
; VGPRBlocks: 1
; NumSGPRsForWavesPerEU: 13
; NumVGPRsForWavesPerEU: 10
; AccumOffset: 12
; Occupancy: 8
; WaveLimiterHint : 0
; COMPUTE_PGM_RSRC2:SCRATCH_EN: 0
; COMPUTE_PGM_RSRC2:USER_SGPR: 6
; COMPUTE_PGM_RSRC2:TRAP_HANDLER: 0
; COMPUTE_PGM_RSRC2:TGID_X_EN: 1
; COMPUTE_PGM_RSRC2:TGID_Y_EN: 0
; COMPUTE_PGM_RSRC2:TGID_Z_EN: 0
; COMPUTE_PGM_RSRC2:TIDIG_COMP_CNT: 0
; COMPUTE_PGM_RSRC3_GFX90A:ACCUM_OFFSET: 2
; COMPUTE_PGM_RSRC3_GFX90A:TG_SPLIT: 0
	.section	.text._ZN5aiter28grouped_topk_opt_sort_kernelIN3c108BFloat16EDv1_fLi2ELb1ELb1ELb0EEEvPT_PKS4_PfPimiiiif,"axG",@progbits,_ZN5aiter28grouped_topk_opt_sort_kernelIN3c108BFloat16EDv1_fLi2ELb1ELb1ELb0EEEvPT_PKS4_PfPimiiiif,comdat
	.protected	_ZN5aiter28grouped_topk_opt_sort_kernelIN3c108BFloat16EDv1_fLi2ELb1ELb1ELb0EEEvPT_PKS4_PfPimiiiif ; -- Begin function _ZN5aiter28grouped_topk_opt_sort_kernelIN3c108BFloat16EDv1_fLi2ELb1ELb1ELb0EEEvPT_PKS4_PfPimiiiif
	.globl	_ZN5aiter28grouped_topk_opt_sort_kernelIN3c108BFloat16EDv1_fLi2ELb1ELb1ELb0EEEvPT_PKS4_PfPimiiiif
	.p2align	8
	.type	_ZN5aiter28grouped_topk_opt_sort_kernelIN3c108BFloat16EDv1_fLi2ELb1ELb1ELb0EEEvPT_PKS4_PfPimiiiif,@function
_ZN5aiter28grouped_topk_opt_sort_kernelIN3c108BFloat16EDv1_fLi2ELb1ELb1ELb0EEEvPT_PKS4_PfPimiiiif: ; @_ZN5aiter28grouped_topk_opt_sort_kernelIN3c108BFloat16EDv1_fLi2ELb1ELb1ELb0EEEvPT_PKS4_PfPimiiiif
; %bb.0:
	s_load_dword s7, s[4:5], 0x28
	s_load_dwordx4 s[0:3], s[4:5], 0x0
	s_load_dword s8, s[4:5], 0x30
	v_lshlrev_b32_e32 v1, 1, v0
	v_mov_b32_e32 v5, 0x1f800000
	s_waitcnt lgkmcnt(0)
	s_mul_i32 s4, s6, s7
	s_ashr_i32 s5, s4, 31
	s_lshl_b64 s[4:5], s[4:5], 1
	s_add_u32 s0, s0, s4
	s_addc_u32 s1, s1, s5
	global_load_ushort v2, v1, s[0:1]
	global_load_ushort v4, v1, s[2:3]
	s_mov_b32 s0, 0x652b82fe
	s_mov_b32 s1, 0xbff71547
	;; [unrolled: 1-line block ×3, first 2 shown]
	v_mov_b32_e32 v1, 0x42800000
	v_mbcnt_lo_u32_b32 v7, -1, 0
	v_mov_b32_e32 v6, 0xff800000
	v_lshlrev_b32_e32 v9, 5, v0
	v_mov_b32_e32 v8, 0x7f800000
	s_waitcnt vmcnt(1)
	v_cvt_f64_u32_e32 v[2:3], v2
	v_mul_f64 v[2:3], v[2:3], s[0:1]
	v_cvt_f32_f64_e32 v2, v[2:3]
	v_cmp_gt_f32_e32 vcc, s2, v2
	v_cndmask_b32_e32 v1, 0, v1, vcc
	v_add_f32_e32 v1, v2, v1
	v_exp_f32_e32 v1, v1
	s_waitcnt vmcnt(0)
	v_cvt_f32_u32_e32 v3, v4
	v_cndmask_b32_e32 v4, 1.0, v5, vcc
	v_mbcnt_hi_u32_b32 v2, -1, v7
	v_fma_f32 v1, v1, v4, 1.0
	v_rcp_f32_e32 v1, v1
	v_and_b32_e32 v2, 64, v2
	v_and_or_b32 v4, v9, 32, v2
	v_lshlrev_b32_e32 v4, 2, v4
	v_add_f32_e32 v1, v1, v3
	v_cmp_o_f32_e32 vcc, v1, v1
	v_cndmask_b32_e32 v1, v6, v1, vcc
	v_add_f32_e32 v3, 0xff800000, v1
	ds_bpermute_b32 v3, v4, v3
	v_and_b32_e32 v4, 1, v0
	v_cmp_eq_u32_e32 vcc, 0, v4
	v_cndmask_b32_e32 v4, v6, v8, vcc
	v_lshlrev_b32_e32 v2, 2, v2
	s_waitcnt lgkmcnt(0)
	v_mov_b32_dpp v5, v3 quad_perm:[1,0,3,2] row_mask:0xf bank_mask:0xf bound_ctrl:1
	v_med3_f32 v4, v3, v5, v4
	ds_bpermute_b32 v2, v2, v4 offset:12
	v_lshl_add_u32 v4, v0, 2, 0
	ds_write_b32 v4, v1
	s_waitcnt lgkmcnt(1)
	v_cmp_gt_f32_e32 vcc, v3, v2
	v_cndmask_b32_e64 v1, 0, 1, vcc
	v_cmp_eq_f32_e64 s[0:1], v3, v2
	v_cndmask_b32_e64 v4, 0, 1, s[0:1]
	v_mov_b32_dpp v1, v1 row_shr:1 row_mask:0xf bank_mask:0xf bound_ctrl:1
	v_addc_co_u32_e32 v1, vcc, 0, v1, vcc
	v_readlane_b32 s4, v1, 1
	v_cmp_ge_f32_e64 s[2:3], v3, v2
	v_mov_b32_dpp v2, v4 row_shr:1 row_mask:0xf bank_mask:0xf bound_ctrl:1
	v_mov_b32_e32 v3, s4
	v_addc_co_u32_e64 v2, vcc, v2, v3, s[0:1]
	v_cndmask_b32_e64 v1, v1, v2, s[0:1]
	v_cmp_ge_i32_e32 vcc, s8, v1
	s_and_b64 s[0:1], s[2:3], vcc
	v_cmp_gt_u32_e32 vcc, 2, v0
	s_and_b64 s[2:3], vcc, s[0:1]
	s_and_saveexec_b64 s[0:1], s[2:3]
	s_cbranch_execz .LBB243_2
; %bb.1:
	s_lshl_b32 s2, s7, 2
	s_add_i32 s2, s2, 0
	v_lshl_add_u32 v1, v1, 2, s2
	ds_write_b32 v1, v0 offset:4
.LBB243_2:
	s_or_b64 exec, exec, s[0:1]
	s_waitcnt lgkmcnt(0)
	s_barrier
	s_endpgm
	.section	.rodata,"a",@progbits
	.p2align	6, 0x0
	.amdhsa_kernel _ZN5aiter28grouped_topk_opt_sort_kernelIN3c108BFloat16EDv1_fLi2ELb1ELb1ELb0EEEvPT_PKS4_PfPimiiiif
		.amdhsa_group_segment_fixed_size 0
		.amdhsa_private_segment_fixed_size 0
		.amdhsa_kernarg_size 60
		.amdhsa_user_sgpr_count 6
		.amdhsa_user_sgpr_private_segment_buffer 1
		.amdhsa_user_sgpr_dispatch_ptr 0
		.amdhsa_user_sgpr_queue_ptr 0
		.amdhsa_user_sgpr_kernarg_segment_ptr 1
		.amdhsa_user_sgpr_dispatch_id 0
		.amdhsa_user_sgpr_flat_scratch_init 0
		.amdhsa_user_sgpr_kernarg_preload_length 0
		.amdhsa_user_sgpr_kernarg_preload_offset 0
		.amdhsa_user_sgpr_private_segment_size 0
		.amdhsa_uses_dynamic_stack 0
		.amdhsa_system_sgpr_private_segment_wavefront_offset 0
		.amdhsa_system_sgpr_workgroup_id_x 1
		.amdhsa_system_sgpr_workgroup_id_y 0
		.amdhsa_system_sgpr_workgroup_id_z 0
		.amdhsa_system_sgpr_workgroup_info 0
		.amdhsa_system_vgpr_workitem_id 0
		.amdhsa_next_free_vgpr 10
		.amdhsa_next_free_sgpr 9
		.amdhsa_accum_offset 12
		.amdhsa_reserve_vcc 1
		.amdhsa_reserve_flat_scratch 0
		.amdhsa_float_round_mode_32 0
		.amdhsa_float_round_mode_16_64 0
		.amdhsa_float_denorm_mode_32 3
		.amdhsa_float_denorm_mode_16_64 3
		.amdhsa_dx10_clamp 1
		.amdhsa_ieee_mode 1
		.amdhsa_fp16_overflow 0
		.amdhsa_tg_split 0
		.amdhsa_exception_fp_ieee_invalid_op 0
		.amdhsa_exception_fp_denorm_src 0
		.amdhsa_exception_fp_ieee_div_zero 0
		.amdhsa_exception_fp_ieee_overflow 0
		.amdhsa_exception_fp_ieee_underflow 0
		.amdhsa_exception_fp_ieee_inexact 0
		.amdhsa_exception_int_div_zero 0
	.end_amdhsa_kernel
	.section	.text._ZN5aiter28grouped_topk_opt_sort_kernelIN3c108BFloat16EDv1_fLi2ELb1ELb1ELb0EEEvPT_PKS4_PfPimiiiif,"axG",@progbits,_ZN5aiter28grouped_topk_opt_sort_kernelIN3c108BFloat16EDv1_fLi2ELb1ELb1ELb0EEEvPT_PKS4_PfPimiiiif,comdat
.Lfunc_end243:
	.size	_ZN5aiter28grouped_topk_opt_sort_kernelIN3c108BFloat16EDv1_fLi2ELb1ELb1ELb0EEEvPT_PKS4_PfPimiiiif, .Lfunc_end243-_ZN5aiter28grouped_topk_opt_sort_kernelIN3c108BFloat16EDv1_fLi2ELb1ELb1ELb0EEEvPT_PKS4_PfPimiiiif
                                        ; -- End function
	.section	.AMDGPU.csdata,"",@progbits
; Kernel info:
; codeLenInByte = 460
; NumSgprs: 13
; NumVgprs: 10
; NumAgprs: 0
; TotalNumVgprs: 10
; ScratchSize: 0
; MemoryBound: 0
; FloatMode: 240
; IeeeMode: 1
; LDSByteSize: 0 bytes/workgroup (compile time only)
; SGPRBlocks: 1
; VGPRBlocks: 1
; NumSGPRsForWavesPerEU: 13
; NumVGPRsForWavesPerEU: 10
; AccumOffset: 12
; Occupancy: 8
; WaveLimiterHint : 0
; COMPUTE_PGM_RSRC2:SCRATCH_EN: 0
; COMPUTE_PGM_RSRC2:USER_SGPR: 6
; COMPUTE_PGM_RSRC2:TRAP_HANDLER: 0
; COMPUTE_PGM_RSRC2:TGID_X_EN: 1
; COMPUTE_PGM_RSRC2:TGID_Y_EN: 0
; COMPUTE_PGM_RSRC2:TGID_Z_EN: 0
; COMPUTE_PGM_RSRC2:TIDIG_COMP_CNT: 0
; COMPUTE_PGM_RSRC3_GFX90A:ACCUM_OFFSET: 2
; COMPUTE_PGM_RSRC3_GFX90A:TG_SPLIT: 0
	.section	.text._ZN5aiter19grouped_topk_kernelIfDv1_fLi2ELb1ELb1ELb0EEEvPT_PKS2_PfPimiiiif,"axG",@progbits,_ZN5aiter19grouped_topk_kernelIfDv1_fLi2ELb1ELb1ELb0EEEvPT_PKS2_PfPimiiiif,comdat
	.protected	_ZN5aiter19grouped_topk_kernelIfDv1_fLi2ELb1ELb1ELb0EEEvPT_PKS2_PfPimiiiif ; -- Begin function _ZN5aiter19grouped_topk_kernelIfDv1_fLi2ELb1ELb1ELb0EEEvPT_PKS2_PfPimiiiif
	.globl	_ZN5aiter19grouped_topk_kernelIfDv1_fLi2ELb1ELb1ELb0EEEvPT_PKS2_PfPimiiiif
	.p2align	8
	.type	_ZN5aiter19grouped_topk_kernelIfDv1_fLi2ELb1ELb1ELb0EEEvPT_PKS2_PfPimiiiif,@function
_ZN5aiter19grouped_topk_kernelIfDv1_fLi2ELb1ELb1ELb0EEEvPT_PKS2_PfPimiiiif: ; @_ZN5aiter19grouped_topk_kernelIfDv1_fLi2ELb1ELb1ELb0EEEvPT_PKS2_PfPimiiiif
; %bb.0:
	s_load_dwordx4 s[12:15], s[4:5], 0x28
	s_load_dwordx4 s[16:19], s[4:5], 0x8
	s_load_dwordx2 s[10:11], s[4:5], 0x18
	v_lshl_add_u32 v1, v0, 2, 0
	s_waitcnt lgkmcnt(0)
	v_cmp_gt_i32_e64 s[0:1], s12, v0
	s_and_saveexec_b64 s[2:3], s[0:1]
	s_cbranch_execz .LBB244_3
; %bb.1:
	s_load_dwordx2 s[8:9], s[4:5], 0x0
	s_load_dword s15, s[4:5], 0x4c
	s_mul_i32 s20, s6, s12
	s_ashr_i32 s21, s20, 31
	s_lshl_b64 s[20:21], s[20:21], 2
	s_waitcnt lgkmcnt(0)
	s_add_u32 s7, s8, s20
	s_addc_u32 s21, s9, s21
	s_and_b32 s15, s15, 0xffff
	v_lshl_add_u32 v4, v0, 2, 0
	s_lshl_b32 s20, s15, 2
	s_mov_b64 s[8:9], 0
	v_mov_b32_e32 v5, s21
	v_mov_b32_e32 v6, s17
	s_mov_b32 s21, 0xbfb8aa3b
	s_mov_b32 s22, 0x42ce8ed0
	s_mov_b32 s23, 0xc2b17218
	v_mov_b32_e32 v7, 0x7f800000
	v_mov_b32_e32 v2, v0
.LBB244_2:                              ; =>This Inner Loop Header: Depth=1
	v_ashrrev_i32_e32 v3, 31, v2
	v_lshlrev_b64 v[8:9], 2, v[2:3]
	v_add_co_u32_e32 v10, vcc, s7, v8
	v_addc_co_u32_e32 v11, vcc, v5, v9, vcc
	global_load_dword v3, v[10:11], off
	v_add_co_u32_e32 v8, vcc, s16, v8
	v_addc_co_u32_e32 v9, vcc, v6, v9, vcc
	global_load_dword v8, v[8:9], off
	v_add_u32_e32 v2, s15, v2
	v_cmp_le_i32_e32 vcc, s12, v2
	s_or_b64 s[8:9], vcc, s[8:9]
	s_waitcnt vmcnt(1)
	v_mul_f32_e32 v9, 0xbfb8aa3b, v3
	v_fma_f32 v10, v3, s21, -v9
	v_rndne_f32_e32 v11, v9
	v_fmac_f32_e32 v10, 0xb2a5705f, v3
	v_sub_f32_e32 v9, v9, v11
	v_add_f32_e32 v9, v9, v10
	v_cvt_i32_f32_e32 v11, v11
	v_exp_f32_e32 v9, v9
	v_cmp_nlt_f32_e32 vcc, s22, v3
	v_ldexp_f32 v9, v9, v11
	v_cndmask_b32_e32 v9, 0, v9, vcc
	v_cmp_ngt_f32_e32 vcc, s23, v3
	v_cndmask_b32_e32 v3, v7, v9, vcc
	v_add_f32_e32 v3, 1.0, v3
	v_div_scale_f32 v9, s[24:25], v3, v3, 1.0
	v_rcp_f32_e32 v10, v9
	v_div_scale_f32 v11, vcc, 1.0, v3, 1.0
	v_fma_f32 v12, -v9, v10, 1.0
	v_fmac_f32_e32 v10, v12, v10
	v_mul_f32_e32 v12, v11, v10
	v_fma_f32 v13, -v9, v12, v11
	v_fmac_f32_e32 v12, v13, v10
	v_fma_f32 v9, -v9, v12, v11
	v_div_fmas_f32 v9, v9, v10, v12
	v_div_fixup_f32 v3, v9, v3, 1.0
	s_waitcnt vmcnt(0)
	v_add_f32_e32 v3, v8, v3
	ds_write_b32 v4, v3
	v_add_u32_e32 v4, s20, v4
	s_andn2_b64 exec, exec, s[8:9]
	s_cbranch_execnz .LBB244_2
.LBB244_3:
	s_or_b64 exec, exec, s[2:3]
	s_lshr_b32 s2, s12, 31
	s_add_i32 s2, s12, s2
	s_ashr_i32 s15, s2, 1
	s_lshl_b32 s2, s12, 2
	s_add_i32 s7, s2, 0
	v_cmp_gt_u32_e32 vcc, 64, v0
	s_waitcnt lgkmcnt(0)
	s_barrier
	s_and_saveexec_b64 s[20:21], vcc
	s_cbranch_execz .LBB244_12
; %bb.4:
	s_load_dword s8, s[4:5], 0x4c
	v_lshrrev_b32_e32 v3, 5, v0
	v_and_b32_e32 v2, 31, v0
	v_mul_lo_u32 v4, s15, v3
	v_lshlrev_b32_e32 v4, 2, v4
	s_waitcnt lgkmcnt(0)
	s_bfe_u32 s28, s8, 0xb0005
	v_lshlrev_b32_e32 v5, 2, v2
	s_mul_i32 s8, s15, s28
	v_cmp_gt_i32_e32 vcc, s15, v2
	v_cmp_eq_u32_e64 s[2:3], 0, v2
	v_add3_u32 v4, v4, v5, 0
	s_lshl_b32 s29, s8, 2
	s_mov_b64 s[22:23], 0
	s_branch .LBB244_6
.LBB244_5:                              ;   in Loop: Header=BB244_6 Depth=1
	s_or_b64 exec, exec, s[8:9]
	v_add_u32_e32 v3, s28, v3
	v_cmp_lt_u32_e64 s[8:9], 1, v3
	s_or_b64 s[22:23], s[8:9], s[22:23]
	v_add_u32_e32 v4, s29, v4
	s_andn2_b64 exec, exec, s[22:23]
	s_cbranch_execz .LBB244_12
.LBB244_6:                              ; =>This Loop Header: Depth=1
                                        ;     Child Loop BB244_8 Depth 2
	v_mov_b32_e32 v5, 0xff800000
	v_mov_b32_e32 v6, 0xff800000
	s_and_saveexec_b64 s[24:25], vcc
	s_cbranch_execz .LBB244_10
; %bb.7:                                ;   in Loop: Header=BB244_6 Depth=1
	s_mov_b64 s[26:27], 0
	v_mov_b32_e32 v5, 0xff800000
	v_mov_b32_e32 v7, v4
	;; [unrolled: 1-line block ×4, first 2 shown]
.LBB244_8:                              ;   Parent Loop BB244_6 Depth=1
                                        ; =>  This Inner Loop Header: Depth=2
	ds_read_b32 v9, v7
	v_add_u32_e32 v8, 32, v8
	v_max_f32_e32 v6, v6, v6
	v_cmp_le_i32_e64 s[8:9], s15, v8
	v_max_f32_e32 v10, v5, v5
	s_waitcnt lgkmcnt(0)
	v_max_f32_e32 v11, v9, v9
	s_or_b64 s[26:27], s[8:9], s[26:27]
	v_max_f32_e32 v6, v11, v6
	v_cmp_gt_f32_e64 s[8:9], v9, v5
	v_add_u32_e32 v7, 0x80, v7
	v_cndmask_b32_e64 v6, v6, v5, s[8:9]
	v_max_f32_e32 v5, v11, v10
	s_andn2_b64 exec, exec, s[26:27]
	s_cbranch_execnz .LBB244_8
; %bb.9:                                ;   in Loop: Header=BB244_6 Depth=1
	s_or_b64 exec, exec, s[26:27]
.LBB244_10:                             ;   in Loop: Header=BB244_6 Depth=1
	s_or_b64 exec, exec, s[24:25]
	s_and_saveexec_b64 s[8:9], s[2:3]
	s_cbranch_execz .LBB244_5
; %bb.11:                               ;   in Loop: Header=BB244_6 Depth=1
	v_lshl_add_u32 v7, v3, 2, s7
	v_add_f32_e32 v5, v6, v5
	ds_write_b32 v7, v5
	s_branch .LBB244_5
.LBB244_12:
	s_or_b64 exec, exec, s[20:21]
	s_cmp_lt_i32 s14, 1
	s_waitcnt lgkmcnt(0)
	s_barrier
	s_cbranch_scc1 .LBB244_15
; %bb.13:
	v_mov_b32_e32 v2, s7
	s_mov_b32 s2, 0xff800000
	v_mov_b32_e32 v3, 0xff800000
.LBB244_14:                             ; =>This Inner Loop Header: Depth=1
	ds_read2_b32 v[4:5], v2 offset1:1
	s_add_i32 s14, s14, -1
	s_cmp_lg_u32 s14, 0
	s_waitcnt lgkmcnt(0)
	v_cmp_nlg_f32_e32 vcc, s2, v4
	v_cndmask_b32_e64 v6, 0, 1, vcc
	v_cmp_lg_f32_e32 vcc, s2, v4
	v_cndmask_b32_e32 v4, v3, v4, vcc
	v_lshlrev_b32_e32 v6, 1, v6
	v_cmp_ngt_f32_e32 vcc, v5, v4
	v_cndmask_b32_e32 v4, 1, v6, vcc
	v_lshlrev_b32_e32 v4, 2, v4
	v_add_u32_e32 v4, s7, v4
	ds_write_b32 v4, v3
	s_cbranch_scc1 .LBB244_14
.LBB244_15:
	s_and_saveexec_b64 s[2:3], s[0:1]
	s_cbranch_execz .LBB244_20
; %bb.16:
	s_abs_i32 s20, s15
	v_cvt_f32_u32_e32 v3, s20
	s_load_dword s14, s[4:5], 0x4c
	s_ashr_i32 s21, s15, 31
	s_sub_i32 s15, 0, s20
	v_rcp_iflag_f32_e32 v4, v3
	v_lshl_add_u32 v2, v0, 2, 0
	s_waitcnt lgkmcnt(0)
	s_and_b32 s23, s14, 0xffff
	s_mov_b64 s[8:9], 0
	v_mul_f32_e32 v4, 0x4f7ffffe, v4
	v_cvt_u32_f32_e32 v4, v4
	s_mov_b32 s22, 0xff800000
	v_mov_b32_e32 v3, 0xff800000
	s_lshl_b32 s24, s23, 2
	v_mul_lo_u32 v5, s15, v4
	v_mul_hi_u32 v5, v4, v5
	v_add_u32_e32 v4, v4, v5
	v_mov_b32_e32 v5, v0
	s_branch .LBB244_18
.LBB244_17:                             ;   in Loop: Header=BB244_18 Depth=1
	s_or_b64 exec, exec, s[14:15]
	v_add_u32_e32 v5, s23, v5
	v_cmp_le_i32_e32 vcc, s12, v5
	s_or_b64 s[8:9], vcc, s[8:9]
	v_add_u32_e32 v2, s24, v2
	s_andn2_b64 exec, exec, s[8:9]
	s_cbranch_execz .LBB244_20
.LBB244_18:                             ; =>This Inner Loop Header: Depth=1
	v_sub_u32_e32 v7, 0, v5
	v_max_i32_e32 v7, v5, v7
	v_mul_hi_u32 v8, v7, v4
	v_mul_lo_u32 v9, v8, s20
	v_sub_u32_e32 v7, v7, v9
	v_add_u32_e32 v9, 1, v8
	v_cmp_le_u32_e32 vcc, s20, v7
	v_cndmask_b32_e32 v8, v8, v9, vcc
	v_subrev_u32_e32 v9, s20, v7
	v_cndmask_b32_e32 v7, v7, v9, vcc
	v_ashrrev_i32_e32 v6, 31, v5
	v_add_u32_e32 v9, 1, v8
	v_cmp_le_u32_e32 vcc, s20, v7
	v_xor_b32_e32 v6, s21, v6
	v_cndmask_b32_e32 v7, v8, v9, vcc
	v_xor_b32_e32 v7, v7, v6
	v_sub_u32_e32 v6, v7, v6
	v_lshl_add_u32 v6, v6, 2, s7
	ds_read_b32 v6, v6
	s_waitcnt lgkmcnt(0)
	v_cmp_neq_f32_e32 vcc, s22, v6
	s_and_saveexec_b64 s[14:15], vcc
	s_cbranch_execz .LBB244_17
; %bb.19:                               ;   in Loop: Header=BB244_18 Depth=1
	ds_write_b32 v2, v3
	s_branch .LBB244_17
.LBB244_20:
	s_or_b64 exec, exec, s[2:3]
	s_cmp_lt_i32 s13, 1
	s_waitcnt lgkmcnt(0)
	s_barrier
	s_cbranch_scc1 .LBB244_27
; %bb.21:
	s_add_u32 s2, s4, 64
	s_addc_u32 s3, s5, 0
	s_mov_b32 s7, 0
	v_mov_b32_e32 v3, 0
	v_mov_b32_e32 v5, 0xff800000
                                        ; implicit-def: $vgpr4
                                        ; implicit-def: $vgpr2
	s_branch .LBB244_23
.LBB244_22:                             ;   in Loop: Header=BB244_23 Depth=1
	s_or_b64 exec, exec, s[8:9]
	v_mov_b32_dpp v9, v7 quad_perm:[1,0,3,2] row_mask:0xf bank_mask:0xf
	v_cmp_lt_f32_e32 vcc, v7, v9
	v_cndmask_b32_e32 v7, v7, v9, vcc
	v_mov_b32_dpp v8, v6 quad_perm:[1,0,3,2] row_mask:0xf bank_mask:0xf
	v_cndmask_b32_e32 v6, v6, v8, vcc
	v_mov_b32_dpp v9, v7 quad_perm:[2,3,0,1] row_mask:0xf bank_mask:0xf
	v_cmp_gt_f32_e32 vcc, v9, v7
	v_cndmask_b32_e32 v7, v7, v9, vcc
	v_mov_b32_dpp v8, v6 quad_perm:[2,3,0,1] row_mask:0xf bank_mask:0xf
	v_cndmask_b32_e32 v6, v6, v8, vcc
	v_mov_b32_dpp v9, v7 row_half_mirror row_mask:0xf bank_mask:0xf
	v_cmp_gt_f32_e32 vcc, v9, v7
	v_cndmask_b32_e32 v7, v7, v9, vcc
	v_mov_b32_dpp v8, v6 row_half_mirror row_mask:0xf bank_mask:0xf
	v_cndmask_b32_e32 v6, v6, v8, vcc
	v_mov_b32_dpp v9, v7 row_mirror row_mask:0xf bank_mask:0xf
	v_cmp_gt_f32_e32 vcc, v9, v7
	v_cndmask_b32_e32 v7, v7, v9, vcc
	v_mov_b32_dpp v8, v6 row_mirror row_mask:0xf bank_mask:0xf
	v_cndmask_b32_e32 v6, v6, v8, vcc
	v_mov_b32_dpp v9, v7 row_bcast:15 row_mask:0xf bank_mask:0xf
	v_cmp_gt_f32_e32 vcc, v9, v7
	v_mov_b32_dpp v8, v6 row_bcast:15 row_mask:0xf bank_mask:0xf
	v_cndmask_b32_e32 v7, v7, v9, vcc
	v_cndmask_b32_e32 v6, v6, v8, vcc
	s_nop 0
	v_mov_b32_dpp v9, v7 row_bcast:31 row_mask:0xf bank_mask:0xf
	v_mov_b32_dpp v8, v6 row_bcast:31 row_mask:0xf bank_mask:0xf
	v_cmp_gt_f32_e32 vcc, v9, v7
	v_cndmask_b32_e32 v6, v6, v8, vcc
	v_readlane_b32 s8, v6, 63
	s_ashr_i32 s9, s8, 31
	s_lshl_b64 s[14:15], s[8:9], 2
	s_add_u32 s14, s16, s14
	s_addc_u32 s15, s17, s15
	s_load_dword s9, s[14:15], 0x0
	v_cndmask_b32_e32 v6, v7, v9, vcc
	v_readlane_b32 s14, v6, 63
	v_cmp_eq_u32_e32 vcc, s7, v0
	s_add_i32 s7, s7, 1
	s_waitcnt lgkmcnt(0)
	v_mov_b32_e32 v6, s9
	s_lshl_b32 s9, s8, 2
	s_add_i32 s9, s9, 0
	v_mov_b32_e32 v7, s9
	v_sub_f32_e32 v6, s14, v6
	ds_write_b32 v7, v5
	v_mov_b32_e32 v7, s8
	v_cndmask_b32_e32 v2, v2, v7, vcc
	v_cndmask_b32_e32 v4, v4, v6, vcc
	s_cmp_eq_u32 s7, s13
	v_add_f32_e32 v3, v3, v6
	s_cbranch_scc1 .LBB244_28
.LBB244_23:                             ; =>This Loop Header: Depth=1
                                        ;     Child Loop BB244_25 Depth 2
	v_mov_b32_e32 v6, s7
	v_mov_b32_e32 v7, 0xff800000
	s_and_saveexec_b64 s[8:9], s[0:1]
	s_cbranch_execz .LBB244_22
; %bb.24:                               ;   in Loop: Header=BB244_23 Depth=1
	s_load_dword s20, s[2:3], 0xc
	s_mov_b64 s[14:15], 0
	v_mov_b32_e32 v6, s7
	v_mov_b32_e32 v7, 0xff800000
	;; [unrolled: 1-line block ×3, first 2 shown]
	s_waitcnt lgkmcnt(0)
	s_and_b32 s20, s20, 0xffff
	s_lshl_b32 s21, s20, 2
	v_mov_b32_e32 v9, v0
.LBB244_25:                             ;   Parent Loop BB244_23 Depth=1
                                        ; =>  This Inner Loop Header: Depth=2
	ds_read_b32 v10, v8
	v_add_u32_e32 v8, s21, v8
	s_waitcnt lgkmcnt(0)
	v_cmp_gt_f32_e32 vcc, v10, v7
	v_cndmask_b32_e32 v6, v6, v9, vcc
	v_add_u32_e32 v9, s20, v9
	v_cndmask_b32_e32 v7, v7, v10, vcc
	v_cmp_le_i32_e32 vcc, s12, v9
	s_or_b64 s[14:15], vcc, s[14:15]
	s_andn2_b64 exec, exec, s[14:15]
	s_cbranch_execnz .LBB244_25
; %bb.26:                               ;   in Loop: Header=BB244_23 Depth=1
	s_or_b64 exec, exec, s[14:15]
	s_branch .LBB244_22
.LBB244_27:
	v_mov_b32_e32 v3, 0
                                        ; implicit-def: $vgpr4
                                        ; implicit-def: $vgpr2
.LBB244_28:
	v_cmp_gt_i32_e32 vcc, s13, v0
	s_and_saveexec_b64 s[0:1], vcc
	s_cbranch_execz .LBB244_31
; %bb.29:
	s_load_dword s7, s[4:5], 0x38
	s_load_dwordx2 s[0:1], s[4:5], 0x20
	s_load_dword s8, s[4:5], 0x4c
	s_waitcnt lgkmcnt(0)
	v_div_scale_f32 v1, s[2:3], v3, v3, s7
	v_rcp_f32_e32 v5, v1
	v_div_scale_f32 v6, vcc, s7, v3, s7
	s_ashr_i32 s2, s6, 31
	v_fma_f32 v7, -v1, v5, 1.0
	v_fmac_f32_e32 v5, v7, v5
	v_mul_f32_e32 v7, v6, v5
	v_fma_f32 v8, -v1, v7, v6
	v_fmac_f32_e32 v7, v8, v5
	v_fma_f32 v1, -v1, v7, v6
	s_mul_i32 s1, s6, s1
	s_mul_hi_u32 s3, s6, s0
	v_div_fmas_f32 v1, v1, v5, v7
	s_add_i32 s1, s3, s1
	s_mul_i32 s2, s2, s0
	v_div_fixup_f32 v1, v1, v3, s7
	s_add_i32 s4, s1, s2
	v_mul_f32_e32 v1, v1, v4
	s_mul_i32 s2, s6, s0
	s_and_b32 s3, s8, 0xffff
	s_mov_b64 s[0:1], 0
	v_mov_b32_e32 v3, s4
	v_mov_b32_e32 v4, s19
	v_mov_b32_e32 v5, s11
.LBB244_30:                             ; =>This Inner Loop Header: Depth=1
	v_ashrrev_i32_e32 v7, 31, v0
	v_add_co_u32_e32 v6, vcc, s2, v0
	v_addc_co_u32_e32 v7, vcc, v3, v7, vcc
	v_add_u32_e32 v0, s3, v0
	v_cmp_le_i32_e32 vcc, s13, v0
	v_lshlrev_b64 v[6:7], 2, v[6:7]
	s_or_b64 s[0:1], vcc, s[0:1]
	v_add_co_u32_e32 v8, vcc, s18, v6
	v_addc_co_u32_e32 v9, vcc, v4, v7, vcc
	v_add_co_u32_e32 v6, vcc, s10, v6
	v_addc_co_u32_e32 v7, vcc, v5, v7, vcc
	global_store_dword v[8:9], v1, off
	global_store_dword v[6:7], v2, off
	s_andn2_b64 exec, exec, s[0:1]
	s_cbranch_execnz .LBB244_30
.LBB244_31:
	s_endpgm
	.section	.rodata,"a",@progbits
	.p2align	6, 0x0
	.amdhsa_kernel _ZN5aiter19grouped_topk_kernelIfDv1_fLi2ELb1ELb1ELb0EEEvPT_PKS2_PfPimiiiif
		.amdhsa_group_segment_fixed_size 0
		.amdhsa_private_segment_fixed_size 0
		.amdhsa_kernarg_size 320
		.amdhsa_user_sgpr_count 6
		.amdhsa_user_sgpr_private_segment_buffer 1
		.amdhsa_user_sgpr_dispatch_ptr 0
		.amdhsa_user_sgpr_queue_ptr 0
		.amdhsa_user_sgpr_kernarg_segment_ptr 1
		.amdhsa_user_sgpr_dispatch_id 0
		.amdhsa_user_sgpr_flat_scratch_init 0
		.amdhsa_user_sgpr_kernarg_preload_length 0
		.amdhsa_user_sgpr_kernarg_preload_offset 0
		.amdhsa_user_sgpr_private_segment_size 0
		.amdhsa_uses_dynamic_stack 0
		.amdhsa_system_sgpr_private_segment_wavefront_offset 0
		.amdhsa_system_sgpr_workgroup_id_x 1
		.amdhsa_system_sgpr_workgroup_id_y 0
		.amdhsa_system_sgpr_workgroup_id_z 0
		.amdhsa_system_sgpr_workgroup_info 0
		.amdhsa_system_vgpr_workitem_id 0
		.amdhsa_next_free_vgpr 14
		.amdhsa_next_free_sgpr 30
		.amdhsa_accum_offset 16
		.amdhsa_reserve_vcc 1
		.amdhsa_reserve_flat_scratch 0
		.amdhsa_float_round_mode_32 0
		.amdhsa_float_round_mode_16_64 0
		.amdhsa_float_denorm_mode_32 3
		.amdhsa_float_denorm_mode_16_64 3
		.amdhsa_dx10_clamp 1
		.amdhsa_ieee_mode 1
		.amdhsa_fp16_overflow 0
		.amdhsa_tg_split 0
		.amdhsa_exception_fp_ieee_invalid_op 0
		.amdhsa_exception_fp_denorm_src 0
		.amdhsa_exception_fp_ieee_div_zero 0
		.amdhsa_exception_fp_ieee_overflow 0
		.amdhsa_exception_fp_ieee_underflow 0
		.amdhsa_exception_fp_ieee_inexact 0
		.amdhsa_exception_int_div_zero 0
	.end_amdhsa_kernel
	.section	.text._ZN5aiter19grouped_topk_kernelIfDv1_fLi2ELb1ELb1ELb0EEEvPT_PKS2_PfPimiiiif,"axG",@progbits,_ZN5aiter19grouped_topk_kernelIfDv1_fLi2ELb1ELb1ELb0EEEvPT_PKS2_PfPimiiiif,comdat
.Lfunc_end244:
	.size	_ZN5aiter19grouped_topk_kernelIfDv1_fLi2ELb1ELb1ELb0EEEvPT_PKS2_PfPimiiiif, .Lfunc_end244-_ZN5aiter19grouped_topk_kernelIfDv1_fLi2ELb1ELb1ELb0EEEvPT_PKS2_PfPimiiiif
                                        ; -- End function
	.section	.AMDGPU.csdata,"",@progbits
; Kernel info:
; codeLenInByte = 1800
; NumSgprs: 34
; NumVgprs: 14
; NumAgprs: 0
; TotalNumVgprs: 14
; ScratchSize: 0
; MemoryBound: 0
; FloatMode: 240
; IeeeMode: 1
; LDSByteSize: 0 bytes/workgroup (compile time only)
; SGPRBlocks: 4
; VGPRBlocks: 1
; NumSGPRsForWavesPerEU: 34
; NumVGPRsForWavesPerEU: 14
; AccumOffset: 16
; Occupancy: 8
; WaveLimiterHint : 0
; COMPUTE_PGM_RSRC2:SCRATCH_EN: 0
; COMPUTE_PGM_RSRC2:USER_SGPR: 6
; COMPUTE_PGM_RSRC2:TRAP_HANDLER: 0
; COMPUTE_PGM_RSRC2:TGID_X_EN: 1
; COMPUTE_PGM_RSRC2:TGID_Y_EN: 0
; COMPUTE_PGM_RSRC2:TGID_Z_EN: 0
; COMPUTE_PGM_RSRC2:TIDIG_COMP_CNT: 0
; COMPUTE_PGM_RSRC3_GFX90A:ACCUM_OFFSET: 3
; COMPUTE_PGM_RSRC3_GFX90A:TG_SPLIT: 0
	.section	.text._ZN5aiter19grouped_topk_kernelIN3c104HalfEDv1_fLi2ELb1ELb1ELb0EEEvPT_PKS4_PfPimiiiif,"axG",@progbits,_ZN5aiter19grouped_topk_kernelIN3c104HalfEDv1_fLi2ELb1ELb1ELb0EEEvPT_PKS4_PfPimiiiif,comdat
	.protected	_ZN5aiter19grouped_topk_kernelIN3c104HalfEDv1_fLi2ELb1ELb1ELb0EEEvPT_PKS4_PfPimiiiif ; -- Begin function _ZN5aiter19grouped_topk_kernelIN3c104HalfEDv1_fLi2ELb1ELb1ELb0EEEvPT_PKS4_PfPimiiiif
	.globl	_ZN5aiter19grouped_topk_kernelIN3c104HalfEDv1_fLi2ELb1ELb1ELb0EEEvPT_PKS4_PfPimiiiif
	.p2align	8
	.type	_ZN5aiter19grouped_topk_kernelIN3c104HalfEDv1_fLi2ELb1ELb1ELb0EEEvPT_PKS4_PfPimiiiif,@function
_ZN5aiter19grouped_topk_kernelIN3c104HalfEDv1_fLi2ELb1ELb1ELb0EEEvPT_PKS4_PfPimiiiif: ; @_ZN5aiter19grouped_topk_kernelIN3c104HalfEDv1_fLi2ELb1ELb1ELb0EEEvPT_PKS4_PfPimiiiif
; %bb.0:
	s_load_dwordx4 s[12:15], s[4:5], 0x28
	s_load_dwordx4 s[16:19], s[4:5], 0x8
	s_load_dwordx2 s[10:11], s[4:5], 0x18
	v_lshl_add_u32 v1, v0, 2, 0
	s_waitcnt lgkmcnt(0)
	v_cmp_gt_i32_e64 s[0:1], s12, v0
	s_and_saveexec_b64 s[2:3], s[0:1]
	s_cbranch_execz .LBB245_3
; %bb.1:
	s_load_dwordx2 s[8:9], s[4:5], 0x0
	s_load_dword s15, s[4:5], 0x4c
	s_mul_i32 s20, s6, s12
	s_ashr_i32 s21, s20, 31
	s_lshl_b64 s[20:21], s[20:21], 1
	s_waitcnt lgkmcnt(0)
	s_add_u32 s7, s8, s20
	s_addc_u32 s21, s9, s21
	s_and_b32 s15, s15, 0xffff
	v_lshl_add_u32 v4, v0, 2, 0
	s_lshl_b32 s20, s15, 2
	s_mov_b64 s[8:9], 0
	v_mov_b32_e32 v5, s21
	v_mov_b32_e32 v6, s17
	s_mov_b32 s21, 0x3fb8aa3b
	s_mov_b32 s22, 0x32a5705f
	;; [unrolled: 1-line block ×4, first 2 shown]
	v_mov_b32_e32 v7, 0x7f800000
	v_mov_b32_e32 v2, v0
.LBB245_2:                              ; =>This Inner Loop Header: Depth=1
	v_ashrrev_i32_e32 v3, 31, v2
	v_lshlrev_b64 v[8:9], 1, v[2:3]
	v_add_co_u32_e32 v10, vcc, s7, v8
	v_addc_co_u32_e32 v11, vcc, v5, v9, vcc
	v_add_co_u32_e32 v8, vcc, s16, v8
	v_addc_co_u32_e32 v9, vcc, v6, v9, vcc
	global_load_ushort v3, v[10:11], off
	global_load_ushort v12, v[8:9], off
	v_add_u32_e32 v2, s15, v2
	v_cmp_le_i32_e32 vcc, s12, v2
	s_or_b64 s[8:9], vcc, s[8:9]
	s_waitcnt vmcnt(1)
	v_cvt_f32_f16_e64 v8, -v3
	s_waitcnt vmcnt(0)
	v_cvt_f32_f16_e32 v9, v12
	v_mul_f32_e32 v10, 0x3fb8aa3b, v8
	v_fma_mix_f32 v11, -v3, s21, -v10 op_sel_hi:[1,0,0]
	v_rndne_f32_e32 v12, v10
	v_fma_mix_f32 v3, -v3, s22, v11 op_sel_hi:[1,0,0]
	v_sub_f32_e32 v10, v10, v12
	v_add_f32_e32 v3, v10, v3
	v_cvt_i32_f32_e32 v11, v12
	v_exp_f32_e32 v3, v3
	v_cmp_ngt_f32_e32 vcc, s23, v8
	v_ldexp_f32 v3, v3, v11
	v_cndmask_b32_e32 v3, 0, v3, vcc
	v_cmp_nlt_f32_e32 vcc, s24, v8
	v_cndmask_b32_e32 v3, v7, v3, vcc
	v_add_f32_e32 v3, 1.0, v3
	v_div_scale_f32 v8, s[26:27], v3, v3, 1.0
	v_rcp_f32_e32 v10, v8
	v_div_scale_f32 v11, vcc, 1.0, v3, 1.0
	v_fma_f32 v12, -v8, v10, 1.0
	v_fmac_f32_e32 v10, v12, v10
	v_mul_f32_e32 v12, v11, v10
	v_fma_f32 v13, -v8, v12, v11
	v_fmac_f32_e32 v12, v13, v10
	v_fma_f32 v8, -v8, v12, v11
	v_div_fmas_f32 v8, v8, v10, v12
	v_div_fixup_f32 v3, v8, v3, 1.0
	v_add_f32_e32 v3, v3, v9
	ds_write_b32 v4, v3
	v_add_u32_e32 v4, s20, v4
	s_andn2_b64 exec, exec, s[8:9]
	s_cbranch_execnz .LBB245_2
.LBB245_3:
	s_or_b64 exec, exec, s[2:3]
	s_lshr_b32 s2, s12, 31
	s_add_i32 s2, s12, s2
	s_ashr_i32 s15, s2, 1
	s_lshl_b32 s2, s12, 2
	s_add_i32 s7, s2, 0
	v_cmp_gt_u32_e32 vcc, 64, v0
	s_waitcnt lgkmcnt(0)
	s_barrier
	s_and_saveexec_b64 s[20:21], vcc
	s_cbranch_execz .LBB245_12
; %bb.4:
	s_load_dword s8, s[4:5], 0x4c
	v_lshrrev_b32_e32 v3, 5, v0
	v_and_b32_e32 v2, 31, v0
	v_mul_lo_u32 v4, s15, v3
	v_lshlrev_b32_e32 v4, 2, v4
	s_waitcnt lgkmcnt(0)
	s_bfe_u32 s28, s8, 0xb0005
	v_lshlrev_b32_e32 v5, 2, v2
	s_mul_i32 s8, s15, s28
	v_cmp_gt_i32_e32 vcc, s15, v2
	v_cmp_eq_u32_e64 s[2:3], 0, v2
	v_add3_u32 v4, v4, v5, 0
	s_lshl_b32 s29, s8, 2
	s_mov_b64 s[22:23], 0
	s_branch .LBB245_6
.LBB245_5:                              ;   in Loop: Header=BB245_6 Depth=1
	s_or_b64 exec, exec, s[8:9]
	v_add_u32_e32 v3, s28, v3
	v_cmp_lt_u32_e64 s[8:9], 1, v3
	s_or_b64 s[22:23], s[8:9], s[22:23]
	v_add_u32_e32 v4, s29, v4
	s_andn2_b64 exec, exec, s[22:23]
	s_cbranch_execz .LBB245_12
.LBB245_6:                              ; =>This Loop Header: Depth=1
                                        ;     Child Loop BB245_8 Depth 2
	v_mov_b32_e32 v5, 0xff800000
	v_mov_b32_e32 v6, 0xff800000
	s_and_saveexec_b64 s[24:25], vcc
	s_cbranch_execz .LBB245_10
; %bb.7:                                ;   in Loop: Header=BB245_6 Depth=1
	s_mov_b64 s[26:27], 0
	v_mov_b32_e32 v5, 0xff800000
	v_mov_b32_e32 v7, v4
	;; [unrolled: 1-line block ×4, first 2 shown]
.LBB245_8:                              ;   Parent Loop BB245_6 Depth=1
                                        ; =>  This Inner Loop Header: Depth=2
	ds_read_b32 v9, v7
	v_add_u32_e32 v8, 32, v8
	v_max_f32_e32 v6, v6, v6
	v_cmp_le_i32_e64 s[8:9], s15, v8
	v_max_f32_e32 v10, v5, v5
	s_waitcnt lgkmcnt(0)
	v_max_f32_e32 v11, v9, v9
	s_or_b64 s[26:27], s[8:9], s[26:27]
	v_max_f32_e32 v6, v11, v6
	v_cmp_gt_f32_e64 s[8:9], v9, v5
	v_add_u32_e32 v7, 0x80, v7
	v_cndmask_b32_e64 v6, v6, v5, s[8:9]
	v_max_f32_e32 v5, v11, v10
	s_andn2_b64 exec, exec, s[26:27]
	s_cbranch_execnz .LBB245_8
; %bb.9:                                ;   in Loop: Header=BB245_6 Depth=1
	s_or_b64 exec, exec, s[26:27]
.LBB245_10:                             ;   in Loop: Header=BB245_6 Depth=1
	s_or_b64 exec, exec, s[24:25]
	s_and_saveexec_b64 s[8:9], s[2:3]
	s_cbranch_execz .LBB245_5
; %bb.11:                               ;   in Loop: Header=BB245_6 Depth=1
	v_lshl_add_u32 v7, v3, 2, s7
	v_add_f32_e32 v5, v6, v5
	ds_write_b32 v7, v5
	s_branch .LBB245_5
.LBB245_12:
	s_or_b64 exec, exec, s[20:21]
	s_cmp_lt_i32 s14, 1
	s_waitcnt lgkmcnt(0)
	s_barrier
	s_cbranch_scc1 .LBB245_15
; %bb.13:
	v_mov_b32_e32 v2, s7
	s_mov_b32 s2, 0xff800000
	v_mov_b32_e32 v3, 0xff800000
.LBB245_14:                             ; =>This Inner Loop Header: Depth=1
	ds_read2_b32 v[4:5], v2 offset1:1
	s_add_i32 s14, s14, -1
	s_cmp_lg_u32 s14, 0
	s_waitcnt lgkmcnt(0)
	v_cmp_nlg_f32_e32 vcc, s2, v4
	v_cndmask_b32_e64 v6, 0, 1, vcc
	v_cmp_lg_f32_e32 vcc, s2, v4
	v_cndmask_b32_e32 v4, v3, v4, vcc
	v_lshlrev_b32_e32 v6, 1, v6
	v_cmp_ngt_f32_e32 vcc, v5, v4
	v_cndmask_b32_e32 v4, 1, v6, vcc
	v_lshlrev_b32_e32 v4, 2, v4
	v_add_u32_e32 v4, s7, v4
	ds_write_b32 v4, v3
	s_cbranch_scc1 .LBB245_14
.LBB245_15:
	s_and_saveexec_b64 s[2:3], s[0:1]
	s_cbranch_execz .LBB245_20
; %bb.16:
	s_abs_i32 s20, s15
	v_cvt_f32_u32_e32 v3, s20
	s_load_dword s14, s[4:5], 0x4c
	s_ashr_i32 s21, s15, 31
	s_sub_i32 s15, 0, s20
	v_rcp_iflag_f32_e32 v4, v3
	v_lshl_add_u32 v2, v0, 2, 0
	s_waitcnt lgkmcnt(0)
	s_and_b32 s23, s14, 0xffff
	s_mov_b64 s[8:9], 0
	v_mul_f32_e32 v4, 0x4f7ffffe, v4
	v_cvt_u32_f32_e32 v4, v4
	s_mov_b32 s22, 0xff800000
	v_mov_b32_e32 v3, 0xff800000
	s_lshl_b32 s24, s23, 2
	v_mul_lo_u32 v5, s15, v4
	v_mul_hi_u32 v5, v4, v5
	v_add_u32_e32 v4, v4, v5
	v_mov_b32_e32 v5, v0
	s_branch .LBB245_18
.LBB245_17:                             ;   in Loop: Header=BB245_18 Depth=1
	s_or_b64 exec, exec, s[14:15]
	v_add_u32_e32 v5, s23, v5
	v_cmp_le_i32_e32 vcc, s12, v5
	s_or_b64 s[8:9], vcc, s[8:9]
	v_add_u32_e32 v2, s24, v2
	s_andn2_b64 exec, exec, s[8:9]
	s_cbranch_execz .LBB245_20
.LBB245_18:                             ; =>This Inner Loop Header: Depth=1
	v_sub_u32_e32 v7, 0, v5
	v_max_i32_e32 v7, v5, v7
	v_mul_hi_u32 v8, v7, v4
	v_mul_lo_u32 v9, v8, s20
	v_sub_u32_e32 v7, v7, v9
	v_add_u32_e32 v9, 1, v8
	v_cmp_le_u32_e32 vcc, s20, v7
	v_cndmask_b32_e32 v8, v8, v9, vcc
	v_subrev_u32_e32 v9, s20, v7
	v_cndmask_b32_e32 v7, v7, v9, vcc
	v_ashrrev_i32_e32 v6, 31, v5
	v_add_u32_e32 v9, 1, v8
	v_cmp_le_u32_e32 vcc, s20, v7
	v_xor_b32_e32 v6, s21, v6
	v_cndmask_b32_e32 v7, v8, v9, vcc
	v_xor_b32_e32 v7, v7, v6
	v_sub_u32_e32 v6, v7, v6
	v_lshl_add_u32 v6, v6, 2, s7
	ds_read_b32 v6, v6
	s_waitcnt lgkmcnt(0)
	v_cmp_neq_f32_e32 vcc, s22, v6
	s_and_saveexec_b64 s[14:15], vcc
	s_cbranch_execz .LBB245_17
; %bb.19:                               ;   in Loop: Header=BB245_18 Depth=1
	ds_write_b32 v2, v3
	s_branch .LBB245_17
.LBB245_20:
	s_or_b64 exec, exec, s[2:3]
	s_cmp_lt_i32 s13, 1
	s_waitcnt lgkmcnt(0)
	s_barrier
	s_cbranch_scc1 .LBB245_27
; %bb.21:
	s_add_u32 s2, s4, 64
	s_addc_u32 s3, s5, 0
	s_mov_b32 s7, 0
	v_mov_b32_e32 v5, 0
	v_mov_b32_e32 v6, 0xff800000
	;; [unrolled: 1-line block ×3, first 2 shown]
                                        ; implicit-def: $vgpr3
                                        ; implicit-def: $vgpr2
	s_branch .LBB245_23
.LBB245_22:                             ;   in Loop: Header=BB245_23 Depth=1
	s_or_b64 exec, exec, s[8:9]
	v_mov_b32_dpp v10, v8 quad_perm:[1,0,3,2] row_mask:0xf bank_mask:0xf
	v_cmp_lt_f32_e32 vcc, v8, v10
	v_cndmask_b32_e32 v8, v8, v10, vcc
	v_mov_b32_dpp v9, v7 quad_perm:[1,0,3,2] row_mask:0xf bank_mask:0xf
	v_cndmask_b32_e32 v7, v7, v9, vcc
	v_mov_b32_dpp v10, v8 quad_perm:[2,3,0,1] row_mask:0xf bank_mask:0xf
	v_cmp_gt_f32_e32 vcc, v10, v8
	v_cndmask_b32_e32 v8, v8, v10, vcc
	v_mov_b32_dpp v9, v7 quad_perm:[2,3,0,1] row_mask:0xf bank_mask:0xf
	v_cndmask_b32_e32 v7, v7, v9, vcc
	v_mov_b32_dpp v10, v8 row_half_mirror row_mask:0xf bank_mask:0xf
	v_cmp_gt_f32_e32 vcc, v10, v8
	v_cndmask_b32_e32 v8, v8, v10, vcc
	v_mov_b32_dpp v9, v7 row_half_mirror row_mask:0xf bank_mask:0xf
	v_cndmask_b32_e32 v7, v7, v9, vcc
	v_mov_b32_dpp v10, v8 row_mirror row_mask:0xf bank_mask:0xf
	v_cmp_gt_f32_e32 vcc, v10, v8
	v_cndmask_b32_e32 v8, v8, v10, vcc
	v_mov_b32_dpp v9, v7 row_mirror row_mask:0xf bank_mask:0xf
	v_cndmask_b32_e32 v7, v7, v9, vcc
	v_mov_b32_dpp v10, v8 row_bcast:15 row_mask:0xf bank_mask:0xf
	v_cmp_gt_f32_e32 vcc, v10, v8
	v_mov_b32_dpp v9, v7 row_bcast:15 row_mask:0xf bank_mask:0xf
	v_cndmask_b32_e32 v8, v8, v10, vcc
	v_cndmask_b32_e32 v7, v7, v9, vcc
	s_nop 0
	v_mov_b32_dpp v10, v8 row_bcast:31 row_mask:0xf bank_mask:0xf
	v_mov_b32_dpp v9, v7 row_bcast:31 row_mask:0xf bank_mask:0xf
	v_cmp_gt_f32_e32 vcc, v10, v8
	v_cndmask_b32_e32 v7, v7, v9, vcc
	v_readlane_b32 s8, v7, 63
	s_ashr_i32 s9, s8, 31
	s_lshl_b64 s[14:15], s[8:9], 1
	s_add_u32 s14, s16, s14
	s_addc_u32 s15, s17, s15
	global_load_ushort v7, v5, s[14:15]
	v_cndmask_b32_e32 v8, v8, v10, vcc
	v_readlane_b32 s9, v8, 63
	v_mov_b32_e32 v8, s8
	s_lshl_b32 s8, s8, 2
	v_cmp_eq_u32_e32 vcc, s7, v0
	s_add_i32 s7, s7, 1
	s_add_i32 s8, s8, 0
	v_cndmask_b32_e32 v2, v2, v8, vcc
	v_mov_b32_e32 v8, s8
	s_cmp_eq_u32 s7, s13
	ds_write_b32 v8, v6
	s_waitcnt vmcnt(0)
	v_cvt_f32_f16_e32 v7, v7
	v_sub_f32_e32 v7, s9, v7
	v_cndmask_b32_e32 v3, v3, v7, vcc
	v_add_f32_e32 v4, v4, v7
	s_cbranch_scc1 .LBB245_28
.LBB245_23:                             ; =>This Loop Header: Depth=1
                                        ;     Child Loop BB245_25 Depth 2
	v_mov_b32_e32 v7, s7
	v_mov_b32_e32 v8, 0xff800000
	s_and_saveexec_b64 s[8:9], s[0:1]
	s_cbranch_execz .LBB245_22
; %bb.24:                               ;   in Loop: Header=BB245_23 Depth=1
	s_load_dword s20, s[2:3], 0xc
	s_mov_b64 s[14:15], 0
	v_mov_b32_e32 v7, s7
	v_mov_b32_e32 v8, 0xff800000
	;; [unrolled: 1-line block ×3, first 2 shown]
	s_waitcnt lgkmcnt(0)
	s_and_b32 s20, s20, 0xffff
	s_lshl_b32 s21, s20, 2
	v_mov_b32_e32 v10, v0
.LBB245_25:                             ;   Parent Loop BB245_23 Depth=1
                                        ; =>  This Inner Loop Header: Depth=2
	ds_read_b32 v11, v9
	v_add_u32_e32 v9, s21, v9
	s_waitcnt lgkmcnt(0)
	v_cmp_gt_f32_e32 vcc, v11, v8
	v_cndmask_b32_e32 v7, v7, v10, vcc
	v_add_u32_e32 v10, s20, v10
	v_cndmask_b32_e32 v8, v8, v11, vcc
	v_cmp_le_i32_e32 vcc, s12, v10
	s_or_b64 s[14:15], vcc, s[14:15]
	s_andn2_b64 exec, exec, s[14:15]
	s_cbranch_execnz .LBB245_25
; %bb.26:                               ;   in Loop: Header=BB245_23 Depth=1
	s_or_b64 exec, exec, s[14:15]
	s_branch .LBB245_22
.LBB245_27:
	v_mov_b32_e32 v4, 0
                                        ; implicit-def: $vgpr3
                                        ; implicit-def: $vgpr2
.LBB245_28:
	v_cmp_gt_i32_e32 vcc, s13, v0
	s_and_saveexec_b64 s[0:1], vcc
	s_cbranch_execz .LBB245_31
; %bb.29:
	s_load_dword s7, s[4:5], 0x38
	s_load_dwordx2 s[0:1], s[4:5], 0x20
	s_load_dword s8, s[4:5], 0x4c
	s_waitcnt lgkmcnt(0)
	v_div_scale_f32 v1, s[2:3], v4, v4, s7
	v_rcp_f32_e32 v5, v1
	v_div_scale_f32 v6, vcc, s7, v4, s7
	s_ashr_i32 s2, s6, 31
	v_fma_f32 v7, -v1, v5, 1.0
	v_fmac_f32_e32 v5, v7, v5
	v_mul_f32_e32 v7, v6, v5
	v_fma_f32 v8, -v1, v7, v6
	v_fmac_f32_e32 v7, v8, v5
	v_fma_f32 v1, -v1, v7, v6
	s_mul_i32 s1, s6, s1
	s_mul_hi_u32 s3, s6, s0
	v_div_fmas_f32 v1, v1, v5, v7
	s_add_i32 s1, s3, s1
	s_mul_i32 s2, s2, s0
	v_div_fixup_f32 v1, v1, v4, s7
	s_add_i32 s4, s1, s2
	v_mul_f32_e32 v1, v1, v3
	s_mul_i32 s2, s6, s0
	s_and_b32 s3, s8, 0xffff
	s_mov_b64 s[0:1], 0
	v_mov_b32_e32 v3, s4
	v_mov_b32_e32 v4, s19
	;; [unrolled: 1-line block ×3, first 2 shown]
.LBB245_30:                             ; =>This Inner Loop Header: Depth=1
	v_ashrrev_i32_e32 v7, 31, v0
	v_add_co_u32_e32 v6, vcc, s2, v0
	v_addc_co_u32_e32 v7, vcc, v3, v7, vcc
	v_add_u32_e32 v0, s3, v0
	v_cmp_le_i32_e32 vcc, s13, v0
	v_lshlrev_b64 v[6:7], 2, v[6:7]
	s_or_b64 s[0:1], vcc, s[0:1]
	v_add_co_u32_e32 v8, vcc, s18, v6
	v_addc_co_u32_e32 v9, vcc, v4, v7, vcc
	v_add_co_u32_e32 v6, vcc, s10, v6
	v_addc_co_u32_e32 v7, vcc, v5, v7, vcc
	global_store_dword v[8:9], v1, off
	global_store_dword v[6:7], v2, off
	s_andn2_b64 exec, exec, s[0:1]
	s_cbranch_execnz .LBB245_30
.LBB245_31:
	s_endpgm
	.section	.rodata,"a",@progbits
	.p2align	6, 0x0
	.amdhsa_kernel _ZN5aiter19grouped_topk_kernelIN3c104HalfEDv1_fLi2ELb1ELb1ELb0EEEvPT_PKS4_PfPimiiiif
		.amdhsa_group_segment_fixed_size 0
		.amdhsa_private_segment_fixed_size 0
		.amdhsa_kernarg_size 320
		.amdhsa_user_sgpr_count 6
		.amdhsa_user_sgpr_private_segment_buffer 1
		.amdhsa_user_sgpr_dispatch_ptr 0
		.amdhsa_user_sgpr_queue_ptr 0
		.amdhsa_user_sgpr_kernarg_segment_ptr 1
		.amdhsa_user_sgpr_dispatch_id 0
		.amdhsa_user_sgpr_flat_scratch_init 0
		.amdhsa_user_sgpr_kernarg_preload_length 0
		.amdhsa_user_sgpr_kernarg_preload_offset 0
		.amdhsa_user_sgpr_private_segment_size 0
		.amdhsa_uses_dynamic_stack 0
		.amdhsa_system_sgpr_private_segment_wavefront_offset 0
		.amdhsa_system_sgpr_workgroup_id_x 1
		.amdhsa_system_sgpr_workgroup_id_y 0
		.amdhsa_system_sgpr_workgroup_id_z 0
		.amdhsa_system_sgpr_workgroup_info 0
		.amdhsa_system_vgpr_workitem_id 0
		.amdhsa_next_free_vgpr 14
		.amdhsa_next_free_sgpr 30
		.amdhsa_accum_offset 16
		.amdhsa_reserve_vcc 1
		.amdhsa_reserve_flat_scratch 0
		.amdhsa_float_round_mode_32 0
		.amdhsa_float_round_mode_16_64 0
		.amdhsa_float_denorm_mode_32 3
		.amdhsa_float_denorm_mode_16_64 3
		.amdhsa_dx10_clamp 1
		.amdhsa_ieee_mode 1
		.amdhsa_fp16_overflow 0
		.amdhsa_tg_split 0
		.amdhsa_exception_fp_ieee_invalid_op 0
		.amdhsa_exception_fp_denorm_src 0
		.amdhsa_exception_fp_ieee_div_zero 0
		.amdhsa_exception_fp_ieee_overflow 0
		.amdhsa_exception_fp_ieee_underflow 0
		.amdhsa_exception_fp_ieee_inexact 0
		.amdhsa_exception_int_div_zero 0
	.end_amdhsa_kernel
	.section	.text._ZN5aiter19grouped_topk_kernelIN3c104HalfEDv1_fLi2ELb1ELb1ELb0EEEvPT_PKS4_PfPimiiiif,"axG",@progbits,_ZN5aiter19grouped_topk_kernelIN3c104HalfEDv1_fLi2ELb1ELb1ELb0EEEvPT_PKS4_PfPimiiiif,comdat
.Lfunc_end245:
	.size	_ZN5aiter19grouped_topk_kernelIN3c104HalfEDv1_fLi2ELb1ELb1ELb0EEEvPT_PKS4_PfPimiiiif, .Lfunc_end245-_ZN5aiter19grouped_topk_kernelIN3c104HalfEDv1_fLi2ELb1ELb1ELb0EEEvPT_PKS4_PfPimiiiif
                                        ; -- End function
	.section	.AMDGPU.csdata,"",@progbits
; Kernel info:
; codeLenInByte = 1824
; NumSgprs: 34
; NumVgprs: 14
; NumAgprs: 0
; TotalNumVgprs: 14
; ScratchSize: 0
; MemoryBound: 0
; FloatMode: 240
; IeeeMode: 1
; LDSByteSize: 0 bytes/workgroup (compile time only)
; SGPRBlocks: 4
; VGPRBlocks: 1
; NumSGPRsForWavesPerEU: 34
; NumVGPRsForWavesPerEU: 14
; AccumOffset: 16
; Occupancy: 8
; WaveLimiterHint : 0
; COMPUTE_PGM_RSRC2:SCRATCH_EN: 0
; COMPUTE_PGM_RSRC2:USER_SGPR: 6
; COMPUTE_PGM_RSRC2:TRAP_HANDLER: 0
; COMPUTE_PGM_RSRC2:TGID_X_EN: 1
; COMPUTE_PGM_RSRC2:TGID_Y_EN: 0
; COMPUTE_PGM_RSRC2:TGID_Z_EN: 0
; COMPUTE_PGM_RSRC2:TIDIG_COMP_CNT: 0
; COMPUTE_PGM_RSRC3_GFX90A:ACCUM_OFFSET: 3
; COMPUTE_PGM_RSRC3_GFX90A:TG_SPLIT: 0
	.section	.text._ZN5aiter19grouped_topk_kernelIN3c108BFloat16EDv1_fLi2ELb1ELb1ELb0EEEvPT_PKS4_PfPimiiiif,"axG",@progbits,_ZN5aiter19grouped_topk_kernelIN3c108BFloat16EDv1_fLi2ELb1ELb1ELb0EEEvPT_PKS4_PfPimiiiif,comdat
	.protected	_ZN5aiter19grouped_topk_kernelIN3c108BFloat16EDv1_fLi2ELb1ELb1ELb0EEEvPT_PKS4_PfPimiiiif ; -- Begin function _ZN5aiter19grouped_topk_kernelIN3c108BFloat16EDv1_fLi2ELb1ELb1ELb0EEEvPT_PKS4_PfPimiiiif
	.globl	_ZN5aiter19grouped_topk_kernelIN3c108BFloat16EDv1_fLi2ELb1ELb1ELb0EEEvPT_PKS4_PfPimiiiif
	.p2align	8
	.type	_ZN5aiter19grouped_topk_kernelIN3c108BFloat16EDv1_fLi2ELb1ELb1ELb0EEEvPT_PKS4_PfPimiiiif,@function
_ZN5aiter19grouped_topk_kernelIN3c108BFloat16EDv1_fLi2ELb1ELb1ELb0EEEvPT_PKS4_PfPimiiiif: ; @_ZN5aiter19grouped_topk_kernelIN3c108BFloat16EDv1_fLi2ELb1ELb1ELb0EEEvPT_PKS4_PfPimiiiif
; %bb.0:
	s_load_dwordx4 s[12:15], s[4:5], 0x28
	s_load_dwordx4 s[16:19], s[4:5], 0x8
	s_load_dwordx2 s[10:11], s[4:5], 0x18
	v_lshl_add_u32 v1, v0, 2, 0
	s_waitcnt lgkmcnt(0)
	v_cmp_gt_i32_e64 s[0:1], s12, v0
	s_and_saveexec_b64 s[2:3], s[0:1]
	s_cbranch_execz .LBB246_3
; %bb.1:
	s_load_dwordx2 s[8:9], s[4:5], 0x0
	s_load_dword s15, s[4:5], 0x4c
	s_mul_i32 s20, s6, s12
	s_ashr_i32 s21, s20, 31
	s_lshl_b64 s[20:21], s[20:21], 1
	s_waitcnt lgkmcnt(0)
	s_add_u32 s7, s8, s20
	s_addc_u32 s21, s9, s21
	s_and_b32 s15, s15, 0xffff
	v_lshl_add_u32 v4, v0, 2, 0
	s_lshl_b32 s20, s15, 2
	s_mov_b64 s[8:9], 0
	v_mov_b32_e32 v5, s21
	v_mov_b32_e32 v6, s17
	s_mov_b32 s21, 0xbfb8aa3b
	s_mov_b32 s22, 0x42ce8ed0
	;; [unrolled: 1-line block ×3, first 2 shown]
	v_mov_b32_e32 v7, 0x7f800000
	v_mov_b32_e32 v2, v0
.LBB246_2:                              ; =>This Inner Loop Header: Depth=1
	v_ashrrev_i32_e32 v3, 31, v2
	v_lshlrev_b64 v[8:9], 1, v[2:3]
	v_add_co_u32_e32 v10, vcc, s7, v8
	v_addc_co_u32_e32 v11, vcc, v5, v9, vcc
	v_add_co_u32_e32 v8, vcc, s16, v8
	v_addc_co_u32_e32 v9, vcc, v6, v9, vcc
	global_load_ushort v3, v[10:11], off
	global_load_ushort v12, v[8:9], off
	v_add_u32_e32 v2, s15, v2
	v_cmp_le_i32_e32 vcc, s12, v2
	s_or_b64 s[8:9], vcc, s[8:9]
	s_waitcnt vmcnt(1)
	v_cvt_f32_u32_e32 v3, v3
	s_waitcnt vmcnt(0)
	v_cvt_f32_u32_e32 v8, v12
	v_mul_f32_e32 v9, 0xbfb8aa3b, v3
	v_fma_f32 v10, v3, s21, -v9
	v_rndne_f32_e32 v11, v9
	v_fmac_f32_e32 v10, 0xb2a5705f, v3
	v_sub_f32_e32 v9, v9, v11
	v_add_f32_e32 v9, v9, v10
	v_cvt_i32_f32_e32 v11, v11
	v_exp_f32_e32 v9, v9
	v_cmp_nlt_f32_e32 vcc, s22, v3
	v_ldexp_f32 v9, v9, v11
	v_cndmask_b32_e32 v9, 0, v9, vcc
	v_cmp_ngt_f32_e32 vcc, s23, v3
	v_cndmask_b32_e32 v3, v7, v9, vcc
	v_add_f32_e32 v3, 1.0, v3
	v_div_scale_f32 v9, s[24:25], v3, v3, 1.0
	v_rcp_f32_e32 v10, v9
	v_div_scale_f32 v11, vcc, 1.0, v3, 1.0
	v_fma_f32 v12, -v9, v10, 1.0
	v_fmac_f32_e32 v10, v12, v10
	v_mul_f32_e32 v12, v11, v10
	v_fma_f32 v13, -v9, v12, v11
	v_fmac_f32_e32 v12, v13, v10
	v_fma_f32 v9, -v9, v12, v11
	v_div_fmas_f32 v9, v9, v10, v12
	v_div_fixup_f32 v3, v9, v3, 1.0
	v_add_f32_e32 v3, v3, v8
	ds_write_b32 v4, v3
	v_add_u32_e32 v4, s20, v4
	s_andn2_b64 exec, exec, s[8:9]
	s_cbranch_execnz .LBB246_2
.LBB246_3:
	s_or_b64 exec, exec, s[2:3]
	s_lshr_b32 s2, s12, 31
	s_add_i32 s2, s12, s2
	s_ashr_i32 s15, s2, 1
	s_lshl_b32 s2, s12, 2
	s_add_i32 s7, s2, 0
	v_cmp_gt_u32_e32 vcc, 64, v0
	s_waitcnt lgkmcnt(0)
	s_barrier
	s_and_saveexec_b64 s[20:21], vcc
	s_cbranch_execz .LBB246_12
; %bb.4:
	s_load_dword s8, s[4:5], 0x4c
	v_lshrrev_b32_e32 v3, 5, v0
	v_and_b32_e32 v2, 31, v0
	v_mul_lo_u32 v4, s15, v3
	v_lshlrev_b32_e32 v4, 2, v4
	s_waitcnt lgkmcnt(0)
	s_bfe_u32 s28, s8, 0xb0005
	v_lshlrev_b32_e32 v5, 2, v2
	s_mul_i32 s8, s15, s28
	v_cmp_gt_i32_e32 vcc, s15, v2
	v_cmp_eq_u32_e64 s[2:3], 0, v2
	v_add3_u32 v4, v4, v5, 0
	s_lshl_b32 s29, s8, 2
	s_mov_b64 s[22:23], 0
	s_branch .LBB246_6
.LBB246_5:                              ;   in Loop: Header=BB246_6 Depth=1
	s_or_b64 exec, exec, s[8:9]
	v_add_u32_e32 v3, s28, v3
	v_cmp_lt_u32_e64 s[8:9], 1, v3
	s_or_b64 s[22:23], s[8:9], s[22:23]
	v_add_u32_e32 v4, s29, v4
	s_andn2_b64 exec, exec, s[22:23]
	s_cbranch_execz .LBB246_12
.LBB246_6:                              ; =>This Loop Header: Depth=1
                                        ;     Child Loop BB246_8 Depth 2
	v_mov_b32_e32 v5, 0xff800000
	v_mov_b32_e32 v6, 0xff800000
	s_and_saveexec_b64 s[24:25], vcc
	s_cbranch_execz .LBB246_10
; %bb.7:                                ;   in Loop: Header=BB246_6 Depth=1
	s_mov_b64 s[26:27], 0
	v_mov_b32_e32 v5, 0xff800000
	v_mov_b32_e32 v7, v4
	;; [unrolled: 1-line block ×4, first 2 shown]
.LBB246_8:                              ;   Parent Loop BB246_6 Depth=1
                                        ; =>  This Inner Loop Header: Depth=2
	ds_read_b32 v9, v7
	v_add_u32_e32 v8, 32, v8
	v_max_f32_e32 v6, v6, v6
	v_cmp_le_i32_e64 s[8:9], s15, v8
	v_max_f32_e32 v10, v5, v5
	s_waitcnt lgkmcnt(0)
	v_max_f32_e32 v11, v9, v9
	s_or_b64 s[26:27], s[8:9], s[26:27]
	v_max_f32_e32 v6, v11, v6
	v_cmp_gt_f32_e64 s[8:9], v9, v5
	v_add_u32_e32 v7, 0x80, v7
	v_cndmask_b32_e64 v6, v6, v5, s[8:9]
	v_max_f32_e32 v5, v11, v10
	s_andn2_b64 exec, exec, s[26:27]
	s_cbranch_execnz .LBB246_8
; %bb.9:                                ;   in Loop: Header=BB246_6 Depth=1
	s_or_b64 exec, exec, s[26:27]
.LBB246_10:                             ;   in Loop: Header=BB246_6 Depth=1
	s_or_b64 exec, exec, s[24:25]
	s_and_saveexec_b64 s[8:9], s[2:3]
	s_cbranch_execz .LBB246_5
; %bb.11:                               ;   in Loop: Header=BB246_6 Depth=1
	v_lshl_add_u32 v7, v3, 2, s7
	v_add_f32_e32 v5, v6, v5
	ds_write_b32 v7, v5
	s_branch .LBB246_5
.LBB246_12:
	s_or_b64 exec, exec, s[20:21]
	s_cmp_lt_i32 s14, 1
	s_waitcnt lgkmcnt(0)
	s_barrier
	s_cbranch_scc1 .LBB246_15
; %bb.13:
	v_mov_b32_e32 v2, s7
	s_mov_b32 s2, 0xff800000
	v_mov_b32_e32 v3, 0xff800000
.LBB246_14:                             ; =>This Inner Loop Header: Depth=1
	ds_read2_b32 v[4:5], v2 offset1:1
	s_add_i32 s14, s14, -1
	s_cmp_lg_u32 s14, 0
	s_waitcnt lgkmcnt(0)
	v_cmp_nlg_f32_e32 vcc, s2, v4
	v_cndmask_b32_e64 v6, 0, 1, vcc
	v_cmp_lg_f32_e32 vcc, s2, v4
	v_cndmask_b32_e32 v4, v3, v4, vcc
	v_lshlrev_b32_e32 v6, 1, v6
	v_cmp_ngt_f32_e32 vcc, v5, v4
	v_cndmask_b32_e32 v4, 1, v6, vcc
	v_lshlrev_b32_e32 v4, 2, v4
	v_add_u32_e32 v4, s7, v4
	ds_write_b32 v4, v3
	s_cbranch_scc1 .LBB246_14
.LBB246_15:
	s_and_saveexec_b64 s[2:3], s[0:1]
	s_cbranch_execz .LBB246_20
; %bb.16:
	s_abs_i32 s20, s15
	v_cvt_f32_u32_e32 v3, s20
	s_load_dword s14, s[4:5], 0x4c
	s_ashr_i32 s21, s15, 31
	s_sub_i32 s15, 0, s20
	v_rcp_iflag_f32_e32 v4, v3
	v_lshl_add_u32 v2, v0, 2, 0
	s_waitcnt lgkmcnt(0)
	s_and_b32 s23, s14, 0xffff
	s_mov_b64 s[8:9], 0
	v_mul_f32_e32 v4, 0x4f7ffffe, v4
	v_cvt_u32_f32_e32 v4, v4
	s_mov_b32 s22, 0xff800000
	v_mov_b32_e32 v3, 0xff800000
	s_lshl_b32 s24, s23, 2
	v_mul_lo_u32 v5, s15, v4
	v_mul_hi_u32 v5, v4, v5
	v_add_u32_e32 v4, v4, v5
	v_mov_b32_e32 v5, v0
	s_branch .LBB246_18
.LBB246_17:                             ;   in Loop: Header=BB246_18 Depth=1
	s_or_b64 exec, exec, s[14:15]
	v_add_u32_e32 v5, s23, v5
	v_cmp_le_i32_e32 vcc, s12, v5
	s_or_b64 s[8:9], vcc, s[8:9]
	v_add_u32_e32 v2, s24, v2
	s_andn2_b64 exec, exec, s[8:9]
	s_cbranch_execz .LBB246_20
.LBB246_18:                             ; =>This Inner Loop Header: Depth=1
	v_sub_u32_e32 v7, 0, v5
	v_max_i32_e32 v7, v5, v7
	v_mul_hi_u32 v8, v7, v4
	v_mul_lo_u32 v9, v8, s20
	v_sub_u32_e32 v7, v7, v9
	v_add_u32_e32 v9, 1, v8
	v_cmp_le_u32_e32 vcc, s20, v7
	v_cndmask_b32_e32 v8, v8, v9, vcc
	v_subrev_u32_e32 v9, s20, v7
	v_cndmask_b32_e32 v7, v7, v9, vcc
	v_ashrrev_i32_e32 v6, 31, v5
	v_add_u32_e32 v9, 1, v8
	v_cmp_le_u32_e32 vcc, s20, v7
	v_xor_b32_e32 v6, s21, v6
	v_cndmask_b32_e32 v7, v8, v9, vcc
	v_xor_b32_e32 v7, v7, v6
	v_sub_u32_e32 v6, v7, v6
	v_lshl_add_u32 v6, v6, 2, s7
	ds_read_b32 v6, v6
	s_waitcnt lgkmcnt(0)
	v_cmp_neq_f32_e32 vcc, s22, v6
	s_and_saveexec_b64 s[14:15], vcc
	s_cbranch_execz .LBB246_17
; %bb.19:                               ;   in Loop: Header=BB246_18 Depth=1
	ds_write_b32 v2, v3
	s_branch .LBB246_17
.LBB246_20:
	s_or_b64 exec, exec, s[2:3]
	s_cmp_lt_i32 s13, 1
	s_waitcnt lgkmcnt(0)
	s_barrier
	s_cbranch_scc1 .LBB246_27
; %bb.21:
	s_add_u32 s2, s4, 64
	s_addc_u32 s3, s5, 0
	s_mov_b32 s7, 0
	v_mov_b32_e32 v5, 0
	v_mov_b32_e32 v6, 0xff800000
	;; [unrolled: 1-line block ×3, first 2 shown]
                                        ; implicit-def: $vgpr3
                                        ; implicit-def: $vgpr2
	s_branch .LBB246_23
.LBB246_22:                             ;   in Loop: Header=BB246_23 Depth=1
	s_or_b64 exec, exec, s[8:9]
	v_mov_b32_dpp v10, v8 quad_perm:[1,0,3,2] row_mask:0xf bank_mask:0xf
	v_cmp_lt_f32_e32 vcc, v8, v10
	v_cndmask_b32_e32 v8, v8, v10, vcc
	v_mov_b32_dpp v9, v7 quad_perm:[1,0,3,2] row_mask:0xf bank_mask:0xf
	v_cndmask_b32_e32 v7, v7, v9, vcc
	v_mov_b32_dpp v10, v8 quad_perm:[2,3,0,1] row_mask:0xf bank_mask:0xf
	v_cmp_gt_f32_e32 vcc, v10, v8
	v_cndmask_b32_e32 v8, v8, v10, vcc
	v_mov_b32_dpp v9, v7 quad_perm:[2,3,0,1] row_mask:0xf bank_mask:0xf
	v_cndmask_b32_e32 v7, v7, v9, vcc
	v_mov_b32_dpp v10, v8 row_half_mirror row_mask:0xf bank_mask:0xf
	v_cmp_gt_f32_e32 vcc, v10, v8
	v_cndmask_b32_e32 v8, v8, v10, vcc
	v_mov_b32_dpp v9, v7 row_half_mirror row_mask:0xf bank_mask:0xf
	v_cndmask_b32_e32 v7, v7, v9, vcc
	v_mov_b32_dpp v10, v8 row_mirror row_mask:0xf bank_mask:0xf
	v_cmp_gt_f32_e32 vcc, v10, v8
	v_cndmask_b32_e32 v8, v8, v10, vcc
	v_mov_b32_dpp v9, v7 row_mirror row_mask:0xf bank_mask:0xf
	v_cndmask_b32_e32 v7, v7, v9, vcc
	v_mov_b32_dpp v10, v8 row_bcast:15 row_mask:0xf bank_mask:0xf
	v_cmp_gt_f32_e32 vcc, v10, v8
	v_mov_b32_dpp v9, v7 row_bcast:15 row_mask:0xf bank_mask:0xf
	v_cndmask_b32_e32 v8, v8, v10, vcc
	v_cndmask_b32_e32 v7, v7, v9, vcc
	s_nop 0
	v_mov_b32_dpp v10, v8 row_bcast:31 row_mask:0xf bank_mask:0xf
	v_mov_b32_dpp v9, v7 row_bcast:31 row_mask:0xf bank_mask:0xf
	v_cmp_gt_f32_e32 vcc, v10, v8
	v_cndmask_b32_e32 v7, v7, v9, vcc
	v_readlane_b32 s8, v7, 63
	s_ashr_i32 s9, s8, 31
	s_lshl_b64 s[14:15], s[8:9], 1
	s_add_u32 s14, s16, s14
	s_addc_u32 s15, s17, s15
	global_load_ushort v7, v5, s[14:15]
	v_cndmask_b32_e32 v8, v8, v10, vcc
	v_readlane_b32 s9, v8, 63
	v_mov_b32_e32 v8, s8
	s_lshl_b32 s8, s8, 2
	v_cmp_eq_u32_e32 vcc, s7, v0
	s_add_i32 s8, s8, 0
	v_cndmask_b32_e32 v2, v2, v8, vcc
	v_mov_b32_e32 v8, s8
	ds_write_b32 v8, v6
	s_add_i32 s7, s7, 1
	s_cmp_eq_u32 s7, s13
	s_waitcnt vmcnt(0)
	v_and_b32_e32 v8, 0xff, v7
	v_lshlrev_b32_e32 v7, 16, v7
	v_lshlrev_b32_e32 v8, 16, v8
	v_and_b32_e32 v7, 0xff000000, v7
	v_or_b32_e32 v7, v8, v7
	v_sub_f32_e32 v7, s9, v7
	v_cndmask_b32_e32 v3, v3, v7, vcc
	v_add_f32_e32 v4, v4, v7
	s_cbranch_scc1 .LBB246_28
.LBB246_23:                             ; =>This Loop Header: Depth=1
                                        ;     Child Loop BB246_25 Depth 2
	v_mov_b32_e32 v7, s7
	v_mov_b32_e32 v8, 0xff800000
	s_and_saveexec_b64 s[8:9], s[0:1]
	s_cbranch_execz .LBB246_22
; %bb.24:                               ;   in Loop: Header=BB246_23 Depth=1
	s_load_dword s20, s[2:3], 0xc
	s_mov_b64 s[14:15], 0
	v_mov_b32_e32 v7, s7
	v_mov_b32_e32 v8, 0xff800000
	;; [unrolled: 1-line block ×3, first 2 shown]
	s_waitcnt lgkmcnt(0)
	s_and_b32 s20, s20, 0xffff
	s_lshl_b32 s21, s20, 2
	v_mov_b32_e32 v10, v0
.LBB246_25:                             ;   Parent Loop BB246_23 Depth=1
                                        ; =>  This Inner Loop Header: Depth=2
	ds_read_b32 v11, v9
	v_add_u32_e32 v9, s21, v9
	s_waitcnt lgkmcnt(0)
	v_cmp_gt_f32_e32 vcc, v11, v8
	v_cndmask_b32_e32 v7, v7, v10, vcc
	v_add_u32_e32 v10, s20, v10
	v_cndmask_b32_e32 v8, v8, v11, vcc
	v_cmp_le_i32_e32 vcc, s12, v10
	s_or_b64 s[14:15], vcc, s[14:15]
	s_andn2_b64 exec, exec, s[14:15]
	s_cbranch_execnz .LBB246_25
; %bb.26:                               ;   in Loop: Header=BB246_23 Depth=1
	s_or_b64 exec, exec, s[14:15]
	s_branch .LBB246_22
.LBB246_27:
	v_mov_b32_e32 v4, 0
                                        ; implicit-def: $vgpr3
                                        ; implicit-def: $vgpr2
.LBB246_28:
	v_cmp_gt_i32_e32 vcc, s13, v0
	s_and_saveexec_b64 s[0:1], vcc
	s_cbranch_execz .LBB246_31
; %bb.29:
	s_load_dword s7, s[4:5], 0x38
	s_load_dwordx2 s[0:1], s[4:5], 0x20
	s_load_dword s8, s[4:5], 0x4c
	s_waitcnt lgkmcnt(0)
	v_div_scale_f32 v1, s[2:3], v4, v4, s7
	v_rcp_f32_e32 v5, v1
	v_div_scale_f32 v6, vcc, s7, v4, s7
	s_ashr_i32 s2, s6, 31
	v_fma_f32 v7, -v1, v5, 1.0
	v_fmac_f32_e32 v5, v7, v5
	v_mul_f32_e32 v7, v6, v5
	v_fma_f32 v8, -v1, v7, v6
	v_fmac_f32_e32 v7, v8, v5
	v_fma_f32 v1, -v1, v7, v6
	s_mul_i32 s1, s6, s1
	s_mul_hi_u32 s3, s6, s0
	v_div_fmas_f32 v1, v1, v5, v7
	s_add_i32 s1, s3, s1
	s_mul_i32 s2, s2, s0
	v_div_fixup_f32 v1, v1, v4, s7
	s_add_i32 s4, s1, s2
	v_mul_f32_e32 v1, v1, v3
	s_mul_i32 s2, s6, s0
	s_and_b32 s3, s8, 0xffff
	s_mov_b64 s[0:1], 0
	v_mov_b32_e32 v3, s4
	v_mov_b32_e32 v4, s19
	;; [unrolled: 1-line block ×3, first 2 shown]
.LBB246_30:                             ; =>This Inner Loop Header: Depth=1
	v_ashrrev_i32_e32 v7, 31, v0
	v_add_co_u32_e32 v6, vcc, s2, v0
	v_addc_co_u32_e32 v7, vcc, v3, v7, vcc
	v_add_u32_e32 v0, s3, v0
	v_cmp_le_i32_e32 vcc, s13, v0
	v_lshlrev_b64 v[6:7], 2, v[6:7]
	s_or_b64 s[0:1], vcc, s[0:1]
	v_add_co_u32_e32 v8, vcc, s18, v6
	v_addc_co_u32_e32 v9, vcc, v4, v7, vcc
	v_add_co_u32_e32 v6, vcc, s10, v6
	v_addc_co_u32_e32 v7, vcc, v5, v7, vcc
	global_store_dword v[8:9], v1, off
	global_store_dword v[6:7], v2, off
	s_andn2_b64 exec, exec, s[0:1]
	s_cbranch_execnz .LBB246_30
.LBB246_31:
	s_endpgm
	.section	.rodata,"a",@progbits
	.p2align	6, 0x0
	.amdhsa_kernel _ZN5aiter19grouped_topk_kernelIN3c108BFloat16EDv1_fLi2ELb1ELb1ELb0EEEvPT_PKS4_PfPimiiiif
		.amdhsa_group_segment_fixed_size 0
		.amdhsa_private_segment_fixed_size 0
		.amdhsa_kernarg_size 320
		.amdhsa_user_sgpr_count 6
		.amdhsa_user_sgpr_private_segment_buffer 1
		.amdhsa_user_sgpr_dispatch_ptr 0
		.amdhsa_user_sgpr_queue_ptr 0
		.amdhsa_user_sgpr_kernarg_segment_ptr 1
		.amdhsa_user_sgpr_dispatch_id 0
		.amdhsa_user_sgpr_flat_scratch_init 0
		.amdhsa_user_sgpr_kernarg_preload_length 0
		.amdhsa_user_sgpr_kernarg_preload_offset 0
		.amdhsa_user_sgpr_private_segment_size 0
		.amdhsa_uses_dynamic_stack 0
		.amdhsa_system_sgpr_private_segment_wavefront_offset 0
		.amdhsa_system_sgpr_workgroup_id_x 1
		.amdhsa_system_sgpr_workgroup_id_y 0
		.amdhsa_system_sgpr_workgroup_id_z 0
		.amdhsa_system_sgpr_workgroup_info 0
		.amdhsa_system_vgpr_workitem_id 0
		.amdhsa_next_free_vgpr 14
		.amdhsa_next_free_sgpr 30
		.amdhsa_accum_offset 16
		.amdhsa_reserve_vcc 1
		.amdhsa_reserve_flat_scratch 0
		.amdhsa_float_round_mode_32 0
		.amdhsa_float_round_mode_16_64 0
		.amdhsa_float_denorm_mode_32 3
		.amdhsa_float_denorm_mode_16_64 3
		.amdhsa_dx10_clamp 1
		.amdhsa_ieee_mode 1
		.amdhsa_fp16_overflow 0
		.amdhsa_tg_split 0
		.amdhsa_exception_fp_ieee_invalid_op 0
		.amdhsa_exception_fp_denorm_src 0
		.amdhsa_exception_fp_ieee_div_zero 0
		.amdhsa_exception_fp_ieee_overflow 0
		.amdhsa_exception_fp_ieee_underflow 0
		.amdhsa_exception_fp_ieee_inexact 0
		.amdhsa_exception_int_div_zero 0
	.end_amdhsa_kernel
	.section	.text._ZN5aiter19grouped_topk_kernelIN3c108BFloat16EDv1_fLi2ELb1ELb1ELb0EEEvPT_PKS4_PfPimiiiif,"axG",@progbits,_ZN5aiter19grouped_topk_kernelIN3c108BFloat16EDv1_fLi2ELb1ELb1ELb0EEEvPT_PKS4_PfPimiiiif,comdat
.Lfunc_end246:
	.size	_ZN5aiter19grouped_topk_kernelIN3c108BFloat16EDv1_fLi2ELb1ELb1ELb0EEEvPT_PKS4_PfPimiiiif, .Lfunc_end246-_ZN5aiter19grouped_topk_kernelIN3c108BFloat16EDv1_fLi2ELb1ELb1ELb0EEEvPT_PKS4_PfPimiiiif
                                        ; -- End function
	.section	.AMDGPU.csdata,"",@progbits
; Kernel info:
; codeLenInByte = 1836
; NumSgprs: 34
; NumVgprs: 14
; NumAgprs: 0
; TotalNumVgprs: 14
; ScratchSize: 0
; MemoryBound: 0
; FloatMode: 240
; IeeeMode: 1
; LDSByteSize: 0 bytes/workgroup (compile time only)
; SGPRBlocks: 4
; VGPRBlocks: 1
; NumSGPRsForWavesPerEU: 34
; NumVGPRsForWavesPerEU: 14
; AccumOffset: 16
; Occupancy: 8
; WaveLimiterHint : 0
; COMPUTE_PGM_RSRC2:SCRATCH_EN: 0
; COMPUTE_PGM_RSRC2:USER_SGPR: 6
; COMPUTE_PGM_RSRC2:TRAP_HANDLER: 0
; COMPUTE_PGM_RSRC2:TGID_X_EN: 1
; COMPUTE_PGM_RSRC2:TGID_Y_EN: 0
; COMPUTE_PGM_RSRC2:TGID_Z_EN: 0
; COMPUTE_PGM_RSRC2:TIDIG_COMP_CNT: 0
; COMPUTE_PGM_RSRC3_GFX90A:ACCUM_OFFSET: 3
; COMPUTE_PGM_RSRC3_GFX90A:TG_SPLIT: 0
	.section	.text._ZN5aiter19grouped_topk_kernelIfDv1_fLi2ELb1ELb0ELb1EEEvPT_PKS2_PfPimiiiif,"axG",@progbits,_ZN5aiter19grouped_topk_kernelIfDv1_fLi2ELb1ELb0ELb1EEEvPT_PKS2_PfPimiiiif,comdat
	.protected	_ZN5aiter19grouped_topk_kernelIfDv1_fLi2ELb1ELb0ELb1EEEvPT_PKS2_PfPimiiiif ; -- Begin function _ZN5aiter19grouped_topk_kernelIfDv1_fLi2ELb1ELb0ELb1EEEvPT_PKS2_PfPimiiiif
	.globl	_ZN5aiter19grouped_topk_kernelIfDv1_fLi2ELb1ELb0ELb1EEEvPT_PKS2_PfPimiiiif
	.p2align	8
	.type	_ZN5aiter19grouped_topk_kernelIfDv1_fLi2ELb1ELb0ELb1EEEvPT_PKS2_PfPimiiiif,@function
_ZN5aiter19grouped_topk_kernelIfDv1_fLi2ELb1ELb0ELb1EEEvPT_PKS2_PfPimiiiif: ; @_ZN5aiter19grouped_topk_kernelIfDv1_fLi2ELb1ELb0ELb1EEEvPT_PKS2_PfPimiiiif
; %bb.0:
	s_load_dwordx4 s[8:11], s[4:5], 0x28
	s_load_dwordx4 s[12:15], s[4:5], 0x10
	v_mov_b32_e32 v2, 0xff800000
	v_lshl_add_u32 v1, v0, 2, 0
	s_waitcnt lgkmcnt(0)
	v_cmp_gt_i32_e64 s[0:1], s8, v0
	s_and_saveexec_b64 s[2:3], s[0:1]
	s_cbranch_execz .LBB247_4
; %bb.1:
	s_load_dword s11, s[4:5], 0x4c
	s_load_dwordx2 s[16:17], s[4:5], 0x0
	s_mul_i32 s7, s6, s8
	v_lshl_add_u32 v3, v0, 2, 0
	s_mov_b64 s[18:19], 0
	s_waitcnt lgkmcnt(0)
	s_and_b32 s11, s11, 0xffff
	s_lshl_b32 s20, s11, 2
	v_mov_b32_e32 v2, 0xff800000
	v_mov_b32_e32 v4, s17
	;; [unrolled: 1-line block ×3, first 2 shown]
.LBB247_2:                              ; =>This Inner Loop Header: Depth=1
	v_add_u32_e32 v6, s7, v5
	v_ashrrev_i32_e32 v7, 31, v6
	v_lshlrev_b64 v[6:7], 2, v[6:7]
	v_add_co_u32_e32 v6, vcc, s16, v6
	v_addc_co_u32_e32 v7, vcc, v4, v7, vcc
	global_load_dword v6, v[6:7], off
	v_add_u32_e32 v5, s11, v5
	v_cmp_le_i32_e32 vcc, s8, v5
	s_or_b64 s[18:19], vcc, s[18:19]
	s_waitcnt vmcnt(0)
	v_cmp_gt_f32_e32 vcc, v6, v2
	ds_write_b32 v3, v6
	v_cndmask_b32_e32 v2, v2, v6, vcc
	v_add_u32_e32 v3, s20, v3
	s_andn2_b64 exec, exec, s[18:19]
	s_cbranch_execnz .LBB247_2
; %bb.3:
	s_or_b64 exec, exec, s[18:19]
.LBB247_4:
	s_or_b64 exec, exec, s[2:3]
	v_mov_b32_dpp v3, v2 quad_perm:[1,0,3,2] row_mask:0xf bank_mask:0xf
	v_cmp_lt_f32_e32 vcc, v2, v3
	v_cndmask_b32_e32 v2, v2, v3, vcc
	v_bfrev_b32_e32 v4, 0.5
	s_waitcnt lgkmcnt(0)
	v_mov_b32_dpp v3, v2 quad_perm:[2,3,0,1] row_mask:0xf bank_mask:0xf
	v_cmp_lt_f32_e32 vcc, v2, v3
	v_cndmask_b32_e32 v2, v2, v3, vcc
	s_barrier
	s_nop 0
	v_mov_b32_dpp v3, v2 row_half_mirror row_mask:0xf bank_mask:0xf
	v_cmp_lt_f32_e32 vcc, v2, v3
	v_cndmask_b32_e32 v2, v2, v3, vcc
	s_nop 1
	v_mov_b32_dpp v3, v2 row_mirror row_mask:0xf bank_mask:0xf
	v_cmp_lt_f32_e32 vcc, v2, v3
	v_cndmask_b32_e32 v2, v2, v3, vcc
	s_nop 1
	v_mov_b32_dpp v3, v2 row_bcast:15 row_mask:0xf bank_mask:0xf
	v_cmp_lt_f32_e32 vcc, v2, v3
	v_cndmask_b32_e32 v2, v2, v3, vcc
	s_nop 1
	v_mov_b32_dpp v3, v2 row_bcast:31 row_mask:0xf bank_mask:0xf
	v_cmp_lt_f32_e32 vcc, v2, v3
	v_cndmask_b32_e32 v3, v2, v3, vcc
	v_mbcnt_lo_u32_b32 v2, -1, 0
	v_mbcnt_hi_u32_b32 v2, -1, v2
	v_lshl_or_b32 v2, v2, 2, v4
	ds_bpermute_b32 v4, v2, v3
	v_mov_b32_e32 v3, 0
	s_and_saveexec_b64 s[2:3], s[0:1]
	s_cbranch_execz .LBB247_8
; %bb.5:
	s_load_dword s11, s[4:5], 0x4c
	v_lshl_add_u32 v5, v0, 2, 0
	s_mov_b64 s[16:17], 0
	v_mov_b32_e32 v3, 0
	s_mov_b32 s7, 0x3fb8aa3b
	s_waitcnt lgkmcnt(0)
	s_and_b32 s11, s11, 0xffff
	s_lshl_b32 s18, s11, 2
	s_mov_b32 s19, 0xc2ce8ed0
	s_mov_b32 s20, 0x42b17218
	v_mov_b32_e32 v6, 0x7f800000
	v_mov_b32_e32 v7, v0
.LBB247_6:                              ; =>This Inner Loop Header: Depth=1
	ds_read_b32 v8, v5
	v_add_u32_e32 v7, s11, v7
	s_waitcnt lgkmcnt(0)
	v_sub_f32_e32 v8, v8, v4
	v_mul_f32_e32 v9, 0x3fb8aa3b, v8
	v_fma_f32 v10, v8, s7, -v9
	v_rndne_f32_e32 v11, v9
	v_fmac_f32_e32 v10, 0x32a5705f, v8
	v_sub_f32_e32 v9, v9, v11
	v_add_f32_e32 v9, v9, v10
	v_cvt_i32_f32_e32 v11, v11
	v_exp_f32_e32 v9, v9
	v_cmp_ngt_f32_e32 vcc, s19, v8
	v_ldexp_f32 v9, v9, v11
	v_cndmask_b32_e32 v9, 0, v9, vcc
	v_cmp_nlt_f32_e32 vcc, s20, v8
	v_cndmask_b32_e32 v8, v6, v9, vcc
	v_cmp_le_i32_e32 vcc, s8, v7
	ds_write_b32 v5, v8
	v_add_f32_e32 v3, v3, v8
	s_or_b64 s[16:17], vcc, s[16:17]
	v_add_u32_e32 v5, s18, v5
	s_andn2_b64 exec, exec, s[16:17]
	s_cbranch_execnz .LBB247_6
; %bb.7:
	s_or_b64 exec, exec, s[16:17]
.LBB247_8:
	s_or_b64 exec, exec, s[2:3]
	s_waitcnt lgkmcnt(0)
	v_mov_b32_dpp v4, v3 quad_perm:[1,0,3,2] row_mask:0xf bank_mask:0xf
	v_add_f32_e32 v3, v3, v4
	s_barrier
	s_nop 0
	v_mov_b32_dpp v4, v3 quad_perm:[2,3,0,1] row_mask:0xf bank_mask:0xf
	v_add_f32_e32 v3, v3, v4
	s_nop 1
	v_mov_b32_dpp v4, v3 row_half_mirror row_mask:0xf bank_mask:0xf
	v_add_f32_e32 v3, v3, v4
	s_nop 1
	v_mov_b32_dpp v4, v3 row_mirror row_mask:0xf bank_mask:0xf
	v_add_f32_e32 v3, v3, v4
	s_nop 1
	v_mov_b32_dpp v4, v3 row_bcast:15 row_mask:0xf bank_mask:0xf
	v_add_f32_e32 v3, v3, v4
	s_nop 1
	v_mov_b32_dpp v4, v3 row_bcast:31 row_mask:0xf bank_mask:0xf
	v_add_f32_e32 v3, v3, v4
	ds_bpermute_b32 v2, v2, v3
	s_and_saveexec_b64 s[2:3], s[0:1]
	s_cbranch_execz .LBB247_11
; %bb.9:
	s_load_dword s7, s[4:5], 0x4c
	v_lshl_add_u32 v3, v0, 2, 0
	s_mov_b64 s[16:17], 0
	v_mov_b32_e32 v4, v0
	s_waitcnt lgkmcnt(0)
	s_and_b32 s7, s7, 0xffff
	s_lshl_b32 s11, s7, 2
.LBB247_10:                             ; =>This Inner Loop Header: Depth=1
	ds_read_b32 v5, v3
	v_add_u32_e32 v4, s7, v4
	v_cmp_le_i32_e32 vcc, s8, v4
	s_or_b64 s[16:17], vcc, s[16:17]
	s_waitcnt lgkmcnt(0)
	v_div_scale_f32 v6, s[18:19], v2, v2, v5
	v_rcp_f32_e32 v7, v6
	v_div_scale_f32 v8, vcc, v5, v2, v5
	v_fma_f32 v9, -v6, v7, 1.0
	v_fmac_f32_e32 v7, v9, v7
	v_mul_f32_e32 v9, v8, v7
	v_fma_f32 v10, -v6, v9, v8
	v_fmac_f32_e32 v9, v10, v7
	v_fma_f32 v6, -v6, v9, v8
	v_div_fmas_f32 v6, v6, v7, v9
	v_div_fixup_f32 v5, v6, v2, v5
	ds_write_b32 v3, v5
	v_add_u32_e32 v3, s11, v3
	s_andn2_b64 exec, exec, s[16:17]
	s_cbranch_execnz .LBB247_10
.LBB247_11:
	s_or_b64 exec, exec, s[2:3]
	s_lshr_b32 s2, s8, 31
	s_add_i32 s2, s8, s2
	s_ashr_i32 s11, s2, 1
	s_lshl_b32 s2, s8, 2
	s_add_i32 s7, s2, 0
	v_cmp_gt_u32_e32 vcc, 2, v0
	s_waitcnt lgkmcnt(0)
	s_barrier
	s_and_saveexec_b64 s[16:17], vcc
	s_cbranch_execz .LBB247_18
; %bb.12:
	s_load_dword s2, s[4:5], 0x4c
	v_mul_lo_u32 v2, v0, s11
	v_lshl_add_u32 v2, v2, 2, 0
	s_waitcnt lgkmcnt(0)
	s_and_b32 s22, s2, 0xffff
	s_cmp_gt_i32 s8, 1
	s_cselect_b64 s[2:3], -1, 0
	s_mul_i32 s18, s11, s22
	v_cndmask_b32_e64 v3, 0, 1, s[2:3]
	s_lshl_b32 s23, s18, 2
	s_mov_b64 s[18:19], 0
	v_cmp_ne_u32_e64 s[2:3], 1, v3
	v_mov_b32_e32 v3, v0
	s_branch .LBB247_14
.LBB247_13:                             ;   in Loop: Header=BB247_14 Depth=1
	v_lshl_add_u32 v5, v3, 2, s7
	v_add_u32_e32 v3, s22, v3
	v_cmp_lt_u32_e32 vcc, 1, v3
	s_or_b64 s[18:19], vcc, s[18:19]
	v_add_u32_e32 v2, s23, v2
	ds_write_b32 v5, v4
	s_andn2_b64 exec, exec, s[18:19]
	s_cbranch_execz .LBB247_18
.LBB247_14:                             ; =>This Loop Header: Depth=1
                                        ;     Child Loop BB247_16 Depth 2
	s_and_b64 vcc, exec, s[2:3]
	v_mov_b32_e32 v4, 0xff800000
	s_cbranch_vccnz .LBB247_13
; %bb.15:                               ;   in Loop: Header=BB247_14 Depth=1
	v_mul_lo_u32 v5, v3, s11
	v_add_u32_e32 v6, s11, v5
	s_mov_b64 s[20:21], 0
	v_mov_b32_e32 v4, 0xff800000
	v_mov_b32_e32 v7, v2
.LBB247_16:                             ;   Parent Loop BB247_14 Depth=1
                                        ; =>  This Inner Loop Header: Depth=2
	ds_read_b32 v8, v7
	v_add_u32_e32 v5, 1, v5
	v_cmp_ge_i32_e32 vcc, v5, v6
	s_or_b64 s[20:21], vcc, s[20:21]
	v_add_u32_e32 v7, 4, v7
	s_waitcnt lgkmcnt(0)
	v_cmp_gt_f32_e32 vcc, v8, v4
	v_cndmask_b32_e32 v4, v4, v8, vcc
	s_andn2_b64 exec, exec, s[20:21]
	s_cbranch_execnz .LBB247_16
; %bb.17:                               ;   in Loop: Header=BB247_14 Depth=1
	s_or_b64 exec, exec, s[20:21]
	s_branch .LBB247_13
.LBB247_18:
	s_or_b64 exec, exec, s[16:17]
	s_cmp_lt_i32 s10, 1
	s_waitcnt lgkmcnt(0)
	s_barrier
	s_cbranch_scc1 .LBB247_21
; %bb.19:
	v_mov_b32_e32 v2, s7
	s_mov_b32 s2, 0xff800000
	v_mov_b32_e32 v3, 0xff800000
.LBB247_20:                             ; =>This Inner Loop Header: Depth=1
	ds_read2_b32 v[4:5], v2 offset1:1
	s_add_i32 s10, s10, -1
	s_cmp_lg_u32 s10, 0
	s_waitcnt lgkmcnt(0)
	v_cmp_nlg_f32_e32 vcc, s2, v4
	v_cndmask_b32_e64 v6, 0, 1, vcc
	v_cmp_lg_f32_e32 vcc, s2, v4
	v_cndmask_b32_e32 v4, v3, v4, vcc
	v_lshlrev_b32_e32 v6, 1, v6
	v_cmp_ngt_f32_e32 vcc, v5, v4
	v_cndmask_b32_e32 v4, 1, v6, vcc
	v_lshlrev_b32_e32 v4, 2, v4
	v_add_u32_e32 v4, s7, v4
	ds_write_b32 v4, v3
	s_cbranch_scc1 .LBB247_20
.LBB247_21:
	s_and_saveexec_b64 s[2:3], s[0:1]
	s_cbranch_execz .LBB247_26
; %bb.22:
	s_abs_i32 s18, s11
	v_cvt_f32_u32_e32 v3, s18
	s_load_dword s16, s[4:5], 0x4c
	s_sub_i32 s17, 0, s18
	s_ashr_i32 s19, s11, 31
	v_rcp_iflag_f32_e32 v4, v3
	v_lshl_add_u32 v2, v0, 2, 0
	s_waitcnt lgkmcnt(0)
	s_and_b32 s21, s16, 0xffff
	s_mov_b64 s[10:11], 0
	v_mul_f32_e32 v4, 0x4f7ffffe, v4
	v_cvt_u32_f32_e32 v4, v4
	s_mov_b32 s20, 0xff800000
	v_mov_b32_e32 v3, 0xff800000
	s_lshl_b32 s22, s21, 2
	v_mul_lo_u32 v5, s17, v4
	v_mul_hi_u32 v5, v4, v5
	v_add_u32_e32 v4, v4, v5
	v_mov_b32_e32 v5, v0
	s_branch .LBB247_24
.LBB247_23:                             ;   in Loop: Header=BB247_24 Depth=1
	s_or_b64 exec, exec, s[16:17]
	v_add_u32_e32 v5, s21, v5
	v_cmp_le_i32_e32 vcc, s8, v5
	s_or_b64 s[10:11], vcc, s[10:11]
	v_add_u32_e32 v2, s22, v2
	s_andn2_b64 exec, exec, s[10:11]
	s_cbranch_execz .LBB247_26
.LBB247_24:                             ; =>This Inner Loop Header: Depth=1
	v_sub_u32_e32 v7, 0, v5
	v_max_i32_e32 v7, v5, v7
	v_mul_hi_u32 v8, v7, v4
	v_mul_lo_u32 v9, v8, s18
	v_sub_u32_e32 v7, v7, v9
	v_add_u32_e32 v9, 1, v8
	v_cmp_le_u32_e32 vcc, s18, v7
	v_cndmask_b32_e32 v8, v8, v9, vcc
	v_subrev_u32_e32 v9, s18, v7
	v_cndmask_b32_e32 v7, v7, v9, vcc
	v_ashrrev_i32_e32 v6, 31, v5
	v_add_u32_e32 v9, 1, v8
	v_cmp_le_u32_e32 vcc, s18, v7
	v_xor_b32_e32 v6, s19, v6
	v_cndmask_b32_e32 v7, v8, v9, vcc
	v_xor_b32_e32 v7, v7, v6
	v_sub_u32_e32 v6, v7, v6
	v_lshl_add_u32 v6, v6, 2, s7
	ds_read_b32 v6, v6
	s_waitcnt lgkmcnt(0)
	v_cmp_neq_f32_e32 vcc, s20, v6
	s_and_saveexec_b64 s[16:17], vcc
	s_cbranch_execz .LBB247_23
; %bb.25:                               ;   in Loop: Header=BB247_24 Depth=1
	ds_write_b32 v2, v3
	s_branch .LBB247_23
.LBB247_26:
	s_or_b64 exec, exec, s[2:3]
	s_cmp_lt_i32 s9, 1
	s_waitcnt lgkmcnt(0)
	s_barrier
	s_cbranch_scc1 .LBB247_33
; %bb.27:
	s_add_u32 s2, s4, 64
	s_addc_u32 s3, s5, 0
	s_mov_b32 s7, 0
	v_mov_b32_e32 v3, 0
	v_mov_b32_e32 v5, 0xff800000
                                        ; implicit-def: $vgpr4
                                        ; implicit-def: $vgpr2
	s_branch .LBB247_29
.LBB247_28:                             ;   in Loop: Header=BB247_29 Depth=1
	s_or_b64 exec, exec, s[10:11]
	v_mov_b32_dpp v9, v7 quad_perm:[1,0,3,2] row_mask:0xf bank_mask:0xf
	v_cmp_lt_f32_e32 vcc, v7, v9
	v_cndmask_b32_e32 v7, v7, v9, vcc
	v_mov_b32_dpp v8, v6 quad_perm:[1,0,3,2] row_mask:0xf bank_mask:0xf
	v_cndmask_b32_e32 v6, v6, v8, vcc
	v_mov_b32_dpp v9, v7 quad_perm:[2,3,0,1] row_mask:0xf bank_mask:0xf
	v_cmp_gt_f32_e32 vcc, v9, v7
	v_cndmask_b32_e32 v7, v7, v9, vcc
	v_mov_b32_dpp v8, v6 quad_perm:[2,3,0,1] row_mask:0xf bank_mask:0xf
	v_cndmask_b32_e32 v6, v6, v8, vcc
	v_mov_b32_dpp v9, v7 row_half_mirror row_mask:0xf bank_mask:0xf
	v_cmp_gt_f32_e32 vcc, v9, v7
	v_cndmask_b32_e32 v7, v7, v9, vcc
	v_mov_b32_dpp v8, v6 row_half_mirror row_mask:0xf bank_mask:0xf
	v_cndmask_b32_e32 v6, v6, v8, vcc
	v_mov_b32_dpp v9, v7 row_mirror row_mask:0xf bank_mask:0xf
	v_cmp_gt_f32_e32 vcc, v9, v7
	v_cndmask_b32_e32 v7, v7, v9, vcc
	v_mov_b32_dpp v8, v6 row_mirror row_mask:0xf bank_mask:0xf
	v_cndmask_b32_e32 v6, v6, v8, vcc
	v_mov_b32_dpp v9, v7 row_bcast:15 row_mask:0xf bank_mask:0xf
	v_cmp_gt_f32_e32 vcc, v9, v7
	v_mov_b32_dpp v8, v6 row_bcast:15 row_mask:0xf bank_mask:0xf
	v_cndmask_b32_e32 v7, v7, v9, vcc
	v_cndmask_b32_e32 v6, v6, v8, vcc
	s_nop 0
	v_mov_b32_dpp v9, v7 row_bcast:31 row_mask:0xf bank_mask:0xf
	v_mov_b32_dpp v8, v6 row_bcast:31 row_mask:0xf bank_mask:0xf
	v_cmp_gt_f32_e32 vcc, v9, v7
	v_cndmask_b32_e32 v6, v6, v8, vcc
	v_readlane_b32 s11, v6, 63
	s_lshl_b32 s16, s11, 2
	s_add_i32 s16, s16, 0
	v_cndmask_b32_e32 v7, v7, v9, vcc
	v_mov_b32_e32 v6, s16
	v_readlane_b32 s10, v7, 63
	ds_write_b32 v6, v5
	v_mov_b32_e32 v6, s11
	v_cmp_eq_u32_e32 vcc, s7, v0
	v_cndmask_b32_e32 v2, v2, v6, vcc
	v_mov_b32_e32 v6, s10
	s_add_i32 s7, s7, 1
	v_cndmask_b32_e32 v4, v4, v6, vcc
	s_cmp_eq_u32 s7, s9
	v_add_f32_e32 v3, s10, v3
	s_cbranch_scc1 .LBB247_34
.LBB247_29:                             ; =>This Loop Header: Depth=1
                                        ;     Child Loop BB247_31 Depth 2
	v_mov_b32_e32 v6, s7
	v_mov_b32_e32 v7, 0xff800000
	s_and_saveexec_b64 s[10:11], s[0:1]
	s_cbranch_execz .LBB247_28
; %bb.30:                               ;   in Loop: Header=BB247_29 Depth=1
	s_load_dword s18, s[2:3], 0xc
	s_mov_b64 s[16:17], 0
	v_mov_b32_e32 v6, s7
	v_mov_b32_e32 v7, 0xff800000
	;; [unrolled: 1-line block ×3, first 2 shown]
	s_waitcnt lgkmcnt(0)
	s_and_b32 s18, s18, 0xffff
	s_lshl_b32 s19, s18, 2
	v_mov_b32_e32 v9, v0
.LBB247_31:                             ;   Parent Loop BB247_29 Depth=1
                                        ; =>  This Inner Loop Header: Depth=2
	ds_read_b32 v10, v8
	v_add_u32_e32 v8, s19, v8
	s_waitcnt lgkmcnt(0)
	v_cmp_gt_f32_e32 vcc, v10, v7
	v_cndmask_b32_e32 v6, v6, v9, vcc
	v_add_u32_e32 v9, s18, v9
	v_cndmask_b32_e32 v7, v7, v10, vcc
	v_cmp_le_i32_e32 vcc, s8, v9
	s_or_b64 s[16:17], vcc, s[16:17]
	s_andn2_b64 exec, exec, s[16:17]
	s_cbranch_execnz .LBB247_31
; %bb.32:                               ;   in Loop: Header=BB247_29 Depth=1
	s_or_b64 exec, exec, s[16:17]
	s_branch .LBB247_28
.LBB247_33:
	v_mov_b32_e32 v3, 0
                                        ; implicit-def: $vgpr4
                                        ; implicit-def: $vgpr2
.LBB247_34:
	v_cmp_gt_i32_e32 vcc, s9, v0
	s_and_saveexec_b64 s[0:1], vcc
	s_cbranch_execz .LBB247_37
; %bb.35:
	s_load_dword s7, s[4:5], 0x38
	s_load_dwordx2 s[0:1], s[4:5], 0x20
	s_load_dword s8, s[4:5], 0x4c
	s_waitcnt lgkmcnt(0)
	v_div_scale_f32 v1, s[2:3], v3, v3, s7
	v_rcp_f32_e32 v5, v1
	v_div_scale_f32 v6, vcc, s7, v3, s7
	s_ashr_i32 s2, s6, 31
	v_fma_f32 v7, -v1, v5, 1.0
	v_fmac_f32_e32 v5, v7, v5
	v_mul_f32_e32 v7, v6, v5
	v_fma_f32 v8, -v1, v7, v6
	v_fmac_f32_e32 v7, v8, v5
	v_fma_f32 v1, -v1, v7, v6
	s_mul_i32 s1, s6, s1
	s_mul_hi_u32 s3, s6, s0
	v_div_fmas_f32 v1, v1, v5, v7
	s_add_i32 s1, s3, s1
	s_mul_i32 s2, s2, s0
	v_div_fixup_f32 v1, v1, v3, s7
	s_add_i32 s4, s1, s2
	v_mul_f32_e32 v1, v1, v4
	s_mul_i32 s2, s6, s0
	s_and_b32 s3, s8, 0xffff
	s_mov_b64 s[0:1], 0
	v_mov_b32_e32 v3, s4
	v_mov_b32_e32 v4, s13
	;; [unrolled: 1-line block ×3, first 2 shown]
.LBB247_36:                             ; =>This Inner Loop Header: Depth=1
	v_ashrrev_i32_e32 v7, 31, v0
	v_add_co_u32_e32 v6, vcc, s2, v0
	v_addc_co_u32_e32 v7, vcc, v3, v7, vcc
	v_add_u32_e32 v0, s3, v0
	v_cmp_le_i32_e32 vcc, s9, v0
	v_lshlrev_b64 v[6:7], 2, v[6:7]
	s_or_b64 s[0:1], vcc, s[0:1]
	v_add_co_u32_e32 v8, vcc, s12, v6
	v_addc_co_u32_e32 v9, vcc, v4, v7, vcc
	v_add_co_u32_e32 v6, vcc, s14, v6
	v_addc_co_u32_e32 v7, vcc, v5, v7, vcc
	global_store_dword v[8:9], v1, off
	global_store_dword v[6:7], v2, off
	s_andn2_b64 exec, exec, s[0:1]
	s_cbranch_execnz .LBB247_36
.LBB247_37:
	s_endpgm
	.section	.rodata,"a",@progbits
	.p2align	6, 0x0
	.amdhsa_kernel _ZN5aiter19grouped_topk_kernelIfDv1_fLi2ELb1ELb0ELb1EEEvPT_PKS2_PfPimiiiif
		.amdhsa_group_segment_fixed_size 0
		.amdhsa_private_segment_fixed_size 0
		.amdhsa_kernarg_size 320
		.amdhsa_user_sgpr_count 6
		.amdhsa_user_sgpr_private_segment_buffer 1
		.amdhsa_user_sgpr_dispatch_ptr 0
		.amdhsa_user_sgpr_queue_ptr 0
		.amdhsa_user_sgpr_kernarg_segment_ptr 1
		.amdhsa_user_sgpr_dispatch_id 0
		.amdhsa_user_sgpr_flat_scratch_init 0
		.amdhsa_user_sgpr_kernarg_preload_length 0
		.amdhsa_user_sgpr_kernarg_preload_offset 0
		.amdhsa_user_sgpr_private_segment_size 0
		.amdhsa_uses_dynamic_stack 0
		.amdhsa_system_sgpr_private_segment_wavefront_offset 0
		.amdhsa_system_sgpr_workgroup_id_x 1
		.amdhsa_system_sgpr_workgroup_id_y 0
		.amdhsa_system_sgpr_workgroup_id_z 0
		.amdhsa_system_sgpr_workgroup_info 0
		.amdhsa_system_vgpr_workitem_id 0
		.amdhsa_next_free_vgpr 12
		.amdhsa_next_free_sgpr 24
		.amdhsa_accum_offset 12
		.amdhsa_reserve_vcc 1
		.amdhsa_reserve_flat_scratch 0
		.amdhsa_float_round_mode_32 0
		.amdhsa_float_round_mode_16_64 0
		.amdhsa_float_denorm_mode_32 3
		.amdhsa_float_denorm_mode_16_64 3
		.amdhsa_dx10_clamp 1
		.amdhsa_ieee_mode 1
		.amdhsa_fp16_overflow 0
		.amdhsa_tg_split 0
		.amdhsa_exception_fp_ieee_invalid_op 0
		.amdhsa_exception_fp_denorm_src 0
		.amdhsa_exception_fp_ieee_div_zero 0
		.amdhsa_exception_fp_ieee_overflow 0
		.amdhsa_exception_fp_ieee_underflow 0
		.amdhsa_exception_fp_ieee_inexact 0
		.amdhsa_exception_int_div_zero 0
	.end_amdhsa_kernel
	.section	.text._ZN5aiter19grouped_topk_kernelIfDv1_fLi2ELb1ELb0ELb1EEEvPT_PKS2_PfPimiiiif,"axG",@progbits,_ZN5aiter19grouped_topk_kernelIfDv1_fLi2ELb1ELb0ELb1EEEvPT_PKS2_PfPimiiiif,comdat
.Lfunc_end247:
	.size	_ZN5aiter19grouped_topk_kernelIfDv1_fLi2ELb1ELb0ELb1EEEvPT_PKS2_PfPimiiiif, .Lfunc_end247-_ZN5aiter19grouped_topk_kernelIfDv1_fLi2ELb1ELb0ELb1EEEvPT_PKS2_PfPimiiiif
                                        ; -- End function
	.section	.AMDGPU.csdata,"",@progbits
; Kernel info:
; codeLenInByte = 2152
; NumSgprs: 28
; NumVgprs: 12
; NumAgprs: 0
; TotalNumVgprs: 12
; ScratchSize: 0
; MemoryBound: 0
; FloatMode: 240
; IeeeMode: 1
; LDSByteSize: 0 bytes/workgroup (compile time only)
; SGPRBlocks: 3
; VGPRBlocks: 1
; NumSGPRsForWavesPerEU: 28
; NumVGPRsForWavesPerEU: 12
; AccumOffset: 12
; Occupancy: 8
; WaveLimiterHint : 0
; COMPUTE_PGM_RSRC2:SCRATCH_EN: 0
; COMPUTE_PGM_RSRC2:USER_SGPR: 6
; COMPUTE_PGM_RSRC2:TRAP_HANDLER: 0
; COMPUTE_PGM_RSRC2:TGID_X_EN: 1
; COMPUTE_PGM_RSRC2:TGID_Y_EN: 0
; COMPUTE_PGM_RSRC2:TGID_Z_EN: 0
; COMPUTE_PGM_RSRC2:TIDIG_COMP_CNT: 0
; COMPUTE_PGM_RSRC3_GFX90A:ACCUM_OFFSET: 2
; COMPUTE_PGM_RSRC3_GFX90A:TG_SPLIT: 0
	.section	.text._ZN5aiter19grouped_topk_kernelIN3c104HalfEDv1_fLi2ELb1ELb0ELb1EEEvPT_PKS4_PfPimiiiif,"axG",@progbits,_ZN5aiter19grouped_topk_kernelIN3c104HalfEDv1_fLi2ELb1ELb0ELb1EEEvPT_PKS4_PfPimiiiif,comdat
	.protected	_ZN5aiter19grouped_topk_kernelIN3c104HalfEDv1_fLi2ELb1ELb0ELb1EEEvPT_PKS4_PfPimiiiif ; -- Begin function _ZN5aiter19grouped_topk_kernelIN3c104HalfEDv1_fLi2ELb1ELb0ELb1EEEvPT_PKS4_PfPimiiiif
	.globl	_ZN5aiter19grouped_topk_kernelIN3c104HalfEDv1_fLi2ELb1ELb0ELb1EEEvPT_PKS4_PfPimiiiif
	.p2align	8
	.type	_ZN5aiter19grouped_topk_kernelIN3c104HalfEDv1_fLi2ELb1ELb0ELb1EEEvPT_PKS4_PfPimiiiif,@function
_ZN5aiter19grouped_topk_kernelIN3c104HalfEDv1_fLi2ELb1ELb0ELb1EEEvPT_PKS4_PfPimiiiif: ; @_ZN5aiter19grouped_topk_kernelIN3c104HalfEDv1_fLi2ELb1ELb0ELb1EEEvPT_PKS4_PfPimiiiif
; %bb.0:
	s_load_dwordx4 s[8:11], s[4:5], 0x28
	s_load_dwordx4 s[12:15], s[4:5], 0x10
	v_mov_b32_e32 v2, 0xff800000
	v_lshl_add_u32 v1, v0, 2, 0
	s_waitcnt lgkmcnt(0)
	v_cmp_gt_i32_e64 s[0:1], s8, v0
	s_and_saveexec_b64 s[2:3], s[0:1]
	s_cbranch_execz .LBB248_4
; %bb.1:
	s_load_dword s11, s[4:5], 0x4c
	s_load_dwordx2 s[16:17], s[4:5], 0x0
	s_mul_i32 s7, s6, s8
	v_lshl_add_u32 v3, v0, 2, 0
	s_mov_b64 s[18:19], 0
	s_waitcnt lgkmcnt(0)
	s_and_b32 s11, s11, 0xffff
	s_lshl_b32 s20, s11, 2
	v_mov_b32_e32 v2, 0xff800000
	v_mov_b32_e32 v4, s17
	;; [unrolled: 1-line block ×3, first 2 shown]
.LBB248_2:                              ; =>This Inner Loop Header: Depth=1
	v_add_u32_e32 v6, s7, v5
	v_ashrrev_i32_e32 v7, 31, v6
	v_lshlrev_b64 v[6:7], 1, v[6:7]
	v_add_co_u32_e32 v6, vcc, s16, v6
	v_addc_co_u32_e32 v7, vcc, v4, v7, vcc
	global_load_ushort v6, v[6:7], off
	v_add_u32_e32 v5, s11, v5
	v_cmp_le_i32_e32 vcc, s8, v5
	s_or_b64 s[18:19], vcc, s[18:19]
	s_waitcnt vmcnt(0)
	v_cvt_f32_f16_e32 v6, v6
	v_cmp_lt_f32_e32 vcc, v2, v6
	ds_write_b32 v3, v6
	v_cndmask_b32_e32 v2, v2, v6, vcc
	v_add_u32_e32 v3, s20, v3
	s_andn2_b64 exec, exec, s[18:19]
	s_cbranch_execnz .LBB248_2
; %bb.3:
	s_or_b64 exec, exec, s[18:19]
.LBB248_4:
	s_or_b64 exec, exec, s[2:3]
	v_mov_b32_dpp v3, v2 quad_perm:[1,0,3,2] row_mask:0xf bank_mask:0xf
	v_cmp_lt_f32_e32 vcc, v2, v3
	v_cndmask_b32_e32 v2, v2, v3, vcc
	v_bfrev_b32_e32 v4, 0.5
	s_waitcnt lgkmcnt(0)
	v_mov_b32_dpp v3, v2 quad_perm:[2,3,0,1] row_mask:0xf bank_mask:0xf
	v_cmp_lt_f32_e32 vcc, v2, v3
	v_cndmask_b32_e32 v2, v2, v3, vcc
	s_barrier
	s_nop 0
	v_mov_b32_dpp v3, v2 row_half_mirror row_mask:0xf bank_mask:0xf
	v_cmp_lt_f32_e32 vcc, v2, v3
	v_cndmask_b32_e32 v2, v2, v3, vcc
	s_nop 1
	v_mov_b32_dpp v3, v2 row_mirror row_mask:0xf bank_mask:0xf
	v_cmp_lt_f32_e32 vcc, v2, v3
	v_cndmask_b32_e32 v2, v2, v3, vcc
	s_nop 1
	v_mov_b32_dpp v3, v2 row_bcast:15 row_mask:0xf bank_mask:0xf
	v_cmp_lt_f32_e32 vcc, v2, v3
	v_cndmask_b32_e32 v2, v2, v3, vcc
	s_nop 1
	v_mov_b32_dpp v3, v2 row_bcast:31 row_mask:0xf bank_mask:0xf
	v_cmp_lt_f32_e32 vcc, v2, v3
	v_cndmask_b32_e32 v3, v2, v3, vcc
	v_mbcnt_lo_u32_b32 v2, -1, 0
	v_mbcnt_hi_u32_b32 v2, -1, v2
	v_lshl_or_b32 v2, v2, 2, v4
	ds_bpermute_b32 v4, v2, v3
	v_mov_b32_e32 v3, 0
	s_and_saveexec_b64 s[2:3], s[0:1]
	s_cbranch_execz .LBB248_8
; %bb.5:
	s_load_dword s11, s[4:5], 0x4c
	v_lshl_add_u32 v5, v0, 2, 0
	s_mov_b64 s[16:17], 0
	v_mov_b32_e32 v3, 0
	s_mov_b32 s7, 0x3fb8aa3b
	s_waitcnt lgkmcnt(0)
	s_and_b32 s11, s11, 0xffff
	s_lshl_b32 s18, s11, 2
	s_mov_b32 s19, 0xc2ce8ed0
	s_mov_b32 s20, 0x42b17218
	v_mov_b32_e32 v6, 0x7f800000
	v_mov_b32_e32 v7, v0
.LBB248_6:                              ; =>This Inner Loop Header: Depth=1
	ds_read_b32 v8, v5
	v_add_u32_e32 v7, s11, v7
	s_waitcnt lgkmcnt(0)
	v_sub_f32_e32 v8, v8, v4
	v_mul_f32_e32 v9, 0x3fb8aa3b, v8
	v_fma_f32 v10, v8, s7, -v9
	v_rndne_f32_e32 v11, v9
	v_fmac_f32_e32 v10, 0x32a5705f, v8
	v_sub_f32_e32 v9, v9, v11
	v_add_f32_e32 v9, v9, v10
	v_cvt_i32_f32_e32 v11, v11
	v_exp_f32_e32 v9, v9
	v_cmp_ngt_f32_e32 vcc, s19, v8
	v_ldexp_f32 v9, v9, v11
	v_cndmask_b32_e32 v9, 0, v9, vcc
	v_cmp_nlt_f32_e32 vcc, s20, v8
	v_cndmask_b32_e32 v8, v6, v9, vcc
	v_cmp_le_i32_e32 vcc, s8, v7
	ds_write_b32 v5, v8
	v_add_f32_e32 v3, v3, v8
	s_or_b64 s[16:17], vcc, s[16:17]
	v_add_u32_e32 v5, s18, v5
	s_andn2_b64 exec, exec, s[16:17]
	s_cbranch_execnz .LBB248_6
; %bb.7:
	s_or_b64 exec, exec, s[16:17]
.LBB248_8:
	s_or_b64 exec, exec, s[2:3]
	s_waitcnt lgkmcnt(0)
	v_mov_b32_dpp v4, v3 quad_perm:[1,0,3,2] row_mask:0xf bank_mask:0xf
	v_add_f32_e32 v3, v3, v4
	s_barrier
	s_nop 0
	v_mov_b32_dpp v4, v3 quad_perm:[2,3,0,1] row_mask:0xf bank_mask:0xf
	v_add_f32_e32 v3, v3, v4
	s_nop 1
	v_mov_b32_dpp v4, v3 row_half_mirror row_mask:0xf bank_mask:0xf
	v_add_f32_e32 v3, v3, v4
	s_nop 1
	v_mov_b32_dpp v4, v3 row_mirror row_mask:0xf bank_mask:0xf
	v_add_f32_e32 v3, v3, v4
	s_nop 1
	v_mov_b32_dpp v4, v3 row_bcast:15 row_mask:0xf bank_mask:0xf
	v_add_f32_e32 v3, v3, v4
	s_nop 1
	v_mov_b32_dpp v4, v3 row_bcast:31 row_mask:0xf bank_mask:0xf
	v_add_f32_e32 v3, v3, v4
	ds_bpermute_b32 v2, v2, v3
	s_and_saveexec_b64 s[2:3], s[0:1]
	s_cbranch_execz .LBB248_11
; %bb.9:
	s_load_dword s7, s[4:5], 0x4c
	v_lshl_add_u32 v3, v0, 2, 0
	s_mov_b64 s[16:17], 0
	v_mov_b32_e32 v4, v0
	s_waitcnt lgkmcnt(0)
	s_and_b32 s7, s7, 0xffff
	s_lshl_b32 s11, s7, 2
.LBB248_10:                             ; =>This Inner Loop Header: Depth=1
	ds_read_b32 v5, v3
	v_add_u32_e32 v4, s7, v4
	v_cmp_le_i32_e32 vcc, s8, v4
	s_or_b64 s[16:17], vcc, s[16:17]
	s_waitcnt lgkmcnt(0)
	v_div_scale_f32 v6, s[18:19], v2, v2, v5
	v_rcp_f32_e32 v7, v6
	v_div_scale_f32 v8, vcc, v5, v2, v5
	v_fma_f32 v9, -v6, v7, 1.0
	v_fmac_f32_e32 v7, v9, v7
	v_mul_f32_e32 v9, v8, v7
	v_fma_f32 v10, -v6, v9, v8
	v_fmac_f32_e32 v9, v10, v7
	v_fma_f32 v6, -v6, v9, v8
	v_div_fmas_f32 v6, v6, v7, v9
	v_div_fixup_f32 v5, v6, v2, v5
	ds_write_b32 v3, v5
	v_add_u32_e32 v3, s11, v3
	s_andn2_b64 exec, exec, s[16:17]
	s_cbranch_execnz .LBB248_10
.LBB248_11:
	s_or_b64 exec, exec, s[2:3]
	s_lshr_b32 s2, s8, 31
	s_add_i32 s2, s8, s2
	s_ashr_i32 s11, s2, 1
	s_lshl_b32 s2, s8, 2
	s_add_i32 s7, s2, 0
	v_cmp_gt_u32_e32 vcc, 2, v0
	s_waitcnt lgkmcnt(0)
	s_barrier
	s_and_saveexec_b64 s[16:17], vcc
	s_cbranch_execz .LBB248_18
; %bb.12:
	s_load_dword s2, s[4:5], 0x4c
	v_mul_lo_u32 v2, v0, s11
	v_lshl_add_u32 v2, v2, 2, 0
	s_waitcnt lgkmcnt(0)
	s_and_b32 s22, s2, 0xffff
	s_cmp_gt_i32 s8, 1
	s_cselect_b64 s[2:3], -1, 0
	s_mul_i32 s18, s11, s22
	v_cndmask_b32_e64 v3, 0, 1, s[2:3]
	s_lshl_b32 s23, s18, 2
	s_mov_b64 s[18:19], 0
	v_cmp_ne_u32_e64 s[2:3], 1, v3
	v_mov_b32_e32 v3, v0
	s_branch .LBB248_14
.LBB248_13:                             ;   in Loop: Header=BB248_14 Depth=1
	v_lshl_add_u32 v5, v3, 2, s7
	v_add_u32_e32 v3, s22, v3
	v_cmp_lt_u32_e32 vcc, 1, v3
	s_or_b64 s[18:19], vcc, s[18:19]
	v_add_u32_e32 v2, s23, v2
	ds_write_b32 v5, v4
	s_andn2_b64 exec, exec, s[18:19]
	s_cbranch_execz .LBB248_18
.LBB248_14:                             ; =>This Loop Header: Depth=1
                                        ;     Child Loop BB248_16 Depth 2
	s_and_b64 vcc, exec, s[2:3]
	v_mov_b32_e32 v4, 0xff800000
	s_cbranch_vccnz .LBB248_13
; %bb.15:                               ;   in Loop: Header=BB248_14 Depth=1
	v_mul_lo_u32 v5, v3, s11
	v_add_u32_e32 v6, s11, v5
	s_mov_b64 s[20:21], 0
	v_mov_b32_e32 v4, 0xff800000
	v_mov_b32_e32 v7, v2
.LBB248_16:                             ;   Parent Loop BB248_14 Depth=1
                                        ; =>  This Inner Loop Header: Depth=2
	ds_read_b32 v8, v7
	v_add_u32_e32 v5, 1, v5
	v_cmp_ge_i32_e32 vcc, v5, v6
	s_or_b64 s[20:21], vcc, s[20:21]
	v_add_u32_e32 v7, 4, v7
	s_waitcnt lgkmcnt(0)
	v_cmp_gt_f32_e32 vcc, v8, v4
	v_cndmask_b32_e32 v4, v4, v8, vcc
	s_andn2_b64 exec, exec, s[20:21]
	s_cbranch_execnz .LBB248_16
; %bb.17:                               ;   in Loop: Header=BB248_14 Depth=1
	s_or_b64 exec, exec, s[20:21]
	s_branch .LBB248_13
.LBB248_18:
	s_or_b64 exec, exec, s[16:17]
	s_cmp_lt_i32 s10, 1
	s_waitcnt lgkmcnt(0)
	s_barrier
	s_cbranch_scc1 .LBB248_21
; %bb.19:
	v_mov_b32_e32 v2, s7
	s_mov_b32 s2, 0xff800000
	v_mov_b32_e32 v3, 0xff800000
.LBB248_20:                             ; =>This Inner Loop Header: Depth=1
	ds_read2_b32 v[4:5], v2 offset1:1
	s_add_i32 s10, s10, -1
	s_cmp_lg_u32 s10, 0
	s_waitcnt lgkmcnt(0)
	v_cmp_nlg_f32_e32 vcc, s2, v4
	v_cndmask_b32_e64 v6, 0, 1, vcc
	v_cmp_lg_f32_e32 vcc, s2, v4
	v_cndmask_b32_e32 v4, v3, v4, vcc
	v_lshlrev_b32_e32 v6, 1, v6
	v_cmp_ngt_f32_e32 vcc, v5, v4
	v_cndmask_b32_e32 v4, 1, v6, vcc
	v_lshlrev_b32_e32 v4, 2, v4
	v_add_u32_e32 v4, s7, v4
	ds_write_b32 v4, v3
	s_cbranch_scc1 .LBB248_20
.LBB248_21:
	s_and_saveexec_b64 s[2:3], s[0:1]
	s_cbranch_execz .LBB248_26
; %bb.22:
	s_abs_i32 s18, s11
	v_cvt_f32_u32_e32 v3, s18
	s_load_dword s16, s[4:5], 0x4c
	s_sub_i32 s17, 0, s18
	s_ashr_i32 s19, s11, 31
	v_rcp_iflag_f32_e32 v4, v3
	v_lshl_add_u32 v2, v0, 2, 0
	s_waitcnt lgkmcnt(0)
	s_and_b32 s21, s16, 0xffff
	s_mov_b64 s[10:11], 0
	v_mul_f32_e32 v4, 0x4f7ffffe, v4
	v_cvt_u32_f32_e32 v4, v4
	s_mov_b32 s20, 0xff800000
	v_mov_b32_e32 v3, 0xff800000
	s_lshl_b32 s22, s21, 2
	v_mul_lo_u32 v5, s17, v4
	v_mul_hi_u32 v5, v4, v5
	v_add_u32_e32 v4, v4, v5
	v_mov_b32_e32 v5, v0
	s_branch .LBB248_24
.LBB248_23:                             ;   in Loop: Header=BB248_24 Depth=1
	s_or_b64 exec, exec, s[16:17]
	v_add_u32_e32 v5, s21, v5
	v_cmp_le_i32_e32 vcc, s8, v5
	s_or_b64 s[10:11], vcc, s[10:11]
	v_add_u32_e32 v2, s22, v2
	s_andn2_b64 exec, exec, s[10:11]
	s_cbranch_execz .LBB248_26
.LBB248_24:                             ; =>This Inner Loop Header: Depth=1
	v_sub_u32_e32 v7, 0, v5
	v_max_i32_e32 v7, v5, v7
	v_mul_hi_u32 v8, v7, v4
	v_mul_lo_u32 v9, v8, s18
	v_sub_u32_e32 v7, v7, v9
	v_add_u32_e32 v9, 1, v8
	v_cmp_le_u32_e32 vcc, s18, v7
	v_cndmask_b32_e32 v8, v8, v9, vcc
	v_subrev_u32_e32 v9, s18, v7
	v_cndmask_b32_e32 v7, v7, v9, vcc
	v_ashrrev_i32_e32 v6, 31, v5
	v_add_u32_e32 v9, 1, v8
	v_cmp_le_u32_e32 vcc, s18, v7
	v_xor_b32_e32 v6, s19, v6
	v_cndmask_b32_e32 v7, v8, v9, vcc
	v_xor_b32_e32 v7, v7, v6
	v_sub_u32_e32 v6, v7, v6
	v_lshl_add_u32 v6, v6, 2, s7
	ds_read_b32 v6, v6
	s_waitcnt lgkmcnt(0)
	v_cmp_neq_f32_e32 vcc, s20, v6
	s_and_saveexec_b64 s[16:17], vcc
	s_cbranch_execz .LBB248_23
; %bb.25:                               ;   in Loop: Header=BB248_24 Depth=1
	ds_write_b32 v2, v3
	s_branch .LBB248_23
.LBB248_26:
	s_or_b64 exec, exec, s[2:3]
	s_cmp_lt_i32 s9, 1
	s_waitcnt lgkmcnt(0)
	s_barrier
	s_cbranch_scc1 .LBB248_33
; %bb.27:
	s_add_u32 s2, s4, 64
	s_addc_u32 s3, s5, 0
	s_mov_b32 s7, 0
	v_mov_b32_e32 v3, 0
	v_mov_b32_e32 v5, 0xff800000
                                        ; implicit-def: $vgpr4
                                        ; implicit-def: $vgpr2
	s_branch .LBB248_29
.LBB248_28:                             ;   in Loop: Header=BB248_29 Depth=1
	s_or_b64 exec, exec, s[10:11]
	v_mov_b32_dpp v9, v7 quad_perm:[1,0,3,2] row_mask:0xf bank_mask:0xf
	v_cmp_lt_f32_e32 vcc, v7, v9
	v_cndmask_b32_e32 v7, v7, v9, vcc
	v_mov_b32_dpp v8, v6 quad_perm:[1,0,3,2] row_mask:0xf bank_mask:0xf
	v_cndmask_b32_e32 v6, v6, v8, vcc
	v_mov_b32_dpp v9, v7 quad_perm:[2,3,0,1] row_mask:0xf bank_mask:0xf
	v_cmp_gt_f32_e32 vcc, v9, v7
	v_cndmask_b32_e32 v7, v7, v9, vcc
	v_mov_b32_dpp v8, v6 quad_perm:[2,3,0,1] row_mask:0xf bank_mask:0xf
	v_cndmask_b32_e32 v6, v6, v8, vcc
	v_mov_b32_dpp v9, v7 row_half_mirror row_mask:0xf bank_mask:0xf
	v_cmp_gt_f32_e32 vcc, v9, v7
	v_cndmask_b32_e32 v7, v7, v9, vcc
	v_mov_b32_dpp v8, v6 row_half_mirror row_mask:0xf bank_mask:0xf
	v_cndmask_b32_e32 v6, v6, v8, vcc
	v_mov_b32_dpp v9, v7 row_mirror row_mask:0xf bank_mask:0xf
	v_cmp_gt_f32_e32 vcc, v9, v7
	v_cndmask_b32_e32 v7, v7, v9, vcc
	v_mov_b32_dpp v8, v6 row_mirror row_mask:0xf bank_mask:0xf
	v_cndmask_b32_e32 v6, v6, v8, vcc
	v_mov_b32_dpp v9, v7 row_bcast:15 row_mask:0xf bank_mask:0xf
	v_cmp_gt_f32_e32 vcc, v9, v7
	v_mov_b32_dpp v8, v6 row_bcast:15 row_mask:0xf bank_mask:0xf
	v_cndmask_b32_e32 v7, v7, v9, vcc
	v_cndmask_b32_e32 v6, v6, v8, vcc
	s_nop 0
	v_mov_b32_dpp v9, v7 row_bcast:31 row_mask:0xf bank_mask:0xf
	v_mov_b32_dpp v8, v6 row_bcast:31 row_mask:0xf bank_mask:0xf
	v_cmp_gt_f32_e32 vcc, v9, v7
	v_cndmask_b32_e32 v6, v6, v8, vcc
	v_readlane_b32 s11, v6, 63
	s_lshl_b32 s16, s11, 2
	s_add_i32 s16, s16, 0
	v_cndmask_b32_e32 v7, v7, v9, vcc
	v_mov_b32_e32 v6, s16
	v_readlane_b32 s10, v7, 63
	ds_write_b32 v6, v5
	v_mov_b32_e32 v6, s11
	v_cmp_eq_u32_e32 vcc, s7, v0
	v_cndmask_b32_e32 v2, v2, v6, vcc
	v_mov_b32_e32 v6, s10
	s_add_i32 s7, s7, 1
	v_cndmask_b32_e32 v4, v4, v6, vcc
	s_cmp_eq_u32 s7, s9
	v_add_f32_e32 v3, s10, v3
	s_cbranch_scc1 .LBB248_34
.LBB248_29:                             ; =>This Loop Header: Depth=1
                                        ;     Child Loop BB248_31 Depth 2
	v_mov_b32_e32 v6, s7
	v_mov_b32_e32 v7, 0xff800000
	s_and_saveexec_b64 s[10:11], s[0:1]
	s_cbranch_execz .LBB248_28
; %bb.30:                               ;   in Loop: Header=BB248_29 Depth=1
	s_load_dword s18, s[2:3], 0xc
	s_mov_b64 s[16:17], 0
	v_mov_b32_e32 v6, s7
	v_mov_b32_e32 v7, 0xff800000
	;; [unrolled: 1-line block ×3, first 2 shown]
	s_waitcnt lgkmcnt(0)
	s_and_b32 s18, s18, 0xffff
	s_lshl_b32 s19, s18, 2
	v_mov_b32_e32 v9, v0
.LBB248_31:                             ;   Parent Loop BB248_29 Depth=1
                                        ; =>  This Inner Loop Header: Depth=2
	ds_read_b32 v10, v8
	v_add_u32_e32 v8, s19, v8
	s_waitcnt lgkmcnt(0)
	v_cmp_gt_f32_e32 vcc, v10, v7
	v_cndmask_b32_e32 v6, v6, v9, vcc
	v_add_u32_e32 v9, s18, v9
	v_cndmask_b32_e32 v7, v7, v10, vcc
	v_cmp_le_i32_e32 vcc, s8, v9
	s_or_b64 s[16:17], vcc, s[16:17]
	s_andn2_b64 exec, exec, s[16:17]
	s_cbranch_execnz .LBB248_31
; %bb.32:                               ;   in Loop: Header=BB248_29 Depth=1
	s_or_b64 exec, exec, s[16:17]
	s_branch .LBB248_28
.LBB248_33:
	v_mov_b32_e32 v3, 0
                                        ; implicit-def: $vgpr4
                                        ; implicit-def: $vgpr2
.LBB248_34:
	v_cmp_gt_i32_e32 vcc, s9, v0
	s_and_saveexec_b64 s[0:1], vcc
	s_cbranch_execz .LBB248_37
; %bb.35:
	s_load_dword s7, s[4:5], 0x38
	s_load_dwordx2 s[0:1], s[4:5], 0x20
	s_load_dword s8, s[4:5], 0x4c
	s_waitcnt lgkmcnt(0)
	v_div_scale_f32 v1, s[2:3], v3, v3, s7
	v_rcp_f32_e32 v5, v1
	v_div_scale_f32 v6, vcc, s7, v3, s7
	s_ashr_i32 s2, s6, 31
	v_fma_f32 v7, -v1, v5, 1.0
	v_fmac_f32_e32 v5, v7, v5
	v_mul_f32_e32 v7, v6, v5
	v_fma_f32 v8, -v1, v7, v6
	v_fmac_f32_e32 v7, v8, v5
	v_fma_f32 v1, -v1, v7, v6
	s_mul_i32 s1, s6, s1
	s_mul_hi_u32 s3, s6, s0
	v_div_fmas_f32 v1, v1, v5, v7
	s_add_i32 s1, s3, s1
	s_mul_i32 s2, s2, s0
	v_div_fixup_f32 v1, v1, v3, s7
	s_add_i32 s4, s1, s2
	v_mul_f32_e32 v1, v1, v4
	s_mul_i32 s2, s6, s0
	s_and_b32 s3, s8, 0xffff
	s_mov_b64 s[0:1], 0
	v_mov_b32_e32 v3, s4
	v_mov_b32_e32 v4, s13
	;; [unrolled: 1-line block ×3, first 2 shown]
.LBB248_36:                             ; =>This Inner Loop Header: Depth=1
	v_ashrrev_i32_e32 v7, 31, v0
	v_add_co_u32_e32 v6, vcc, s2, v0
	v_addc_co_u32_e32 v7, vcc, v3, v7, vcc
	v_add_u32_e32 v0, s3, v0
	v_cmp_le_i32_e32 vcc, s9, v0
	v_lshlrev_b64 v[6:7], 2, v[6:7]
	s_or_b64 s[0:1], vcc, s[0:1]
	v_add_co_u32_e32 v8, vcc, s12, v6
	v_addc_co_u32_e32 v9, vcc, v4, v7, vcc
	v_add_co_u32_e32 v6, vcc, s14, v6
	v_addc_co_u32_e32 v7, vcc, v5, v7, vcc
	global_store_dword v[8:9], v1, off
	global_store_dword v[6:7], v2, off
	s_andn2_b64 exec, exec, s[0:1]
	s_cbranch_execnz .LBB248_36
.LBB248_37:
	s_endpgm
	.section	.rodata,"a",@progbits
	.p2align	6, 0x0
	.amdhsa_kernel _ZN5aiter19grouped_topk_kernelIN3c104HalfEDv1_fLi2ELb1ELb0ELb1EEEvPT_PKS4_PfPimiiiif
		.amdhsa_group_segment_fixed_size 0
		.amdhsa_private_segment_fixed_size 0
		.amdhsa_kernarg_size 320
		.amdhsa_user_sgpr_count 6
		.amdhsa_user_sgpr_private_segment_buffer 1
		.amdhsa_user_sgpr_dispatch_ptr 0
		.amdhsa_user_sgpr_queue_ptr 0
		.amdhsa_user_sgpr_kernarg_segment_ptr 1
		.amdhsa_user_sgpr_dispatch_id 0
		.amdhsa_user_sgpr_flat_scratch_init 0
		.amdhsa_user_sgpr_kernarg_preload_length 0
		.amdhsa_user_sgpr_kernarg_preload_offset 0
		.amdhsa_user_sgpr_private_segment_size 0
		.amdhsa_uses_dynamic_stack 0
		.amdhsa_system_sgpr_private_segment_wavefront_offset 0
		.amdhsa_system_sgpr_workgroup_id_x 1
		.amdhsa_system_sgpr_workgroup_id_y 0
		.amdhsa_system_sgpr_workgroup_id_z 0
		.amdhsa_system_sgpr_workgroup_info 0
		.amdhsa_system_vgpr_workitem_id 0
		.amdhsa_next_free_vgpr 12
		.amdhsa_next_free_sgpr 24
		.amdhsa_accum_offset 12
		.amdhsa_reserve_vcc 1
		.amdhsa_reserve_flat_scratch 0
		.amdhsa_float_round_mode_32 0
		.amdhsa_float_round_mode_16_64 0
		.amdhsa_float_denorm_mode_32 3
		.amdhsa_float_denorm_mode_16_64 3
		.amdhsa_dx10_clamp 1
		.amdhsa_ieee_mode 1
		.amdhsa_fp16_overflow 0
		.amdhsa_tg_split 0
		.amdhsa_exception_fp_ieee_invalid_op 0
		.amdhsa_exception_fp_denorm_src 0
		.amdhsa_exception_fp_ieee_div_zero 0
		.amdhsa_exception_fp_ieee_overflow 0
		.amdhsa_exception_fp_ieee_underflow 0
		.amdhsa_exception_fp_ieee_inexact 0
		.amdhsa_exception_int_div_zero 0
	.end_amdhsa_kernel
	.section	.text._ZN5aiter19grouped_topk_kernelIN3c104HalfEDv1_fLi2ELb1ELb0ELb1EEEvPT_PKS4_PfPimiiiif,"axG",@progbits,_ZN5aiter19grouped_topk_kernelIN3c104HalfEDv1_fLi2ELb1ELb0ELb1EEEvPT_PKS4_PfPimiiiif,comdat
.Lfunc_end248:
	.size	_ZN5aiter19grouped_topk_kernelIN3c104HalfEDv1_fLi2ELb1ELb0ELb1EEEvPT_PKS4_PfPimiiiif, .Lfunc_end248-_ZN5aiter19grouped_topk_kernelIN3c104HalfEDv1_fLi2ELb1ELb0ELb1EEEvPT_PKS4_PfPimiiiif
                                        ; -- End function
	.section	.AMDGPU.csdata,"",@progbits
; Kernel info:
; codeLenInByte = 2156
; NumSgprs: 28
; NumVgprs: 12
; NumAgprs: 0
; TotalNumVgprs: 12
; ScratchSize: 0
; MemoryBound: 0
; FloatMode: 240
; IeeeMode: 1
; LDSByteSize: 0 bytes/workgroup (compile time only)
; SGPRBlocks: 3
; VGPRBlocks: 1
; NumSGPRsForWavesPerEU: 28
; NumVGPRsForWavesPerEU: 12
; AccumOffset: 12
; Occupancy: 8
; WaveLimiterHint : 0
; COMPUTE_PGM_RSRC2:SCRATCH_EN: 0
; COMPUTE_PGM_RSRC2:USER_SGPR: 6
; COMPUTE_PGM_RSRC2:TRAP_HANDLER: 0
; COMPUTE_PGM_RSRC2:TGID_X_EN: 1
; COMPUTE_PGM_RSRC2:TGID_Y_EN: 0
; COMPUTE_PGM_RSRC2:TGID_Z_EN: 0
; COMPUTE_PGM_RSRC2:TIDIG_COMP_CNT: 0
; COMPUTE_PGM_RSRC3_GFX90A:ACCUM_OFFSET: 2
; COMPUTE_PGM_RSRC3_GFX90A:TG_SPLIT: 0
	.section	.text._ZN5aiter19grouped_topk_kernelIN3c108BFloat16EDv1_fLi2ELb1ELb0ELb1EEEvPT_PKS4_PfPimiiiif,"axG",@progbits,_ZN5aiter19grouped_topk_kernelIN3c108BFloat16EDv1_fLi2ELb1ELb0ELb1EEEvPT_PKS4_PfPimiiiif,comdat
	.protected	_ZN5aiter19grouped_topk_kernelIN3c108BFloat16EDv1_fLi2ELb1ELb0ELb1EEEvPT_PKS4_PfPimiiiif ; -- Begin function _ZN5aiter19grouped_topk_kernelIN3c108BFloat16EDv1_fLi2ELb1ELb0ELb1EEEvPT_PKS4_PfPimiiiif
	.globl	_ZN5aiter19grouped_topk_kernelIN3c108BFloat16EDv1_fLi2ELb1ELb0ELb1EEEvPT_PKS4_PfPimiiiif
	.p2align	8
	.type	_ZN5aiter19grouped_topk_kernelIN3c108BFloat16EDv1_fLi2ELb1ELb0ELb1EEEvPT_PKS4_PfPimiiiif,@function
_ZN5aiter19grouped_topk_kernelIN3c108BFloat16EDv1_fLi2ELb1ELb0ELb1EEEvPT_PKS4_PfPimiiiif: ; @_ZN5aiter19grouped_topk_kernelIN3c108BFloat16EDv1_fLi2ELb1ELb0ELb1EEEvPT_PKS4_PfPimiiiif
; %bb.0:
	s_load_dwordx4 s[8:11], s[4:5], 0x28
	s_load_dwordx4 s[12:15], s[4:5], 0x10
	v_mov_b32_e32 v2, 0xff800000
	v_lshl_add_u32 v1, v0, 2, 0
	s_waitcnt lgkmcnt(0)
	v_cmp_gt_i32_e64 s[0:1], s8, v0
	s_and_saveexec_b64 s[2:3], s[0:1]
	s_cbranch_execz .LBB249_4
; %bb.1:
	s_load_dword s11, s[4:5], 0x4c
	s_load_dwordx2 s[16:17], s[4:5], 0x0
	s_mul_i32 s7, s6, s8
	v_lshl_add_u32 v3, v0, 2, 0
	s_mov_b64 s[18:19], 0
	s_waitcnt lgkmcnt(0)
	s_and_b32 s11, s11, 0xffff
	s_lshl_b32 s20, s11, 2
	v_mov_b32_e32 v2, 0xff800000
	v_mov_b32_e32 v4, s17
	;; [unrolled: 1-line block ×3, first 2 shown]
.LBB249_2:                              ; =>This Inner Loop Header: Depth=1
	v_add_u32_e32 v6, s7, v5
	v_ashrrev_i32_e32 v7, 31, v6
	v_lshlrev_b64 v[6:7], 1, v[6:7]
	v_add_co_u32_e32 v6, vcc, s16, v6
	v_addc_co_u32_e32 v7, vcc, v4, v7, vcc
	global_load_ushort v6, v[6:7], off
	v_add_u32_e32 v5, s11, v5
	v_cmp_le_i32_e32 vcc, s8, v5
	s_or_b64 s[18:19], vcc, s[18:19]
	s_waitcnt vmcnt(0)
	v_lshrrev_b16_e32 v7, 8, v6
	v_and_b32_e32 v6, 0xff, v6
	v_lshlrev_b32_e32 v6, 16, v6
	v_lshl_or_b32 v6, v7, 24, v6
	v_cmp_lt_f32_e32 vcc, v2, v6
	ds_write_b32 v3, v6
	v_cndmask_b32_e32 v2, v2, v6, vcc
	v_add_u32_e32 v3, s20, v3
	s_andn2_b64 exec, exec, s[18:19]
	s_cbranch_execnz .LBB249_2
; %bb.3:
	s_or_b64 exec, exec, s[18:19]
.LBB249_4:
	s_or_b64 exec, exec, s[2:3]
	v_mov_b32_dpp v3, v2 quad_perm:[1,0,3,2] row_mask:0xf bank_mask:0xf
	v_cmp_lt_f32_e32 vcc, v2, v3
	v_cndmask_b32_e32 v2, v2, v3, vcc
	v_bfrev_b32_e32 v4, 0.5
	s_waitcnt lgkmcnt(0)
	v_mov_b32_dpp v3, v2 quad_perm:[2,3,0,1] row_mask:0xf bank_mask:0xf
	v_cmp_lt_f32_e32 vcc, v2, v3
	v_cndmask_b32_e32 v2, v2, v3, vcc
	s_barrier
	s_nop 0
	v_mov_b32_dpp v3, v2 row_half_mirror row_mask:0xf bank_mask:0xf
	v_cmp_lt_f32_e32 vcc, v2, v3
	v_cndmask_b32_e32 v2, v2, v3, vcc
	s_nop 1
	v_mov_b32_dpp v3, v2 row_mirror row_mask:0xf bank_mask:0xf
	v_cmp_lt_f32_e32 vcc, v2, v3
	v_cndmask_b32_e32 v2, v2, v3, vcc
	s_nop 1
	v_mov_b32_dpp v3, v2 row_bcast:15 row_mask:0xf bank_mask:0xf
	v_cmp_lt_f32_e32 vcc, v2, v3
	v_cndmask_b32_e32 v2, v2, v3, vcc
	s_nop 1
	v_mov_b32_dpp v3, v2 row_bcast:31 row_mask:0xf bank_mask:0xf
	v_cmp_lt_f32_e32 vcc, v2, v3
	v_cndmask_b32_e32 v3, v2, v3, vcc
	v_mbcnt_lo_u32_b32 v2, -1, 0
	v_mbcnt_hi_u32_b32 v2, -1, v2
	v_lshl_or_b32 v2, v2, 2, v4
	ds_bpermute_b32 v4, v2, v3
	v_mov_b32_e32 v3, 0
	s_and_saveexec_b64 s[2:3], s[0:1]
	s_cbranch_execz .LBB249_8
; %bb.5:
	s_load_dword s11, s[4:5], 0x4c
	v_lshl_add_u32 v5, v0, 2, 0
	s_mov_b64 s[16:17], 0
	v_mov_b32_e32 v3, 0
	s_mov_b32 s7, 0x3fb8aa3b
	s_waitcnt lgkmcnt(0)
	s_and_b32 s11, s11, 0xffff
	s_lshl_b32 s18, s11, 2
	s_mov_b32 s19, 0xc2ce8ed0
	s_mov_b32 s20, 0x42b17218
	v_mov_b32_e32 v6, 0x7f800000
	v_mov_b32_e32 v7, v0
.LBB249_6:                              ; =>This Inner Loop Header: Depth=1
	ds_read_b32 v8, v5
	v_add_u32_e32 v7, s11, v7
	s_waitcnt lgkmcnt(0)
	v_sub_f32_e32 v8, v8, v4
	v_mul_f32_e32 v9, 0x3fb8aa3b, v8
	v_fma_f32 v10, v8, s7, -v9
	v_rndne_f32_e32 v11, v9
	v_fmac_f32_e32 v10, 0x32a5705f, v8
	v_sub_f32_e32 v9, v9, v11
	v_add_f32_e32 v9, v9, v10
	v_cvt_i32_f32_e32 v11, v11
	v_exp_f32_e32 v9, v9
	v_cmp_ngt_f32_e32 vcc, s19, v8
	v_ldexp_f32 v9, v9, v11
	v_cndmask_b32_e32 v9, 0, v9, vcc
	v_cmp_nlt_f32_e32 vcc, s20, v8
	v_cndmask_b32_e32 v8, v6, v9, vcc
	v_cmp_le_i32_e32 vcc, s8, v7
	ds_write_b32 v5, v8
	v_add_f32_e32 v3, v3, v8
	s_or_b64 s[16:17], vcc, s[16:17]
	v_add_u32_e32 v5, s18, v5
	s_andn2_b64 exec, exec, s[16:17]
	s_cbranch_execnz .LBB249_6
; %bb.7:
	s_or_b64 exec, exec, s[16:17]
.LBB249_8:
	s_or_b64 exec, exec, s[2:3]
	s_waitcnt lgkmcnt(0)
	v_mov_b32_dpp v4, v3 quad_perm:[1,0,3,2] row_mask:0xf bank_mask:0xf
	v_add_f32_e32 v3, v3, v4
	s_barrier
	s_nop 0
	v_mov_b32_dpp v4, v3 quad_perm:[2,3,0,1] row_mask:0xf bank_mask:0xf
	v_add_f32_e32 v3, v3, v4
	s_nop 1
	v_mov_b32_dpp v4, v3 row_half_mirror row_mask:0xf bank_mask:0xf
	v_add_f32_e32 v3, v3, v4
	s_nop 1
	v_mov_b32_dpp v4, v3 row_mirror row_mask:0xf bank_mask:0xf
	v_add_f32_e32 v3, v3, v4
	s_nop 1
	v_mov_b32_dpp v4, v3 row_bcast:15 row_mask:0xf bank_mask:0xf
	v_add_f32_e32 v3, v3, v4
	s_nop 1
	v_mov_b32_dpp v4, v3 row_bcast:31 row_mask:0xf bank_mask:0xf
	v_add_f32_e32 v3, v3, v4
	ds_bpermute_b32 v2, v2, v3
	s_and_saveexec_b64 s[2:3], s[0:1]
	s_cbranch_execz .LBB249_11
; %bb.9:
	s_load_dword s7, s[4:5], 0x4c
	v_lshl_add_u32 v3, v0, 2, 0
	s_mov_b64 s[16:17], 0
	v_mov_b32_e32 v4, v0
	s_waitcnt lgkmcnt(0)
	s_and_b32 s7, s7, 0xffff
	s_lshl_b32 s11, s7, 2
.LBB249_10:                             ; =>This Inner Loop Header: Depth=1
	ds_read_b32 v5, v3
	v_add_u32_e32 v4, s7, v4
	v_cmp_le_i32_e32 vcc, s8, v4
	s_or_b64 s[16:17], vcc, s[16:17]
	s_waitcnt lgkmcnt(0)
	v_div_scale_f32 v6, s[18:19], v2, v2, v5
	v_rcp_f32_e32 v7, v6
	v_div_scale_f32 v8, vcc, v5, v2, v5
	v_fma_f32 v9, -v6, v7, 1.0
	v_fmac_f32_e32 v7, v9, v7
	v_mul_f32_e32 v9, v8, v7
	v_fma_f32 v10, -v6, v9, v8
	v_fmac_f32_e32 v9, v10, v7
	v_fma_f32 v6, -v6, v9, v8
	v_div_fmas_f32 v6, v6, v7, v9
	v_div_fixup_f32 v5, v6, v2, v5
	ds_write_b32 v3, v5
	v_add_u32_e32 v3, s11, v3
	s_andn2_b64 exec, exec, s[16:17]
	s_cbranch_execnz .LBB249_10
.LBB249_11:
	s_or_b64 exec, exec, s[2:3]
	s_lshr_b32 s2, s8, 31
	s_add_i32 s2, s8, s2
	s_ashr_i32 s11, s2, 1
	s_lshl_b32 s2, s8, 2
	s_add_i32 s7, s2, 0
	v_cmp_gt_u32_e32 vcc, 2, v0
	s_waitcnt lgkmcnt(0)
	s_barrier
	s_and_saveexec_b64 s[16:17], vcc
	s_cbranch_execz .LBB249_18
; %bb.12:
	s_load_dword s2, s[4:5], 0x4c
	v_mul_lo_u32 v2, v0, s11
	v_lshl_add_u32 v2, v2, 2, 0
	s_waitcnt lgkmcnt(0)
	s_and_b32 s22, s2, 0xffff
	s_cmp_gt_i32 s8, 1
	s_cselect_b64 s[2:3], -1, 0
	s_mul_i32 s18, s11, s22
	v_cndmask_b32_e64 v3, 0, 1, s[2:3]
	s_lshl_b32 s23, s18, 2
	s_mov_b64 s[18:19], 0
	v_cmp_ne_u32_e64 s[2:3], 1, v3
	v_mov_b32_e32 v3, v0
	s_branch .LBB249_14
.LBB249_13:                             ;   in Loop: Header=BB249_14 Depth=1
	v_lshl_add_u32 v5, v3, 2, s7
	v_add_u32_e32 v3, s22, v3
	v_cmp_lt_u32_e32 vcc, 1, v3
	s_or_b64 s[18:19], vcc, s[18:19]
	v_add_u32_e32 v2, s23, v2
	ds_write_b32 v5, v4
	s_andn2_b64 exec, exec, s[18:19]
	s_cbranch_execz .LBB249_18
.LBB249_14:                             ; =>This Loop Header: Depth=1
                                        ;     Child Loop BB249_16 Depth 2
	s_and_b64 vcc, exec, s[2:3]
	v_mov_b32_e32 v4, 0xff800000
	s_cbranch_vccnz .LBB249_13
; %bb.15:                               ;   in Loop: Header=BB249_14 Depth=1
	v_mul_lo_u32 v5, v3, s11
	v_add_u32_e32 v6, s11, v5
	s_mov_b64 s[20:21], 0
	v_mov_b32_e32 v4, 0xff800000
	v_mov_b32_e32 v7, v2
.LBB249_16:                             ;   Parent Loop BB249_14 Depth=1
                                        ; =>  This Inner Loop Header: Depth=2
	ds_read_b32 v8, v7
	v_add_u32_e32 v5, 1, v5
	v_cmp_ge_i32_e32 vcc, v5, v6
	s_or_b64 s[20:21], vcc, s[20:21]
	v_add_u32_e32 v7, 4, v7
	s_waitcnt lgkmcnt(0)
	v_cmp_gt_f32_e32 vcc, v8, v4
	v_cndmask_b32_e32 v4, v4, v8, vcc
	s_andn2_b64 exec, exec, s[20:21]
	s_cbranch_execnz .LBB249_16
; %bb.17:                               ;   in Loop: Header=BB249_14 Depth=1
	s_or_b64 exec, exec, s[20:21]
	s_branch .LBB249_13
.LBB249_18:
	s_or_b64 exec, exec, s[16:17]
	s_cmp_lt_i32 s10, 1
	s_waitcnt lgkmcnt(0)
	s_barrier
	s_cbranch_scc1 .LBB249_21
; %bb.19:
	v_mov_b32_e32 v2, s7
	s_mov_b32 s2, 0xff800000
	v_mov_b32_e32 v3, 0xff800000
.LBB249_20:                             ; =>This Inner Loop Header: Depth=1
	ds_read2_b32 v[4:5], v2 offset1:1
	s_add_i32 s10, s10, -1
	s_cmp_lg_u32 s10, 0
	s_waitcnt lgkmcnt(0)
	v_cmp_nlg_f32_e32 vcc, s2, v4
	v_cndmask_b32_e64 v6, 0, 1, vcc
	v_cmp_lg_f32_e32 vcc, s2, v4
	v_cndmask_b32_e32 v4, v3, v4, vcc
	v_lshlrev_b32_e32 v6, 1, v6
	v_cmp_ngt_f32_e32 vcc, v5, v4
	v_cndmask_b32_e32 v4, 1, v6, vcc
	v_lshlrev_b32_e32 v4, 2, v4
	v_add_u32_e32 v4, s7, v4
	ds_write_b32 v4, v3
	s_cbranch_scc1 .LBB249_20
.LBB249_21:
	s_and_saveexec_b64 s[2:3], s[0:1]
	s_cbranch_execz .LBB249_26
; %bb.22:
	s_abs_i32 s18, s11
	v_cvt_f32_u32_e32 v3, s18
	s_load_dword s16, s[4:5], 0x4c
	s_sub_i32 s17, 0, s18
	s_ashr_i32 s19, s11, 31
	v_rcp_iflag_f32_e32 v4, v3
	v_lshl_add_u32 v2, v0, 2, 0
	s_waitcnt lgkmcnt(0)
	s_and_b32 s21, s16, 0xffff
	s_mov_b64 s[10:11], 0
	v_mul_f32_e32 v4, 0x4f7ffffe, v4
	v_cvt_u32_f32_e32 v4, v4
	s_mov_b32 s20, 0xff800000
	v_mov_b32_e32 v3, 0xff800000
	s_lshl_b32 s22, s21, 2
	v_mul_lo_u32 v5, s17, v4
	v_mul_hi_u32 v5, v4, v5
	v_add_u32_e32 v4, v4, v5
	v_mov_b32_e32 v5, v0
	s_branch .LBB249_24
.LBB249_23:                             ;   in Loop: Header=BB249_24 Depth=1
	s_or_b64 exec, exec, s[16:17]
	v_add_u32_e32 v5, s21, v5
	v_cmp_le_i32_e32 vcc, s8, v5
	s_or_b64 s[10:11], vcc, s[10:11]
	v_add_u32_e32 v2, s22, v2
	s_andn2_b64 exec, exec, s[10:11]
	s_cbranch_execz .LBB249_26
.LBB249_24:                             ; =>This Inner Loop Header: Depth=1
	v_sub_u32_e32 v7, 0, v5
	v_max_i32_e32 v7, v5, v7
	v_mul_hi_u32 v8, v7, v4
	v_mul_lo_u32 v9, v8, s18
	v_sub_u32_e32 v7, v7, v9
	v_add_u32_e32 v9, 1, v8
	v_cmp_le_u32_e32 vcc, s18, v7
	v_cndmask_b32_e32 v8, v8, v9, vcc
	v_subrev_u32_e32 v9, s18, v7
	v_cndmask_b32_e32 v7, v7, v9, vcc
	v_ashrrev_i32_e32 v6, 31, v5
	v_add_u32_e32 v9, 1, v8
	v_cmp_le_u32_e32 vcc, s18, v7
	v_xor_b32_e32 v6, s19, v6
	v_cndmask_b32_e32 v7, v8, v9, vcc
	v_xor_b32_e32 v7, v7, v6
	v_sub_u32_e32 v6, v7, v6
	v_lshl_add_u32 v6, v6, 2, s7
	ds_read_b32 v6, v6
	s_waitcnt lgkmcnt(0)
	v_cmp_neq_f32_e32 vcc, s20, v6
	s_and_saveexec_b64 s[16:17], vcc
	s_cbranch_execz .LBB249_23
; %bb.25:                               ;   in Loop: Header=BB249_24 Depth=1
	ds_write_b32 v2, v3
	s_branch .LBB249_23
.LBB249_26:
	s_or_b64 exec, exec, s[2:3]
	s_cmp_lt_i32 s9, 1
	s_waitcnt lgkmcnt(0)
	s_barrier
	s_cbranch_scc1 .LBB249_33
; %bb.27:
	s_add_u32 s2, s4, 64
	s_addc_u32 s3, s5, 0
	s_mov_b32 s7, 0
	v_mov_b32_e32 v3, 0
	v_mov_b32_e32 v5, 0xff800000
                                        ; implicit-def: $vgpr4
                                        ; implicit-def: $vgpr2
	s_branch .LBB249_29
.LBB249_28:                             ;   in Loop: Header=BB249_29 Depth=1
	s_or_b64 exec, exec, s[10:11]
	v_mov_b32_dpp v9, v7 quad_perm:[1,0,3,2] row_mask:0xf bank_mask:0xf
	v_cmp_lt_f32_e32 vcc, v7, v9
	v_cndmask_b32_e32 v7, v7, v9, vcc
	v_mov_b32_dpp v8, v6 quad_perm:[1,0,3,2] row_mask:0xf bank_mask:0xf
	v_cndmask_b32_e32 v6, v6, v8, vcc
	v_mov_b32_dpp v9, v7 quad_perm:[2,3,0,1] row_mask:0xf bank_mask:0xf
	v_cmp_gt_f32_e32 vcc, v9, v7
	v_cndmask_b32_e32 v7, v7, v9, vcc
	v_mov_b32_dpp v8, v6 quad_perm:[2,3,0,1] row_mask:0xf bank_mask:0xf
	v_cndmask_b32_e32 v6, v6, v8, vcc
	v_mov_b32_dpp v9, v7 row_half_mirror row_mask:0xf bank_mask:0xf
	v_cmp_gt_f32_e32 vcc, v9, v7
	v_cndmask_b32_e32 v7, v7, v9, vcc
	v_mov_b32_dpp v8, v6 row_half_mirror row_mask:0xf bank_mask:0xf
	v_cndmask_b32_e32 v6, v6, v8, vcc
	v_mov_b32_dpp v9, v7 row_mirror row_mask:0xf bank_mask:0xf
	v_cmp_gt_f32_e32 vcc, v9, v7
	v_cndmask_b32_e32 v7, v7, v9, vcc
	v_mov_b32_dpp v8, v6 row_mirror row_mask:0xf bank_mask:0xf
	v_cndmask_b32_e32 v6, v6, v8, vcc
	v_mov_b32_dpp v9, v7 row_bcast:15 row_mask:0xf bank_mask:0xf
	v_cmp_gt_f32_e32 vcc, v9, v7
	v_mov_b32_dpp v8, v6 row_bcast:15 row_mask:0xf bank_mask:0xf
	v_cndmask_b32_e32 v7, v7, v9, vcc
	v_cndmask_b32_e32 v6, v6, v8, vcc
	s_nop 0
	v_mov_b32_dpp v9, v7 row_bcast:31 row_mask:0xf bank_mask:0xf
	v_mov_b32_dpp v8, v6 row_bcast:31 row_mask:0xf bank_mask:0xf
	v_cmp_gt_f32_e32 vcc, v9, v7
	v_cndmask_b32_e32 v6, v6, v8, vcc
	v_readlane_b32 s11, v6, 63
	s_lshl_b32 s16, s11, 2
	s_add_i32 s16, s16, 0
	v_cndmask_b32_e32 v7, v7, v9, vcc
	v_mov_b32_e32 v6, s16
	v_readlane_b32 s10, v7, 63
	ds_write_b32 v6, v5
	v_mov_b32_e32 v6, s11
	v_cmp_eq_u32_e32 vcc, s7, v0
	v_cndmask_b32_e32 v2, v2, v6, vcc
	v_mov_b32_e32 v6, s10
	s_add_i32 s7, s7, 1
	v_cndmask_b32_e32 v4, v4, v6, vcc
	s_cmp_eq_u32 s7, s9
	v_add_f32_e32 v3, s10, v3
	s_cbranch_scc1 .LBB249_34
.LBB249_29:                             ; =>This Loop Header: Depth=1
                                        ;     Child Loop BB249_31 Depth 2
	v_mov_b32_e32 v6, s7
	v_mov_b32_e32 v7, 0xff800000
	s_and_saveexec_b64 s[10:11], s[0:1]
	s_cbranch_execz .LBB249_28
; %bb.30:                               ;   in Loop: Header=BB249_29 Depth=1
	s_load_dword s18, s[2:3], 0xc
	s_mov_b64 s[16:17], 0
	v_mov_b32_e32 v6, s7
	v_mov_b32_e32 v7, 0xff800000
	;; [unrolled: 1-line block ×3, first 2 shown]
	s_waitcnt lgkmcnt(0)
	s_and_b32 s18, s18, 0xffff
	s_lshl_b32 s19, s18, 2
	v_mov_b32_e32 v9, v0
.LBB249_31:                             ;   Parent Loop BB249_29 Depth=1
                                        ; =>  This Inner Loop Header: Depth=2
	ds_read_b32 v10, v8
	v_add_u32_e32 v8, s19, v8
	s_waitcnt lgkmcnt(0)
	v_cmp_gt_f32_e32 vcc, v10, v7
	v_cndmask_b32_e32 v6, v6, v9, vcc
	v_add_u32_e32 v9, s18, v9
	v_cndmask_b32_e32 v7, v7, v10, vcc
	v_cmp_le_i32_e32 vcc, s8, v9
	s_or_b64 s[16:17], vcc, s[16:17]
	s_andn2_b64 exec, exec, s[16:17]
	s_cbranch_execnz .LBB249_31
; %bb.32:                               ;   in Loop: Header=BB249_29 Depth=1
	s_or_b64 exec, exec, s[16:17]
	s_branch .LBB249_28
.LBB249_33:
	v_mov_b32_e32 v3, 0
                                        ; implicit-def: $vgpr4
                                        ; implicit-def: $vgpr2
.LBB249_34:
	v_cmp_gt_i32_e32 vcc, s9, v0
	s_and_saveexec_b64 s[0:1], vcc
	s_cbranch_execz .LBB249_37
; %bb.35:
	s_load_dword s7, s[4:5], 0x38
	s_load_dwordx2 s[0:1], s[4:5], 0x20
	s_load_dword s8, s[4:5], 0x4c
	s_waitcnt lgkmcnt(0)
	v_div_scale_f32 v1, s[2:3], v3, v3, s7
	v_rcp_f32_e32 v5, v1
	v_div_scale_f32 v6, vcc, s7, v3, s7
	s_ashr_i32 s2, s6, 31
	v_fma_f32 v7, -v1, v5, 1.0
	v_fmac_f32_e32 v5, v7, v5
	v_mul_f32_e32 v7, v6, v5
	v_fma_f32 v8, -v1, v7, v6
	v_fmac_f32_e32 v7, v8, v5
	v_fma_f32 v1, -v1, v7, v6
	s_mul_i32 s1, s6, s1
	s_mul_hi_u32 s3, s6, s0
	v_div_fmas_f32 v1, v1, v5, v7
	s_add_i32 s1, s3, s1
	s_mul_i32 s2, s2, s0
	v_div_fixup_f32 v1, v1, v3, s7
	s_add_i32 s4, s1, s2
	v_mul_f32_e32 v1, v1, v4
	s_mul_i32 s2, s6, s0
	s_and_b32 s3, s8, 0xffff
	s_mov_b64 s[0:1], 0
	v_mov_b32_e32 v3, s4
	v_mov_b32_e32 v4, s13
	;; [unrolled: 1-line block ×3, first 2 shown]
.LBB249_36:                             ; =>This Inner Loop Header: Depth=1
	v_ashrrev_i32_e32 v7, 31, v0
	v_add_co_u32_e32 v6, vcc, s2, v0
	v_addc_co_u32_e32 v7, vcc, v3, v7, vcc
	v_add_u32_e32 v0, s3, v0
	v_cmp_le_i32_e32 vcc, s9, v0
	v_lshlrev_b64 v[6:7], 2, v[6:7]
	s_or_b64 s[0:1], vcc, s[0:1]
	v_add_co_u32_e32 v8, vcc, s12, v6
	v_addc_co_u32_e32 v9, vcc, v4, v7, vcc
	v_add_co_u32_e32 v6, vcc, s14, v6
	v_addc_co_u32_e32 v7, vcc, v5, v7, vcc
	global_store_dword v[8:9], v1, off
	global_store_dword v[6:7], v2, off
	s_andn2_b64 exec, exec, s[0:1]
	s_cbranch_execnz .LBB249_36
.LBB249_37:
	s_endpgm
	.section	.rodata,"a",@progbits
	.p2align	6, 0x0
	.amdhsa_kernel _ZN5aiter19grouped_topk_kernelIN3c108BFloat16EDv1_fLi2ELb1ELb0ELb1EEEvPT_PKS4_PfPimiiiif
		.amdhsa_group_segment_fixed_size 0
		.amdhsa_private_segment_fixed_size 0
		.amdhsa_kernarg_size 320
		.amdhsa_user_sgpr_count 6
		.amdhsa_user_sgpr_private_segment_buffer 1
		.amdhsa_user_sgpr_dispatch_ptr 0
		.amdhsa_user_sgpr_queue_ptr 0
		.amdhsa_user_sgpr_kernarg_segment_ptr 1
		.amdhsa_user_sgpr_dispatch_id 0
		.amdhsa_user_sgpr_flat_scratch_init 0
		.amdhsa_user_sgpr_kernarg_preload_length 0
		.amdhsa_user_sgpr_kernarg_preload_offset 0
		.amdhsa_user_sgpr_private_segment_size 0
		.amdhsa_uses_dynamic_stack 0
		.amdhsa_system_sgpr_private_segment_wavefront_offset 0
		.amdhsa_system_sgpr_workgroup_id_x 1
		.amdhsa_system_sgpr_workgroup_id_y 0
		.amdhsa_system_sgpr_workgroup_id_z 0
		.amdhsa_system_sgpr_workgroup_info 0
		.amdhsa_system_vgpr_workitem_id 0
		.amdhsa_next_free_vgpr 12
		.amdhsa_next_free_sgpr 24
		.amdhsa_accum_offset 12
		.amdhsa_reserve_vcc 1
		.amdhsa_reserve_flat_scratch 0
		.amdhsa_float_round_mode_32 0
		.amdhsa_float_round_mode_16_64 0
		.amdhsa_float_denorm_mode_32 3
		.amdhsa_float_denorm_mode_16_64 3
		.amdhsa_dx10_clamp 1
		.amdhsa_ieee_mode 1
		.amdhsa_fp16_overflow 0
		.amdhsa_tg_split 0
		.amdhsa_exception_fp_ieee_invalid_op 0
		.amdhsa_exception_fp_denorm_src 0
		.amdhsa_exception_fp_ieee_div_zero 0
		.amdhsa_exception_fp_ieee_overflow 0
		.amdhsa_exception_fp_ieee_underflow 0
		.amdhsa_exception_fp_ieee_inexact 0
		.amdhsa_exception_int_div_zero 0
	.end_amdhsa_kernel
	.section	.text._ZN5aiter19grouped_topk_kernelIN3c108BFloat16EDv1_fLi2ELb1ELb0ELb1EEEvPT_PKS4_PfPimiiiif,"axG",@progbits,_ZN5aiter19grouped_topk_kernelIN3c108BFloat16EDv1_fLi2ELb1ELb0ELb1EEEvPT_PKS4_PfPimiiiif,comdat
.Lfunc_end249:
	.size	_ZN5aiter19grouped_topk_kernelIN3c108BFloat16EDv1_fLi2ELb1ELb0ELb1EEEvPT_PKS4_PfPimiiiif, .Lfunc_end249-_ZN5aiter19grouped_topk_kernelIN3c108BFloat16EDv1_fLi2ELb1ELb0ELb1EEEvPT_PKS4_PfPimiiiif
                                        ; -- End function
	.section	.AMDGPU.csdata,"",@progbits
; Kernel info:
; codeLenInByte = 2176
; NumSgprs: 28
; NumVgprs: 12
; NumAgprs: 0
; TotalNumVgprs: 12
; ScratchSize: 0
; MemoryBound: 0
; FloatMode: 240
; IeeeMode: 1
; LDSByteSize: 0 bytes/workgroup (compile time only)
; SGPRBlocks: 3
; VGPRBlocks: 1
; NumSGPRsForWavesPerEU: 28
; NumVGPRsForWavesPerEU: 12
; AccumOffset: 12
; Occupancy: 8
; WaveLimiterHint : 0
; COMPUTE_PGM_RSRC2:SCRATCH_EN: 0
; COMPUTE_PGM_RSRC2:USER_SGPR: 6
; COMPUTE_PGM_RSRC2:TRAP_HANDLER: 0
; COMPUTE_PGM_RSRC2:TGID_X_EN: 1
; COMPUTE_PGM_RSRC2:TGID_Y_EN: 0
; COMPUTE_PGM_RSRC2:TGID_Z_EN: 0
; COMPUTE_PGM_RSRC2:TIDIG_COMP_CNT: 0
; COMPUTE_PGM_RSRC3_GFX90A:ACCUM_OFFSET: 2
; COMPUTE_PGM_RSRC3_GFX90A:TG_SPLIT: 0
	.section	.text._ZN5aiter19grouped_topk_kernelIfDv1_fLi2ELb1ELb0ELb0EEEvPT_PKS2_PfPimiiiif,"axG",@progbits,_ZN5aiter19grouped_topk_kernelIfDv1_fLi2ELb1ELb0ELb0EEEvPT_PKS2_PfPimiiiif,comdat
	.protected	_ZN5aiter19grouped_topk_kernelIfDv1_fLi2ELb1ELb0ELb0EEEvPT_PKS2_PfPimiiiif ; -- Begin function _ZN5aiter19grouped_topk_kernelIfDv1_fLi2ELb1ELb0ELb0EEEvPT_PKS2_PfPimiiiif
	.globl	_ZN5aiter19grouped_topk_kernelIfDv1_fLi2ELb1ELb0ELb0EEEvPT_PKS2_PfPimiiiif
	.p2align	8
	.type	_ZN5aiter19grouped_topk_kernelIfDv1_fLi2ELb1ELb0ELb0EEEvPT_PKS2_PfPimiiiif,@function
_ZN5aiter19grouped_topk_kernelIfDv1_fLi2ELb1ELb0ELb0EEEvPT_PKS2_PfPimiiiif: ; @_ZN5aiter19grouped_topk_kernelIfDv1_fLi2ELb1ELb0ELb0EEEvPT_PKS2_PfPimiiiif
; %bb.0:
	s_load_dwordx4 s[8:11], s[4:5], 0x28
	s_load_dwordx4 s[12:15], s[4:5], 0x10
	v_lshl_add_u32 v1, v0, 2, 0
	s_waitcnt lgkmcnt(0)
	v_cmp_gt_i32_e64 s[0:1], s8, v0
	s_and_saveexec_b64 s[2:3], s[0:1]
	s_cbranch_execz .LBB250_3
; %bb.1:
	s_load_dwordx2 s[16:17], s[4:5], 0x0
	s_load_dword s11, s[4:5], 0x4c
	s_mul_i32 s18, s6, s8
	s_ashr_i32 s19, s18, 31
	s_lshl_b64 s[18:19], s[18:19], 2
	s_waitcnt lgkmcnt(0)
	s_add_u32 s7, s16, s18
	s_addc_u32 s19, s17, s19
	s_and_b32 s11, s11, 0xffff
	v_lshl_add_u32 v4, v0, 2, 0
	s_lshl_b32 s18, s11, 2
	s_mov_b64 s[16:17], 0
	v_mov_b32_e32 v5, s19
	s_mov_b32 s19, 0xbfb8aa3b
	s_mov_b32 s20, 0x42ce8ed0
	;; [unrolled: 1-line block ×3, first 2 shown]
	v_mov_b32_e32 v6, 0x7f800000
	v_mov_b32_e32 v2, v0
.LBB250_2:                              ; =>This Inner Loop Header: Depth=1
	v_ashrrev_i32_e32 v3, 31, v2
	v_lshlrev_b64 v[8:9], 2, v[2:3]
	v_add_co_u32_e32 v8, vcc, s7, v8
	v_addc_co_u32_e32 v9, vcc, v5, v9, vcc
	global_load_dword v3, v[8:9], off
	v_add_u32_e32 v2, s11, v2
	v_cmp_le_i32_e32 vcc, s8, v2
	s_or_b64 s[16:17], vcc, s[16:17]
	s_waitcnt vmcnt(0)
	v_mul_f32_e32 v7, 0xbfb8aa3b, v3
	v_fma_f32 v8, v3, s19, -v7
	v_rndne_f32_e32 v9, v7
	v_fmac_f32_e32 v8, 0xb2a5705f, v3
	v_sub_f32_e32 v7, v7, v9
	v_add_f32_e32 v7, v7, v8
	v_cvt_i32_f32_e32 v9, v9
	v_exp_f32_e32 v7, v7
	v_cmp_nlt_f32_e32 vcc, s20, v3
	v_ldexp_f32 v7, v7, v9
	v_cndmask_b32_e32 v7, 0, v7, vcc
	v_cmp_ngt_f32_e32 vcc, s21, v3
	v_cndmask_b32_e32 v3, v6, v7, vcc
	v_add_f32_e32 v3, 1.0, v3
	v_div_scale_f32 v7, s[22:23], v3, v3, 1.0
	v_rcp_f32_e32 v8, v7
	v_div_scale_f32 v9, vcc, 1.0, v3, 1.0
	v_fma_f32 v10, -v7, v8, 1.0
	v_fmac_f32_e32 v8, v10, v8
	v_mul_f32_e32 v10, v9, v8
	v_fma_f32 v11, -v7, v10, v9
	v_fmac_f32_e32 v10, v11, v8
	v_fma_f32 v7, -v7, v10, v9
	v_div_fmas_f32 v7, v7, v8, v10
	v_div_fixup_f32 v3, v7, v3, 1.0
	ds_write_b32 v4, v3
	v_add_u32_e32 v4, s18, v4
	s_andn2_b64 exec, exec, s[16:17]
	s_cbranch_execnz .LBB250_2
.LBB250_3:
	s_or_b64 exec, exec, s[2:3]
	s_lshr_b32 s2, s8, 31
	s_add_i32 s2, s8, s2
	s_ashr_i32 s11, s2, 1
	s_lshl_b32 s2, s8, 2
	s_add_i32 s7, s2, 0
	v_cmp_gt_u32_e32 vcc, 2, v0
	s_waitcnt lgkmcnt(0)
	s_barrier
	s_and_saveexec_b64 s[16:17], vcc
	s_cbranch_execz .LBB250_10
; %bb.4:
	s_load_dword s2, s[4:5], 0x4c
	v_mul_lo_u32 v2, v0, s11
	v_lshl_add_u32 v2, v2, 2, 0
	s_waitcnt lgkmcnt(0)
	s_and_b32 s22, s2, 0xffff
	s_cmp_gt_i32 s8, 1
	s_cselect_b64 s[2:3], -1, 0
	s_mul_i32 s18, s11, s22
	v_cndmask_b32_e64 v3, 0, 1, s[2:3]
	s_lshl_b32 s23, s18, 2
	s_mov_b64 s[18:19], 0
	v_cmp_ne_u32_e64 s[2:3], 1, v3
	v_mov_b32_e32 v3, v0
	s_branch .LBB250_6
.LBB250_5:                              ;   in Loop: Header=BB250_6 Depth=1
	v_lshl_add_u32 v5, v3, 2, s7
	v_add_u32_e32 v3, s22, v3
	v_cmp_lt_u32_e32 vcc, 1, v3
	s_or_b64 s[18:19], vcc, s[18:19]
	v_add_u32_e32 v2, s23, v2
	ds_write_b32 v5, v4
	s_andn2_b64 exec, exec, s[18:19]
	s_cbranch_execz .LBB250_10
.LBB250_6:                              ; =>This Loop Header: Depth=1
                                        ;     Child Loop BB250_8 Depth 2
	s_and_b64 vcc, exec, s[2:3]
	v_mov_b32_e32 v4, 0xff800000
	s_cbranch_vccnz .LBB250_5
; %bb.7:                                ;   in Loop: Header=BB250_6 Depth=1
	v_mul_lo_u32 v5, v3, s11
	v_add_u32_e32 v6, s11, v5
	s_mov_b64 s[20:21], 0
	v_mov_b32_e32 v4, 0xff800000
	v_mov_b32_e32 v7, v2
.LBB250_8:                              ;   Parent Loop BB250_6 Depth=1
                                        ; =>  This Inner Loop Header: Depth=2
	ds_read_b32 v8, v7
	v_add_u32_e32 v5, 1, v5
	v_cmp_ge_i32_e32 vcc, v5, v6
	s_or_b64 s[20:21], vcc, s[20:21]
	v_add_u32_e32 v7, 4, v7
	s_waitcnt lgkmcnt(0)
	v_cmp_gt_f32_e32 vcc, v8, v4
	v_cndmask_b32_e32 v4, v4, v8, vcc
	s_andn2_b64 exec, exec, s[20:21]
	s_cbranch_execnz .LBB250_8
; %bb.9:                                ;   in Loop: Header=BB250_6 Depth=1
	s_or_b64 exec, exec, s[20:21]
	s_branch .LBB250_5
.LBB250_10:
	s_or_b64 exec, exec, s[16:17]
	s_cmp_lt_i32 s10, 1
	s_waitcnt lgkmcnt(0)
	s_barrier
	s_cbranch_scc1 .LBB250_13
; %bb.11:
	v_mov_b32_e32 v2, s7
	s_mov_b32 s2, 0xff800000
	v_mov_b32_e32 v3, 0xff800000
.LBB250_12:                             ; =>This Inner Loop Header: Depth=1
	ds_read2_b32 v[4:5], v2 offset1:1
	s_add_i32 s10, s10, -1
	s_cmp_lg_u32 s10, 0
	s_waitcnt lgkmcnt(0)
	v_cmp_nlg_f32_e32 vcc, s2, v4
	v_cndmask_b32_e64 v6, 0, 1, vcc
	v_cmp_lg_f32_e32 vcc, s2, v4
	v_cndmask_b32_e32 v4, v3, v4, vcc
	v_lshlrev_b32_e32 v6, 1, v6
	v_cmp_ngt_f32_e32 vcc, v5, v4
	v_cndmask_b32_e32 v4, 1, v6, vcc
	v_lshlrev_b32_e32 v4, 2, v4
	v_add_u32_e32 v4, s7, v4
	ds_write_b32 v4, v3
	s_cbranch_scc1 .LBB250_12
.LBB250_13:
	s_and_saveexec_b64 s[2:3], s[0:1]
	s_cbranch_execz .LBB250_18
; %bb.14:
	s_abs_i32 s18, s11
	v_cvt_f32_u32_e32 v3, s18
	s_load_dword s16, s[4:5], 0x4c
	s_sub_i32 s17, 0, s18
	s_ashr_i32 s19, s11, 31
	v_rcp_iflag_f32_e32 v4, v3
	v_lshl_add_u32 v2, v0, 2, 0
	s_waitcnt lgkmcnt(0)
	s_and_b32 s21, s16, 0xffff
	s_mov_b64 s[10:11], 0
	v_mul_f32_e32 v4, 0x4f7ffffe, v4
	v_cvt_u32_f32_e32 v4, v4
	s_mov_b32 s20, 0xff800000
	v_mov_b32_e32 v3, 0xff800000
	s_lshl_b32 s22, s21, 2
	v_mul_lo_u32 v5, s17, v4
	v_mul_hi_u32 v5, v4, v5
	v_add_u32_e32 v4, v4, v5
	v_mov_b32_e32 v5, v0
	s_branch .LBB250_16
.LBB250_15:                             ;   in Loop: Header=BB250_16 Depth=1
	s_or_b64 exec, exec, s[16:17]
	v_add_u32_e32 v5, s21, v5
	v_cmp_le_i32_e32 vcc, s8, v5
	s_or_b64 s[10:11], vcc, s[10:11]
	v_add_u32_e32 v2, s22, v2
	s_andn2_b64 exec, exec, s[10:11]
	s_cbranch_execz .LBB250_18
.LBB250_16:                             ; =>This Inner Loop Header: Depth=1
	v_sub_u32_e32 v7, 0, v5
	v_max_i32_e32 v7, v5, v7
	v_mul_hi_u32 v8, v7, v4
	v_mul_lo_u32 v9, v8, s18
	v_sub_u32_e32 v7, v7, v9
	v_add_u32_e32 v9, 1, v8
	v_cmp_le_u32_e32 vcc, s18, v7
	v_cndmask_b32_e32 v8, v8, v9, vcc
	v_subrev_u32_e32 v9, s18, v7
	v_cndmask_b32_e32 v7, v7, v9, vcc
	v_ashrrev_i32_e32 v6, 31, v5
	v_add_u32_e32 v9, 1, v8
	v_cmp_le_u32_e32 vcc, s18, v7
	v_xor_b32_e32 v6, s19, v6
	v_cndmask_b32_e32 v7, v8, v9, vcc
	v_xor_b32_e32 v7, v7, v6
	v_sub_u32_e32 v6, v7, v6
	v_lshl_add_u32 v6, v6, 2, s7
	ds_read_b32 v6, v6
	s_waitcnt lgkmcnt(0)
	v_cmp_neq_f32_e32 vcc, s20, v6
	s_and_saveexec_b64 s[16:17], vcc
	s_cbranch_execz .LBB250_15
; %bb.17:                               ;   in Loop: Header=BB250_16 Depth=1
	ds_write_b32 v2, v3
	s_branch .LBB250_15
.LBB250_18:
	s_or_b64 exec, exec, s[2:3]
	s_cmp_lt_i32 s9, 1
	s_waitcnt lgkmcnt(0)
	s_barrier
	s_cbranch_scc1 .LBB250_25
; %bb.19:
	s_add_u32 s2, s4, 64
	s_addc_u32 s3, s5, 0
	s_mov_b32 s7, 0
	v_mov_b32_e32 v3, 0
	v_mov_b32_e32 v5, 0xff800000
                                        ; implicit-def: $vgpr4
                                        ; implicit-def: $vgpr2
	s_branch .LBB250_21
.LBB250_20:                             ;   in Loop: Header=BB250_21 Depth=1
	s_or_b64 exec, exec, s[10:11]
	v_mov_b32_dpp v9, v7 quad_perm:[1,0,3,2] row_mask:0xf bank_mask:0xf
	v_cmp_lt_f32_e32 vcc, v7, v9
	v_cndmask_b32_e32 v7, v7, v9, vcc
	v_mov_b32_dpp v8, v6 quad_perm:[1,0,3,2] row_mask:0xf bank_mask:0xf
	v_cndmask_b32_e32 v6, v6, v8, vcc
	v_mov_b32_dpp v9, v7 quad_perm:[2,3,0,1] row_mask:0xf bank_mask:0xf
	v_cmp_gt_f32_e32 vcc, v9, v7
	v_cndmask_b32_e32 v7, v7, v9, vcc
	v_mov_b32_dpp v8, v6 quad_perm:[2,3,0,1] row_mask:0xf bank_mask:0xf
	v_cndmask_b32_e32 v6, v6, v8, vcc
	v_mov_b32_dpp v9, v7 row_half_mirror row_mask:0xf bank_mask:0xf
	v_cmp_gt_f32_e32 vcc, v9, v7
	v_cndmask_b32_e32 v7, v7, v9, vcc
	v_mov_b32_dpp v8, v6 row_half_mirror row_mask:0xf bank_mask:0xf
	v_cndmask_b32_e32 v6, v6, v8, vcc
	v_mov_b32_dpp v9, v7 row_mirror row_mask:0xf bank_mask:0xf
	v_cmp_gt_f32_e32 vcc, v9, v7
	v_cndmask_b32_e32 v7, v7, v9, vcc
	v_mov_b32_dpp v8, v6 row_mirror row_mask:0xf bank_mask:0xf
	v_cndmask_b32_e32 v6, v6, v8, vcc
	v_mov_b32_dpp v9, v7 row_bcast:15 row_mask:0xf bank_mask:0xf
	v_cmp_gt_f32_e32 vcc, v9, v7
	v_mov_b32_dpp v8, v6 row_bcast:15 row_mask:0xf bank_mask:0xf
	v_cndmask_b32_e32 v7, v7, v9, vcc
	v_cndmask_b32_e32 v6, v6, v8, vcc
	s_nop 0
	v_mov_b32_dpp v9, v7 row_bcast:31 row_mask:0xf bank_mask:0xf
	v_mov_b32_dpp v8, v6 row_bcast:31 row_mask:0xf bank_mask:0xf
	v_cmp_gt_f32_e32 vcc, v9, v7
	v_cndmask_b32_e32 v6, v6, v8, vcc
	v_readlane_b32 s11, v6, 63
	s_lshl_b32 s16, s11, 2
	s_add_i32 s16, s16, 0
	v_cndmask_b32_e32 v7, v7, v9, vcc
	v_mov_b32_e32 v6, s16
	v_readlane_b32 s10, v7, 63
	ds_write_b32 v6, v5
	v_mov_b32_e32 v6, s11
	v_cmp_eq_u32_e32 vcc, s7, v0
	v_cndmask_b32_e32 v2, v2, v6, vcc
	v_mov_b32_e32 v6, s10
	s_add_i32 s7, s7, 1
	v_cndmask_b32_e32 v4, v4, v6, vcc
	s_cmp_eq_u32 s7, s9
	v_add_f32_e32 v3, s10, v3
	s_cbranch_scc1 .LBB250_26
.LBB250_21:                             ; =>This Loop Header: Depth=1
                                        ;     Child Loop BB250_23 Depth 2
	v_mov_b32_e32 v6, s7
	v_mov_b32_e32 v7, 0xff800000
	s_and_saveexec_b64 s[10:11], s[0:1]
	s_cbranch_execz .LBB250_20
; %bb.22:                               ;   in Loop: Header=BB250_21 Depth=1
	s_load_dword s18, s[2:3], 0xc
	s_mov_b64 s[16:17], 0
	v_mov_b32_e32 v6, s7
	v_mov_b32_e32 v7, 0xff800000
	;; [unrolled: 1-line block ×3, first 2 shown]
	s_waitcnt lgkmcnt(0)
	s_and_b32 s18, s18, 0xffff
	s_lshl_b32 s19, s18, 2
	v_mov_b32_e32 v9, v0
.LBB250_23:                             ;   Parent Loop BB250_21 Depth=1
                                        ; =>  This Inner Loop Header: Depth=2
	ds_read_b32 v10, v8
	v_add_u32_e32 v8, s19, v8
	s_waitcnt lgkmcnt(0)
	v_cmp_gt_f32_e32 vcc, v10, v7
	v_cndmask_b32_e32 v6, v6, v9, vcc
	v_add_u32_e32 v9, s18, v9
	v_cndmask_b32_e32 v7, v7, v10, vcc
	v_cmp_le_i32_e32 vcc, s8, v9
	s_or_b64 s[16:17], vcc, s[16:17]
	s_andn2_b64 exec, exec, s[16:17]
	s_cbranch_execnz .LBB250_23
; %bb.24:                               ;   in Loop: Header=BB250_21 Depth=1
	s_or_b64 exec, exec, s[16:17]
	s_branch .LBB250_20
.LBB250_25:
	v_mov_b32_e32 v3, 0
                                        ; implicit-def: $vgpr4
                                        ; implicit-def: $vgpr2
.LBB250_26:
	v_cmp_gt_i32_e32 vcc, s9, v0
	s_and_saveexec_b64 s[0:1], vcc
	s_cbranch_execz .LBB250_29
; %bb.27:
	s_load_dword s7, s[4:5], 0x38
	s_load_dwordx2 s[0:1], s[4:5], 0x20
	s_load_dword s8, s[4:5], 0x4c
	s_waitcnt lgkmcnt(0)
	v_div_scale_f32 v1, s[2:3], v3, v3, s7
	v_rcp_f32_e32 v5, v1
	v_div_scale_f32 v6, vcc, s7, v3, s7
	s_ashr_i32 s2, s6, 31
	v_fma_f32 v7, -v1, v5, 1.0
	v_fmac_f32_e32 v5, v7, v5
	v_mul_f32_e32 v7, v6, v5
	v_fma_f32 v8, -v1, v7, v6
	v_fmac_f32_e32 v7, v8, v5
	v_fma_f32 v1, -v1, v7, v6
	s_mul_i32 s1, s6, s1
	s_mul_hi_u32 s3, s6, s0
	v_div_fmas_f32 v1, v1, v5, v7
	s_add_i32 s1, s3, s1
	s_mul_i32 s2, s2, s0
	v_div_fixup_f32 v1, v1, v3, s7
	s_add_i32 s4, s1, s2
	v_mul_f32_e32 v1, v1, v4
	s_mul_i32 s2, s6, s0
	s_and_b32 s3, s8, 0xffff
	s_mov_b64 s[0:1], 0
	v_mov_b32_e32 v3, s4
	v_mov_b32_e32 v4, s13
	;; [unrolled: 1-line block ×3, first 2 shown]
.LBB250_28:                             ; =>This Inner Loop Header: Depth=1
	v_ashrrev_i32_e32 v7, 31, v0
	v_add_co_u32_e32 v6, vcc, s2, v0
	v_addc_co_u32_e32 v7, vcc, v3, v7, vcc
	v_add_u32_e32 v0, s3, v0
	v_cmp_le_i32_e32 vcc, s9, v0
	v_lshlrev_b64 v[6:7], 2, v[6:7]
	s_or_b64 s[0:1], vcc, s[0:1]
	v_add_co_u32_e32 v8, vcc, s12, v6
	v_addc_co_u32_e32 v9, vcc, v4, v7, vcc
	v_add_co_u32_e32 v6, vcc, s14, v6
	v_addc_co_u32_e32 v7, vcc, v5, v7, vcc
	global_store_dword v[8:9], v1, off
	global_store_dword v[6:7], v2, off
	s_andn2_b64 exec, exec, s[0:1]
	s_cbranch_execnz .LBB250_28
.LBB250_29:
	s_endpgm
	.section	.rodata,"a",@progbits
	.p2align	6, 0x0
	.amdhsa_kernel _ZN5aiter19grouped_topk_kernelIfDv1_fLi2ELb1ELb0ELb0EEEvPT_PKS2_PfPimiiiif
		.amdhsa_group_segment_fixed_size 0
		.amdhsa_private_segment_fixed_size 0
		.amdhsa_kernarg_size 320
		.amdhsa_user_sgpr_count 6
		.amdhsa_user_sgpr_private_segment_buffer 1
		.amdhsa_user_sgpr_dispatch_ptr 0
		.amdhsa_user_sgpr_queue_ptr 0
		.amdhsa_user_sgpr_kernarg_segment_ptr 1
		.amdhsa_user_sgpr_dispatch_id 0
		.amdhsa_user_sgpr_flat_scratch_init 0
		.amdhsa_user_sgpr_kernarg_preload_length 0
		.amdhsa_user_sgpr_kernarg_preload_offset 0
		.amdhsa_user_sgpr_private_segment_size 0
		.amdhsa_uses_dynamic_stack 0
		.amdhsa_system_sgpr_private_segment_wavefront_offset 0
		.amdhsa_system_sgpr_workgroup_id_x 1
		.amdhsa_system_sgpr_workgroup_id_y 0
		.amdhsa_system_sgpr_workgroup_id_z 0
		.amdhsa_system_sgpr_workgroup_info 0
		.amdhsa_system_vgpr_workitem_id 0
		.amdhsa_next_free_vgpr 12
		.amdhsa_next_free_sgpr 24
		.amdhsa_accum_offset 12
		.amdhsa_reserve_vcc 1
		.amdhsa_reserve_flat_scratch 0
		.amdhsa_float_round_mode_32 0
		.amdhsa_float_round_mode_16_64 0
		.amdhsa_float_denorm_mode_32 3
		.amdhsa_float_denorm_mode_16_64 3
		.amdhsa_dx10_clamp 1
		.amdhsa_ieee_mode 1
		.amdhsa_fp16_overflow 0
		.amdhsa_tg_split 0
		.amdhsa_exception_fp_ieee_invalid_op 0
		.amdhsa_exception_fp_denorm_src 0
		.amdhsa_exception_fp_ieee_div_zero 0
		.amdhsa_exception_fp_ieee_overflow 0
		.amdhsa_exception_fp_ieee_underflow 0
		.amdhsa_exception_fp_ieee_inexact 0
		.amdhsa_exception_int_div_zero 0
	.end_amdhsa_kernel
	.section	.text._ZN5aiter19grouped_topk_kernelIfDv1_fLi2ELb1ELb0ELb0EEEvPT_PKS2_PfPimiiiif,"axG",@progbits,_ZN5aiter19grouped_topk_kernelIfDv1_fLi2ELb1ELb0ELb0EEEvPT_PKS2_PfPimiiiif,comdat
.Lfunc_end250:
	.size	_ZN5aiter19grouped_topk_kernelIfDv1_fLi2ELb1ELb0ELb0EEEvPT_PKS2_PfPimiiiif, .Lfunc_end250-_ZN5aiter19grouped_topk_kernelIfDv1_fLi2ELb1ELb0ELb0EEEvPT_PKS2_PfPimiiiif
                                        ; -- End function
	.section	.AMDGPU.csdata,"",@progbits
; Kernel info:
; codeLenInByte = 1664
; NumSgprs: 28
; NumVgprs: 12
; NumAgprs: 0
; TotalNumVgprs: 12
; ScratchSize: 0
; MemoryBound: 0
; FloatMode: 240
; IeeeMode: 1
; LDSByteSize: 0 bytes/workgroup (compile time only)
; SGPRBlocks: 3
; VGPRBlocks: 1
; NumSGPRsForWavesPerEU: 28
; NumVGPRsForWavesPerEU: 12
; AccumOffset: 12
; Occupancy: 8
; WaveLimiterHint : 0
; COMPUTE_PGM_RSRC2:SCRATCH_EN: 0
; COMPUTE_PGM_RSRC2:USER_SGPR: 6
; COMPUTE_PGM_RSRC2:TRAP_HANDLER: 0
; COMPUTE_PGM_RSRC2:TGID_X_EN: 1
; COMPUTE_PGM_RSRC2:TGID_Y_EN: 0
; COMPUTE_PGM_RSRC2:TGID_Z_EN: 0
; COMPUTE_PGM_RSRC2:TIDIG_COMP_CNT: 0
; COMPUTE_PGM_RSRC3_GFX90A:ACCUM_OFFSET: 2
; COMPUTE_PGM_RSRC3_GFX90A:TG_SPLIT: 0
	.section	.text._ZN5aiter19grouped_topk_kernelIN3c104HalfEDv1_fLi2ELb1ELb0ELb0EEEvPT_PKS4_PfPimiiiif,"axG",@progbits,_ZN5aiter19grouped_topk_kernelIN3c104HalfEDv1_fLi2ELb1ELb0ELb0EEEvPT_PKS4_PfPimiiiif,comdat
	.protected	_ZN5aiter19grouped_topk_kernelIN3c104HalfEDv1_fLi2ELb1ELb0ELb0EEEvPT_PKS4_PfPimiiiif ; -- Begin function _ZN5aiter19grouped_topk_kernelIN3c104HalfEDv1_fLi2ELb1ELb0ELb0EEEvPT_PKS4_PfPimiiiif
	.globl	_ZN5aiter19grouped_topk_kernelIN3c104HalfEDv1_fLi2ELb1ELb0ELb0EEEvPT_PKS4_PfPimiiiif
	.p2align	8
	.type	_ZN5aiter19grouped_topk_kernelIN3c104HalfEDv1_fLi2ELb1ELb0ELb0EEEvPT_PKS4_PfPimiiiif,@function
_ZN5aiter19grouped_topk_kernelIN3c104HalfEDv1_fLi2ELb1ELb0ELb0EEEvPT_PKS4_PfPimiiiif: ; @_ZN5aiter19grouped_topk_kernelIN3c104HalfEDv1_fLi2ELb1ELb0ELb0EEEvPT_PKS4_PfPimiiiif
; %bb.0:
	s_load_dwordx4 s[8:11], s[4:5], 0x28
	s_load_dwordx4 s[12:15], s[4:5], 0x10
	v_lshl_add_u32 v1, v0, 2, 0
	s_waitcnt lgkmcnt(0)
	v_cmp_gt_i32_e64 s[0:1], s8, v0
	s_and_saveexec_b64 s[2:3], s[0:1]
	s_cbranch_execz .LBB251_3
; %bb.1:
	s_load_dwordx2 s[16:17], s[4:5], 0x0
	s_load_dword s11, s[4:5], 0x4c
	s_mul_i32 s18, s6, s8
	s_ashr_i32 s19, s18, 31
	s_lshl_b64 s[18:19], s[18:19], 1
	s_waitcnt lgkmcnt(0)
	s_add_u32 s7, s16, s18
	s_addc_u32 s19, s17, s19
	s_and_b32 s11, s11, 0xffff
	v_lshl_add_u32 v4, v0, 2, 0
	s_lshl_b32 s18, s11, 2
	s_mov_b64 s[16:17], 0
	v_mov_b32_e32 v5, s19
	s_mov_b32 s19, 0x3fb8aa3b
	s_mov_b32 s20, 0x32a5705f
	;; [unrolled: 1-line block ×4, first 2 shown]
	v_mov_b32_e32 v6, 0x7f800000
	v_mov_b32_e32 v2, v0
.LBB251_2:                              ; =>This Inner Loop Header: Depth=1
	v_ashrrev_i32_e32 v3, 31, v2
	v_lshlrev_b64 v[8:9], 1, v[2:3]
	v_add_co_u32_e32 v8, vcc, s7, v8
	v_addc_co_u32_e32 v9, vcc, v5, v9, vcc
	global_load_ushort v3, v[8:9], off
	v_add_u32_e32 v2, s11, v2
	v_cmp_le_i32_e32 vcc, s8, v2
	s_or_b64 s[16:17], vcc, s[16:17]
	s_waitcnt vmcnt(0)
	v_cvt_f32_f16_e64 v7, -v3
	v_mul_f32_e32 v8, 0x3fb8aa3b, v7
	v_fma_mix_f32 v9, -v3, s19, -v8 op_sel_hi:[1,0,0]
	v_rndne_f32_e32 v10, v8
	v_fma_mix_f32 v3, -v3, s20, v9 op_sel_hi:[1,0,0]
	v_sub_f32_e32 v8, v8, v10
	v_add_f32_e32 v3, v8, v3
	v_cvt_i32_f32_e32 v9, v10
	v_exp_f32_e32 v3, v3
	v_cmp_ngt_f32_e32 vcc, s21, v7
	v_ldexp_f32 v3, v3, v9
	v_cndmask_b32_e32 v3, 0, v3, vcc
	v_cmp_nlt_f32_e32 vcc, s22, v7
	v_cndmask_b32_e32 v3, v6, v3, vcc
	v_add_f32_e32 v3, 1.0, v3
	v_div_scale_f32 v7, s[24:25], v3, v3, 1.0
	v_rcp_f32_e32 v8, v7
	v_div_scale_f32 v9, vcc, 1.0, v3, 1.0
	v_fma_f32 v10, -v7, v8, 1.0
	v_fmac_f32_e32 v8, v10, v8
	v_mul_f32_e32 v10, v9, v8
	v_fma_f32 v11, -v7, v10, v9
	v_fmac_f32_e32 v10, v11, v8
	v_fma_f32 v7, -v7, v10, v9
	v_div_fmas_f32 v7, v7, v8, v10
	v_div_fixup_f32 v3, v7, v3, 1.0
	ds_write_b32 v4, v3
	v_add_u32_e32 v4, s18, v4
	s_andn2_b64 exec, exec, s[16:17]
	s_cbranch_execnz .LBB251_2
.LBB251_3:
	s_or_b64 exec, exec, s[2:3]
	s_lshr_b32 s2, s8, 31
	s_add_i32 s2, s8, s2
	s_ashr_i32 s11, s2, 1
	s_lshl_b32 s2, s8, 2
	s_add_i32 s7, s2, 0
	v_cmp_gt_u32_e32 vcc, 2, v0
	s_waitcnt lgkmcnt(0)
	s_barrier
	s_and_saveexec_b64 s[16:17], vcc
	s_cbranch_execz .LBB251_10
; %bb.4:
	s_load_dword s2, s[4:5], 0x4c
	v_mul_lo_u32 v2, v0, s11
	v_lshl_add_u32 v2, v2, 2, 0
	s_waitcnt lgkmcnt(0)
	s_and_b32 s22, s2, 0xffff
	s_cmp_gt_i32 s8, 1
	s_cselect_b64 s[2:3], -1, 0
	s_mul_i32 s18, s11, s22
	v_cndmask_b32_e64 v3, 0, 1, s[2:3]
	s_lshl_b32 s23, s18, 2
	s_mov_b64 s[18:19], 0
	v_cmp_ne_u32_e64 s[2:3], 1, v3
	v_mov_b32_e32 v3, v0
	s_branch .LBB251_6
.LBB251_5:                              ;   in Loop: Header=BB251_6 Depth=1
	v_lshl_add_u32 v5, v3, 2, s7
	v_add_u32_e32 v3, s22, v3
	v_cmp_lt_u32_e32 vcc, 1, v3
	s_or_b64 s[18:19], vcc, s[18:19]
	v_add_u32_e32 v2, s23, v2
	ds_write_b32 v5, v4
	s_andn2_b64 exec, exec, s[18:19]
	s_cbranch_execz .LBB251_10
.LBB251_6:                              ; =>This Loop Header: Depth=1
                                        ;     Child Loop BB251_8 Depth 2
	s_and_b64 vcc, exec, s[2:3]
	v_mov_b32_e32 v4, 0xff800000
	s_cbranch_vccnz .LBB251_5
; %bb.7:                                ;   in Loop: Header=BB251_6 Depth=1
	v_mul_lo_u32 v5, v3, s11
	v_add_u32_e32 v6, s11, v5
	s_mov_b64 s[20:21], 0
	v_mov_b32_e32 v4, 0xff800000
	v_mov_b32_e32 v7, v2
.LBB251_8:                              ;   Parent Loop BB251_6 Depth=1
                                        ; =>  This Inner Loop Header: Depth=2
	ds_read_b32 v8, v7
	v_add_u32_e32 v5, 1, v5
	v_cmp_ge_i32_e32 vcc, v5, v6
	s_or_b64 s[20:21], vcc, s[20:21]
	v_add_u32_e32 v7, 4, v7
	s_waitcnt lgkmcnt(0)
	v_cmp_gt_f32_e32 vcc, v8, v4
	v_cndmask_b32_e32 v4, v4, v8, vcc
	s_andn2_b64 exec, exec, s[20:21]
	s_cbranch_execnz .LBB251_8
; %bb.9:                                ;   in Loop: Header=BB251_6 Depth=1
	s_or_b64 exec, exec, s[20:21]
	s_branch .LBB251_5
.LBB251_10:
	s_or_b64 exec, exec, s[16:17]
	s_cmp_lt_i32 s10, 1
	s_waitcnt lgkmcnt(0)
	s_barrier
	s_cbranch_scc1 .LBB251_13
; %bb.11:
	v_mov_b32_e32 v2, s7
	s_mov_b32 s2, 0xff800000
	v_mov_b32_e32 v3, 0xff800000
.LBB251_12:                             ; =>This Inner Loop Header: Depth=1
	ds_read2_b32 v[4:5], v2 offset1:1
	s_add_i32 s10, s10, -1
	s_cmp_lg_u32 s10, 0
	s_waitcnt lgkmcnt(0)
	v_cmp_nlg_f32_e32 vcc, s2, v4
	v_cndmask_b32_e64 v6, 0, 1, vcc
	v_cmp_lg_f32_e32 vcc, s2, v4
	v_cndmask_b32_e32 v4, v3, v4, vcc
	v_lshlrev_b32_e32 v6, 1, v6
	v_cmp_ngt_f32_e32 vcc, v5, v4
	v_cndmask_b32_e32 v4, 1, v6, vcc
	v_lshlrev_b32_e32 v4, 2, v4
	v_add_u32_e32 v4, s7, v4
	ds_write_b32 v4, v3
	s_cbranch_scc1 .LBB251_12
.LBB251_13:
	s_and_saveexec_b64 s[2:3], s[0:1]
	s_cbranch_execz .LBB251_18
; %bb.14:
	s_abs_i32 s18, s11
	v_cvt_f32_u32_e32 v3, s18
	s_load_dword s16, s[4:5], 0x4c
	s_sub_i32 s17, 0, s18
	s_ashr_i32 s19, s11, 31
	v_rcp_iflag_f32_e32 v4, v3
	v_lshl_add_u32 v2, v0, 2, 0
	s_waitcnt lgkmcnt(0)
	s_and_b32 s21, s16, 0xffff
	s_mov_b64 s[10:11], 0
	v_mul_f32_e32 v4, 0x4f7ffffe, v4
	v_cvt_u32_f32_e32 v4, v4
	s_mov_b32 s20, 0xff800000
	v_mov_b32_e32 v3, 0xff800000
	s_lshl_b32 s22, s21, 2
	v_mul_lo_u32 v5, s17, v4
	v_mul_hi_u32 v5, v4, v5
	v_add_u32_e32 v4, v4, v5
	v_mov_b32_e32 v5, v0
	s_branch .LBB251_16
.LBB251_15:                             ;   in Loop: Header=BB251_16 Depth=1
	s_or_b64 exec, exec, s[16:17]
	v_add_u32_e32 v5, s21, v5
	v_cmp_le_i32_e32 vcc, s8, v5
	s_or_b64 s[10:11], vcc, s[10:11]
	v_add_u32_e32 v2, s22, v2
	s_andn2_b64 exec, exec, s[10:11]
	s_cbranch_execz .LBB251_18
.LBB251_16:                             ; =>This Inner Loop Header: Depth=1
	v_sub_u32_e32 v7, 0, v5
	v_max_i32_e32 v7, v5, v7
	v_mul_hi_u32 v8, v7, v4
	v_mul_lo_u32 v9, v8, s18
	v_sub_u32_e32 v7, v7, v9
	v_add_u32_e32 v9, 1, v8
	v_cmp_le_u32_e32 vcc, s18, v7
	v_cndmask_b32_e32 v8, v8, v9, vcc
	v_subrev_u32_e32 v9, s18, v7
	v_cndmask_b32_e32 v7, v7, v9, vcc
	v_ashrrev_i32_e32 v6, 31, v5
	v_add_u32_e32 v9, 1, v8
	v_cmp_le_u32_e32 vcc, s18, v7
	v_xor_b32_e32 v6, s19, v6
	v_cndmask_b32_e32 v7, v8, v9, vcc
	v_xor_b32_e32 v7, v7, v6
	v_sub_u32_e32 v6, v7, v6
	v_lshl_add_u32 v6, v6, 2, s7
	ds_read_b32 v6, v6
	s_waitcnt lgkmcnt(0)
	v_cmp_neq_f32_e32 vcc, s20, v6
	s_and_saveexec_b64 s[16:17], vcc
	s_cbranch_execz .LBB251_15
; %bb.17:                               ;   in Loop: Header=BB251_16 Depth=1
	ds_write_b32 v2, v3
	s_branch .LBB251_15
.LBB251_18:
	s_or_b64 exec, exec, s[2:3]
	s_cmp_lt_i32 s9, 1
	s_waitcnt lgkmcnt(0)
	s_barrier
	s_cbranch_scc1 .LBB251_25
; %bb.19:
	s_add_u32 s2, s4, 64
	s_addc_u32 s3, s5, 0
	s_mov_b32 s7, 0
	v_mov_b32_e32 v3, 0
	v_mov_b32_e32 v5, 0xff800000
                                        ; implicit-def: $vgpr4
                                        ; implicit-def: $vgpr2
	s_branch .LBB251_21
.LBB251_20:                             ;   in Loop: Header=BB251_21 Depth=1
	s_or_b64 exec, exec, s[10:11]
	v_mov_b32_dpp v9, v7 quad_perm:[1,0,3,2] row_mask:0xf bank_mask:0xf
	v_cmp_lt_f32_e32 vcc, v7, v9
	v_cndmask_b32_e32 v7, v7, v9, vcc
	v_mov_b32_dpp v8, v6 quad_perm:[1,0,3,2] row_mask:0xf bank_mask:0xf
	v_cndmask_b32_e32 v6, v6, v8, vcc
	v_mov_b32_dpp v9, v7 quad_perm:[2,3,0,1] row_mask:0xf bank_mask:0xf
	v_cmp_gt_f32_e32 vcc, v9, v7
	v_cndmask_b32_e32 v7, v7, v9, vcc
	v_mov_b32_dpp v8, v6 quad_perm:[2,3,0,1] row_mask:0xf bank_mask:0xf
	v_cndmask_b32_e32 v6, v6, v8, vcc
	v_mov_b32_dpp v9, v7 row_half_mirror row_mask:0xf bank_mask:0xf
	v_cmp_gt_f32_e32 vcc, v9, v7
	v_cndmask_b32_e32 v7, v7, v9, vcc
	v_mov_b32_dpp v8, v6 row_half_mirror row_mask:0xf bank_mask:0xf
	v_cndmask_b32_e32 v6, v6, v8, vcc
	v_mov_b32_dpp v9, v7 row_mirror row_mask:0xf bank_mask:0xf
	v_cmp_gt_f32_e32 vcc, v9, v7
	v_cndmask_b32_e32 v7, v7, v9, vcc
	v_mov_b32_dpp v8, v6 row_mirror row_mask:0xf bank_mask:0xf
	v_cndmask_b32_e32 v6, v6, v8, vcc
	v_mov_b32_dpp v9, v7 row_bcast:15 row_mask:0xf bank_mask:0xf
	v_cmp_gt_f32_e32 vcc, v9, v7
	v_mov_b32_dpp v8, v6 row_bcast:15 row_mask:0xf bank_mask:0xf
	v_cndmask_b32_e32 v7, v7, v9, vcc
	v_cndmask_b32_e32 v6, v6, v8, vcc
	s_nop 0
	v_mov_b32_dpp v9, v7 row_bcast:31 row_mask:0xf bank_mask:0xf
	v_mov_b32_dpp v8, v6 row_bcast:31 row_mask:0xf bank_mask:0xf
	v_cmp_gt_f32_e32 vcc, v9, v7
	v_cndmask_b32_e32 v6, v6, v8, vcc
	v_readlane_b32 s11, v6, 63
	s_lshl_b32 s16, s11, 2
	s_add_i32 s16, s16, 0
	v_cndmask_b32_e32 v7, v7, v9, vcc
	v_mov_b32_e32 v6, s16
	v_readlane_b32 s10, v7, 63
	ds_write_b32 v6, v5
	v_mov_b32_e32 v6, s11
	v_cmp_eq_u32_e32 vcc, s7, v0
	v_cndmask_b32_e32 v2, v2, v6, vcc
	v_mov_b32_e32 v6, s10
	s_add_i32 s7, s7, 1
	v_cndmask_b32_e32 v4, v4, v6, vcc
	s_cmp_eq_u32 s7, s9
	v_add_f32_e32 v3, s10, v3
	s_cbranch_scc1 .LBB251_26
.LBB251_21:                             ; =>This Loop Header: Depth=1
                                        ;     Child Loop BB251_23 Depth 2
	v_mov_b32_e32 v6, s7
	v_mov_b32_e32 v7, 0xff800000
	s_and_saveexec_b64 s[10:11], s[0:1]
	s_cbranch_execz .LBB251_20
; %bb.22:                               ;   in Loop: Header=BB251_21 Depth=1
	s_load_dword s18, s[2:3], 0xc
	s_mov_b64 s[16:17], 0
	v_mov_b32_e32 v6, s7
	v_mov_b32_e32 v7, 0xff800000
	;; [unrolled: 1-line block ×3, first 2 shown]
	s_waitcnt lgkmcnt(0)
	s_and_b32 s18, s18, 0xffff
	s_lshl_b32 s19, s18, 2
	v_mov_b32_e32 v9, v0
.LBB251_23:                             ;   Parent Loop BB251_21 Depth=1
                                        ; =>  This Inner Loop Header: Depth=2
	ds_read_b32 v10, v8
	v_add_u32_e32 v8, s19, v8
	s_waitcnt lgkmcnt(0)
	v_cmp_gt_f32_e32 vcc, v10, v7
	v_cndmask_b32_e32 v6, v6, v9, vcc
	v_add_u32_e32 v9, s18, v9
	v_cndmask_b32_e32 v7, v7, v10, vcc
	v_cmp_le_i32_e32 vcc, s8, v9
	s_or_b64 s[16:17], vcc, s[16:17]
	s_andn2_b64 exec, exec, s[16:17]
	s_cbranch_execnz .LBB251_23
; %bb.24:                               ;   in Loop: Header=BB251_21 Depth=1
	s_or_b64 exec, exec, s[16:17]
	s_branch .LBB251_20
.LBB251_25:
	v_mov_b32_e32 v3, 0
                                        ; implicit-def: $vgpr4
                                        ; implicit-def: $vgpr2
.LBB251_26:
	v_cmp_gt_i32_e32 vcc, s9, v0
	s_and_saveexec_b64 s[0:1], vcc
	s_cbranch_execz .LBB251_29
; %bb.27:
	s_load_dword s7, s[4:5], 0x38
	s_load_dwordx2 s[0:1], s[4:5], 0x20
	s_load_dword s8, s[4:5], 0x4c
	s_waitcnt lgkmcnt(0)
	v_div_scale_f32 v1, s[2:3], v3, v3, s7
	v_rcp_f32_e32 v5, v1
	v_div_scale_f32 v6, vcc, s7, v3, s7
	s_ashr_i32 s2, s6, 31
	v_fma_f32 v7, -v1, v5, 1.0
	v_fmac_f32_e32 v5, v7, v5
	v_mul_f32_e32 v7, v6, v5
	v_fma_f32 v8, -v1, v7, v6
	v_fmac_f32_e32 v7, v8, v5
	v_fma_f32 v1, -v1, v7, v6
	s_mul_i32 s1, s6, s1
	s_mul_hi_u32 s3, s6, s0
	v_div_fmas_f32 v1, v1, v5, v7
	s_add_i32 s1, s3, s1
	s_mul_i32 s2, s2, s0
	v_div_fixup_f32 v1, v1, v3, s7
	s_add_i32 s4, s1, s2
	v_mul_f32_e32 v1, v1, v4
	s_mul_i32 s2, s6, s0
	s_and_b32 s3, s8, 0xffff
	s_mov_b64 s[0:1], 0
	v_mov_b32_e32 v3, s4
	v_mov_b32_e32 v4, s13
	;; [unrolled: 1-line block ×3, first 2 shown]
.LBB251_28:                             ; =>This Inner Loop Header: Depth=1
	v_ashrrev_i32_e32 v7, 31, v0
	v_add_co_u32_e32 v6, vcc, s2, v0
	v_addc_co_u32_e32 v7, vcc, v3, v7, vcc
	v_add_u32_e32 v0, s3, v0
	v_cmp_le_i32_e32 vcc, s9, v0
	v_lshlrev_b64 v[6:7], 2, v[6:7]
	s_or_b64 s[0:1], vcc, s[0:1]
	v_add_co_u32_e32 v8, vcc, s12, v6
	v_addc_co_u32_e32 v9, vcc, v4, v7, vcc
	v_add_co_u32_e32 v6, vcc, s14, v6
	v_addc_co_u32_e32 v7, vcc, v5, v7, vcc
	global_store_dword v[8:9], v1, off
	global_store_dword v[6:7], v2, off
	s_andn2_b64 exec, exec, s[0:1]
	s_cbranch_execnz .LBB251_28
.LBB251_29:
	s_endpgm
	.section	.rodata,"a",@progbits
	.p2align	6, 0x0
	.amdhsa_kernel _ZN5aiter19grouped_topk_kernelIN3c104HalfEDv1_fLi2ELb1ELb0ELb0EEEvPT_PKS4_PfPimiiiif
		.amdhsa_group_segment_fixed_size 0
		.amdhsa_private_segment_fixed_size 0
		.amdhsa_kernarg_size 320
		.amdhsa_user_sgpr_count 6
		.amdhsa_user_sgpr_private_segment_buffer 1
		.amdhsa_user_sgpr_dispatch_ptr 0
		.amdhsa_user_sgpr_queue_ptr 0
		.amdhsa_user_sgpr_kernarg_segment_ptr 1
		.amdhsa_user_sgpr_dispatch_id 0
		.amdhsa_user_sgpr_flat_scratch_init 0
		.amdhsa_user_sgpr_kernarg_preload_length 0
		.amdhsa_user_sgpr_kernarg_preload_offset 0
		.amdhsa_user_sgpr_private_segment_size 0
		.amdhsa_uses_dynamic_stack 0
		.amdhsa_system_sgpr_private_segment_wavefront_offset 0
		.amdhsa_system_sgpr_workgroup_id_x 1
		.amdhsa_system_sgpr_workgroup_id_y 0
		.amdhsa_system_sgpr_workgroup_id_z 0
		.amdhsa_system_sgpr_workgroup_info 0
		.amdhsa_system_vgpr_workitem_id 0
		.amdhsa_next_free_vgpr 12
		.amdhsa_next_free_sgpr 26
		.amdhsa_accum_offset 12
		.amdhsa_reserve_vcc 1
		.amdhsa_reserve_flat_scratch 0
		.amdhsa_float_round_mode_32 0
		.amdhsa_float_round_mode_16_64 0
		.amdhsa_float_denorm_mode_32 3
		.amdhsa_float_denorm_mode_16_64 3
		.amdhsa_dx10_clamp 1
		.amdhsa_ieee_mode 1
		.amdhsa_fp16_overflow 0
		.amdhsa_tg_split 0
		.amdhsa_exception_fp_ieee_invalid_op 0
		.amdhsa_exception_fp_denorm_src 0
		.amdhsa_exception_fp_ieee_div_zero 0
		.amdhsa_exception_fp_ieee_overflow 0
		.amdhsa_exception_fp_ieee_underflow 0
		.amdhsa_exception_fp_ieee_inexact 0
		.amdhsa_exception_int_div_zero 0
	.end_amdhsa_kernel
	.section	.text._ZN5aiter19grouped_topk_kernelIN3c104HalfEDv1_fLi2ELb1ELb0ELb0EEEvPT_PKS4_PfPimiiiif,"axG",@progbits,_ZN5aiter19grouped_topk_kernelIN3c104HalfEDv1_fLi2ELb1ELb0ELb0EEEvPT_PKS4_PfPimiiiif,comdat
.Lfunc_end251:
	.size	_ZN5aiter19grouped_topk_kernelIN3c104HalfEDv1_fLi2ELb1ELb0ELb0EEEvPT_PKS4_PfPimiiiif, .Lfunc_end251-_ZN5aiter19grouped_topk_kernelIN3c104HalfEDv1_fLi2ELb1ELb0ELb0EEEvPT_PKS4_PfPimiiiif
                                        ; -- End function
	.section	.AMDGPU.csdata,"",@progbits
; Kernel info:
; codeLenInByte = 1680
; NumSgprs: 30
; NumVgprs: 12
; NumAgprs: 0
; TotalNumVgprs: 12
; ScratchSize: 0
; MemoryBound: 0
; FloatMode: 240
; IeeeMode: 1
; LDSByteSize: 0 bytes/workgroup (compile time only)
; SGPRBlocks: 3
; VGPRBlocks: 1
; NumSGPRsForWavesPerEU: 30
; NumVGPRsForWavesPerEU: 12
; AccumOffset: 12
; Occupancy: 8
; WaveLimiterHint : 0
; COMPUTE_PGM_RSRC2:SCRATCH_EN: 0
; COMPUTE_PGM_RSRC2:USER_SGPR: 6
; COMPUTE_PGM_RSRC2:TRAP_HANDLER: 0
; COMPUTE_PGM_RSRC2:TGID_X_EN: 1
; COMPUTE_PGM_RSRC2:TGID_Y_EN: 0
; COMPUTE_PGM_RSRC2:TGID_Z_EN: 0
; COMPUTE_PGM_RSRC2:TIDIG_COMP_CNT: 0
; COMPUTE_PGM_RSRC3_GFX90A:ACCUM_OFFSET: 2
; COMPUTE_PGM_RSRC3_GFX90A:TG_SPLIT: 0
	.section	.text._ZN5aiter19grouped_topk_kernelIN3c108BFloat16EDv1_fLi2ELb1ELb0ELb0EEEvPT_PKS4_PfPimiiiif,"axG",@progbits,_ZN5aiter19grouped_topk_kernelIN3c108BFloat16EDv1_fLi2ELb1ELb0ELb0EEEvPT_PKS4_PfPimiiiif,comdat
	.protected	_ZN5aiter19grouped_topk_kernelIN3c108BFloat16EDv1_fLi2ELb1ELb0ELb0EEEvPT_PKS4_PfPimiiiif ; -- Begin function _ZN5aiter19grouped_topk_kernelIN3c108BFloat16EDv1_fLi2ELb1ELb0ELb0EEEvPT_PKS4_PfPimiiiif
	.globl	_ZN5aiter19grouped_topk_kernelIN3c108BFloat16EDv1_fLi2ELb1ELb0ELb0EEEvPT_PKS4_PfPimiiiif
	.p2align	8
	.type	_ZN5aiter19grouped_topk_kernelIN3c108BFloat16EDv1_fLi2ELb1ELb0ELb0EEEvPT_PKS4_PfPimiiiif,@function
_ZN5aiter19grouped_topk_kernelIN3c108BFloat16EDv1_fLi2ELb1ELb0ELb0EEEvPT_PKS4_PfPimiiiif: ; @_ZN5aiter19grouped_topk_kernelIN3c108BFloat16EDv1_fLi2ELb1ELb0ELb0EEEvPT_PKS4_PfPimiiiif
; %bb.0:
	s_load_dwordx4 s[8:11], s[4:5], 0x28
	s_load_dwordx4 s[12:15], s[4:5], 0x10
	v_lshl_add_u32 v1, v0, 2, 0
	s_waitcnt lgkmcnt(0)
	v_cmp_gt_i32_e64 s[0:1], s8, v0
	s_and_saveexec_b64 s[2:3], s[0:1]
	s_cbranch_execz .LBB252_3
; %bb.1:
	s_load_dwordx2 s[16:17], s[4:5], 0x0
	s_load_dword s11, s[4:5], 0x4c
	s_mul_i32 s18, s6, s8
	s_ashr_i32 s19, s18, 31
	s_lshl_b64 s[18:19], s[18:19], 1
	s_waitcnt lgkmcnt(0)
	s_add_u32 s7, s16, s18
	s_addc_u32 s19, s17, s19
	s_and_b32 s11, s11, 0xffff
	v_lshl_add_u32 v4, v0, 2, 0
	s_lshl_b32 s18, s11, 2
	s_mov_b64 s[16:17], 0
	v_mov_b32_e32 v5, s19
	s_mov_b32 s19, 0xbfb8aa3b
	s_mov_b32 s20, 0x42ce8ed0
	;; [unrolled: 1-line block ×3, first 2 shown]
	v_mov_b32_e32 v6, 0x7f800000
	v_mov_b32_e32 v2, v0
.LBB252_2:                              ; =>This Inner Loop Header: Depth=1
	v_ashrrev_i32_e32 v3, 31, v2
	v_lshlrev_b64 v[8:9], 1, v[2:3]
	v_add_co_u32_e32 v8, vcc, s7, v8
	v_addc_co_u32_e32 v9, vcc, v5, v9, vcc
	global_load_ushort v3, v[8:9], off
	v_add_u32_e32 v2, s11, v2
	v_cmp_le_i32_e32 vcc, s8, v2
	s_or_b64 s[16:17], vcc, s[16:17]
	s_waitcnt vmcnt(0)
	v_cvt_f32_u32_e32 v3, v3
	v_mul_f32_e32 v7, 0xbfb8aa3b, v3
	v_fma_f32 v8, v3, s19, -v7
	v_rndne_f32_e32 v9, v7
	v_fmac_f32_e32 v8, 0xb2a5705f, v3
	v_sub_f32_e32 v7, v7, v9
	v_add_f32_e32 v7, v7, v8
	v_cvt_i32_f32_e32 v9, v9
	v_exp_f32_e32 v7, v7
	v_cmp_nlt_f32_e32 vcc, s20, v3
	v_ldexp_f32 v7, v7, v9
	v_cndmask_b32_e32 v7, 0, v7, vcc
	v_cmp_ngt_f32_e32 vcc, s21, v3
	v_cndmask_b32_e32 v3, v6, v7, vcc
	v_add_f32_e32 v3, 1.0, v3
	v_div_scale_f32 v7, s[22:23], v3, v3, 1.0
	v_rcp_f32_e32 v8, v7
	v_div_scale_f32 v9, vcc, 1.0, v3, 1.0
	v_fma_f32 v10, -v7, v8, 1.0
	v_fmac_f32_e32 v8, v10, v8
	v_mul_f32_e32 v10, v9, v8
	v_fma_f32 v11, -v7, v10, v9
	v_fmac_f32_e32 v10, v11, v8
	v_fma_f32 v7, -v7, v10, v9
	v_div_fmas_f32 v7, v7, v8, v10
	v_div_fixup_f32 v3, v7, v3, 1.0
	ds_write_b32 v4, v3
	v_add_u32_e32 v4, s18, v4
	s_andn2_b64 exec, exec, s[16:17]
	s_cbranch_execnz .LBB252_2
.LBB252_3:
	s_or_b64 exec, exec, s[2:3]
	s_lshr_b32 s2, s8, 31
	s_add_i32 s2, s8, s2
	s_ashr_i32 s11, s2, 1
	s_lshl_b32 s2, s8, 2
	s_add_i32 s7, s2, 0
	v_cmp_gt_u32_e32 vcc, 2, v0
	s_waitcnt lgkmcnt(0)
	s_barrier
	s_and_saveexec_b64 s[16:17], vcc
	s_cbranch_execz .LBB252_10
; %bb.4:
	s_load_dword s2, s[4:5], 0x4c
	v_mul_lo_u32 v2, v0, s11
	v_lshl_add_u32 v2, v2, 2, 0
	s_waitcnt lgkmcnt(0)
	s_and_b32 s22, s2, 0xffff
	s_cmp_gt_i32 s8, 1
	s_cselect_b64 s[2:3], -1, 0
	s_mul_i32 s18, s11, s22
	v_cndmask_b32_e64 v3, 0, 1, s[2:3]
	s_lshl_b32 s23, s18, 2
	s_mov_b64 s[18:19], 0
	v_cmp_ne_u32_e64 s[2:3], 1, v3
	v_mov_b32_e32 v3, v0
	s_branch .LBB252_6
.LBB252_5:                              ;   in Loop: Header=BB252_6 Depth=1
	v_lshl_add_u32 v5, v3, 2, s7
	v_add_u32_e32 v3, s22, v3
	v_cmp_lt_u32_e32 vcc, 1, v3
	s_or_b64 s[18:19], vcc, s[18:19]
	v_add_u32_e32 v2, s23, v2
	ds_write_b32 v5, v4
	s_andn2_b64 exec, exec, s[18:19]
	s_cbranch_execz .LBB252_10
.LBB252_6:                              ; =>This Loop Header: Depth=1
                                        ;     Child Loop BB252_8 Depth 2
	s_and_b64 vcc, exec, s[2:3]
	v_mov_b32_e32 v4, 0xff800000
	s_cbranch_vccnz .LBB252_5
; %bb.7:                                ;   in Loop: Header=BB252_6 Depth=1
	v_mul_lo_u32 v5, v3, s11
	v_add_u32_e32 v6, s11, v5
	s_mov_b64 s[20:21], 0
	v_mov_b32_e32 v4, 0xff800000
	v_mov_b32_e32 v7, v2
.LBB252_8:                              ;   Parent Loop BB252_6 Depth=1
                                        ; =>  This Inner Loop Header: Depth=2
	ds_read_b32 v8, v7
	v_add_u32_e32 v5, 1, v5
	v_cmp_ge_i32_e32 vcc, v5, v6
	s_or_b64 s[20:21], vcc, s[20:21]
	v_add_u32_e32 v7, 4, v7
	s_waitcnt lgkmcnt(0)
	v_cmp_gt_f32_e32 vcc, v8, v4
	v_cndmask_b32_e32 v4, v4, v8, vcc
	s_andn2_b64 exec, exec, s[20:21]
	s_cbranch_execnz .LBB252_8
; %bb.9:                                ;   in Loop: Header=BB252_6 Depth=1
	s_or_b64 exec, exec, s[20:21]
	s_branch .LBB252_5
.LBB252_10:
	s_or_b64 exec, exec, s[16:17]
	s_cmp_lt_i32 s10, 1
	s_waitcnt lgkmcnt(0)
	s_barrier
	s_cbranch_scc1 .LBB252_13
; %bb.11:
	v_mov_b32_e32 v2, s7
	s_mov_b32 s2, 0xff800000
	v_mov_b32_e32 v3, 0xff800000
.LBB252_12:                             ; =>This Inner Loop Header: Depth=1
	ds_read2_b32 v[4:5], v2 offset1:1
	s_add_i32 s10, s10, -1
	s_cmp_lg_u32 s10, 0
	s_waitcnt lgkmcnt(0)
	v_cmp_nlg_f32_e32 vcc, s2, v4
	v_cndmask_b32_e64 v6, 0, 1, vcc
	v_cmp_lg_f32_e32 vcc, s2, v4
	v_cndmask_b32_e32 v4, v3, v4, vcc
	v_lshlrev_b32_e32 v6, 1, v6
	v_cmp_ngt_f32_e32 vcc, v5, v4
	v_cndmask_b32_e32 v4, 1, v6, vcc
	v_lshlrev_b32_e32 v4, 2, v4
	v_add_u32_e32 v4, s7, v4
	ds_write_b32 v4, v3
	s_cbranch_scc1 .LBB252_12
.LBB252_13:
	s_and_saveexec_b64 s[2:3], s[0:1]
	s_cbranch_execz .LBB252_18
; %bb.14:
	s_abs_i32 s18, s11
	v_cvt_f32_u32_e32 v3, s18
	s_load_dword s16, s[4:5], 0x4c
	s_sub_i32 s17, 0, s18
	s_ashr_i32 s19, s11, 31
	v_rcp_iflag_f32_e32 v4, v3
	v_lshl_add_u32 v2, v0, 2, 0
	s_waitcnt lgkmcnt(0)
	s_and_b32 s21, s16, 0xffff
	s_mov_b64 s[10:11], 0
	v_mul_f32_e32 v4, 0x4f7ffffe, v4
	v_cvt_u32_f32_e32 v4, v4
	s_mov_b32 s20, 0xff800000
	v_mov_b32_e32 v3, 0xff800000
	s_lshl_b32 s22, s21, 2
	v_mul_lo_u32 v5, s17, v4
	v_mul_hi_u32 v5, v4, v5
	v_add_u32_e32 v4, v4, v5
	v_mov_b32_e32 v5, v0
	s_branch .LBB252_16
.LBB252_15:                             ;   in Loop: Header=BB252_16 Depth=1
	s_or_b64 exec, exec, s[16:17]
	v_add_u32_e32 v5, s21, v5
	v_cmp_le_i32_e32 vcc, s8, v5
	s_or_b64 s[10:11], vcc, s[10:11]
	v_add_u32_e32 v2, s22, v2
	s_andn2_b64 exec, exec, s[10:11]
	s_cbranch_execz .LBB252_18
.LBB252_16:                             ; =>This Inner Loop Header: Depth=1
	v_sub_u32_e32 v7, 0, v5
	v_max_i32_e32 v7, v5, v7
	v_mul_hi_u32 v8, v7, v4
	v_mul_lo_u32 v9, v8, s18
	v_sub_u32_e32 v7, v7, v9
	v_add_u32_e32 v9, 1, v8
	v_cmp_le_u32_e32 vcc, s18, v7
	v_cndmask_b32_e32 v8, v8, v9, vcc
	v_subrev_u32_e32 v9, s18, v7
	v_cndmask_b32_e32 v7, v7, v9, vcc
	v_ashrrev_i32_e32 v6, 31, v5
	v_add_u32_e32 v9, 1, v8
	v_cmp_le_u32_e32 vcc, s18, v7
	v_xor_b32_e32 v6, s19, v6
	v_cndmask_b32_e32 v7, v8, v9, vcc
	v_xor_b32_e32 v7, v7, v6
	v_sub_u32_e32 v6, v7, v6
	v_lshl_add_u32 v6, v6, 2, s7
	ds_read_b32 v6, v6
	s_waitcnt lgkmcnt(0)
	v_cmp_neq_f32_e32 vcc, s20, v6
	s_and_saveexec_b64 s[16:17], vcc
	s_cbranch_execz .LBB252_15
; %bb.17:                               ;   in Loop: Header=BB252_16 Depth=1
	ds_write_b32 v2, v3
	s_branch .LBB252_15
.LBB252_18:
	s_or_b64 exec, exec, s[2:3]
	s_cmp_lt_i32 s9, 1
	s_waitcnt lgkmcnt(0)
	s_barrier
	s_cbranch_scc1 .LBB252_25
; %bb.19:
	s_add_u32 s2, s4, 64
	s_addc_u32 s3, s5, 0
	s_mov_b32 s7, 0
	v_mov_b32_e32 v3, 0
	v_mov_b32_e32 v5, 0xff800000
                                        ; implicit-def: $vgpr4
                                        ; implicit-def: $vgpr2
	s_branch .LBB252_21
.LBB252_20:                             ;   in Loop: Header=BB252_21 Depth=1
	s_or_b64 exec, exec, s[10:11]
	v_mov_b32_dpp v9, v7 quad_perm:[1,0,3,2] row_mask:0xf bank_mask:0xf
	v_cmp_lt_f32_e32 vcc, v7, v9
	v_cndmask_b32_e32 v7, v7, v9, vcc
	v_mov_b32_dpp v8, v6 quad_perm:[1,0,3,2] row_mask:0xf bank_mask:0xf
	v_cndmask_b32_e32 v6, v6, v8, vcc
	v_mov_b32_dpp v9, v7 quad_perm:[2,3,0,1] row_mask:0xf bank_mask:0xf
	v_cmp_gt_f32_e32 vcc, v9, v7
	v_cndmask_b32_e32 v7, v7, v9, vcc
	v_mov_b32_dpp v8, v6 quad_perm:[2,3,0,1] row_mask:0xf bank_mask:0xf
	v_cndmask_b32_e32 v6, v6, v8, vcc
	v_mov_b32_dpp v9, v7 row_half_mirror row_mask:0xf bank_mask:0xf
	v_cmp_gt_f32_e32 vcc, v9, v7
	v_cndmask_b32_e32 v7, v7, v9, vcc
	v_mov_b32_dpp v8, v6 row_half_mirror row_mask:0xf bank_mask:0xf
	v_cndmask_b32_e32 v6, v6, v8, vcc
	v_mov_b32_dpp v9, v7 row_mirror row_mask:0xf bank_mask:0xf
	v_cmp_gt_f32_e32 vcc, v9, v7
	v_cndmask_b32_e32 v7, v7, v9, vcc
	v_mov_b32_dpp v8, v6 row_mirror row_mask:0xf bank_mask:0xf
	v_cndmask_b32_e32 v6, v6, v8, vcc
	v_mov_b32_dpp v9, v7 row_bcast:15 row_mask:0xf bank_mask:0xf
	v_cmp_gt_f32_e32 vcc, v9, v7
	v_mov_b32_dpp v8, v6 row_bcast:15 row_mask:0xf bank_mask:0xf
	v_cndmask_b32_e32 v7, v7, v9, vcc
	v_cndmask_b32_e32 v6, v6, v8, vcc
	s_nop 0
	v_mov_b32_dpp v9, v7 row_bcast:31 row_mask:0xf bank_mask:0xf
	v_mov_b32_dpp v8, v6 row_bcast:31 row_mask:0xf bank_mask:0xf
	v_cmp_gt_f32_e32 vcc, v9, v7
	v_cndmask_b32_e32 v6, v6, v8, vcc
	v_readlane_b32 s11, v6, 63
	s_lshl_b32 s16, s11, 2
	s_add_i32 s16, s16, 0
	v_cndmask_b32_e32 v7, v7, v9, vcc
	v_mov_b32_e32 v6, s16
	v_readlane_b32 s10, v7, 63
	ds_write_b32 v6, v5
	v_mov_b32_e32 v6, s11
	v_cmp_eq_u32_e32 vcc, s7, v0
	v_cndmask_b32_e32 v2, v2, v6, vcc
	v_mov_b32_e32 v6, s10
	s_add_i32 s7, s7, 1
	v_cndmask_b32_e32 v4, v4, v6, vcc
	s_cmp_eq_u32 s7, s9
	v_add_f32_e32 v3, s10, v3
	s_cbranch_scc1 .LBB252_26
.LBB252_21:                             ; =>This Loop Header: Depth=1
                                        ;     Child Loop BB252_23 Depth 2
	v_mov_b32_e32 v6, s7
	v_mov_b32_e32 v7, 0xff800000
	s_and_saveexec_b64 s[10:11], s[0:1]
	s_cbranch_execz .LBB252_20
; %bb.22:                               ;   in Loop: Header=BB252_21 Depth=1
	s_load_dword s18, s[2:3], 0xc
	s_mov_b64 s[16:17], 0
	v_mov_b32_e32 v6, s7
	v_mov_b32_e32 v7, 0xff800000
	v_mov_b32_e32 v8, v1
	s_waitcnt lgkmcnt(0)
	s_and_b32 s18, s18, 0xffff
	s_lshl_b32 s19, s18, 2
	v_mov_b32_e32 v9, v0
.LBB252_23:                             ;   Parent Loop BB252_21 Depth=1
                                        ; =>  This Inner Loop Header: Depth=2
	ds_read_b32 v10, v8
	v_add_u32_e32 v8, s19, v8
	s_waitcnt lgkmcnt(0)
	v_cmp_gt_f32_e32 vcc, v10, v7
	v_cndmask_b32_e32 v6, v6, v9, vcc
	v_add_u32_e32 v9, s18, v9
	v_cndmask_b32_e32 v7, v7, v10, vcc
	v_cmp_le_i32_e32 vcc, s8, v9
	s_or_b64 s[16:17], vcc, s[16:17]
	s_andn2_b64 exec, exec, s[16:17]
	s_cbranch_execnz .LBB252_23
; %bb.24:                               ;   in Loop: Header=BB252_21 Depth=1
	s_or_b64 exec, exec, s[16:17]
	s_branch .LBB252_20
.LBB252_25:
	v_mov_b32_e32 v3, 0
                                        ; implicit-def: $vgpr4
                                        ; implicit-def: $vgpr2
.LBB252_26:
	v_cmp_gt_i32_e32 vcc, s9, v0
	s_and_saveexec_b64 s[0:1], vcc
	s_cbranch_execz .LBB252_29
; %bb.27:
	s_load_dword s7, s[4:5], 0x38
	s_load_dwordx2 s[0:1], s[4:5], 0x20
	s_load_dword s8, s[4:5], 0x4c
	s_waitcnt lgkmcnt(0)
	v_div_scale_f32 v1, s[2:3], v3, v3, s7
	v_rcp_f32_e32 v5, v1
	v_div_scale_f32 v6, vcc, s7, v3, s7
	s_ashr_i32 s2, s6, 31
	v_fma_f32 v7, -v1, v5, 1.0
	v_fmac_f32_e32 v5, v7, v5
	v_mul_f32_e32 v7, v6, v5
	v_fma_f32 v8, -v1, v7, v6
	v_fmac_f32_e32 v7, v8, v5
	v_fma_f32 v1, -v1, v7, v6
	s_mul_i32 s1, s6, s1
	s_mul_hi_u32 s3, s6, s0
	v_div_fmas_f32 v1, v1, v5, v7
	s_add_i32 s1, s3, s1
	s_mul_i32 s2, s2, s0
	v_div_fixup_f32 v1, v1, v3, s7
	s_add_i32 s4, s1, s2
	v_mul_f32_e32 v1, v1, v4
	s_mul_i32 s2, s6, s0
	s_and_b32 s3, s8, 0xffff
	s_mov_b64 s[0:1], 0
	v_mov_b32_e32 v3, s4
	v_mov_b32_e32 v4, s13
	;; [unrolled: 1-line block ×3, first 2 shown]
.LBB252_28:                             ; =>This Inner Loop Header: Depth=1
	v_ashrrev_i32_e32 v7, 31, v0
	v_add_co_u32_e32 v6, vcc, s2, v0
	v_addc_co_u32_e32 v7, vcc, v3, v7, vcc
	v_add_u32_e32 v0, s3, v0
	v_cmp_le_i32_e32 vcc, s9, v0
	v_lshlrev_b64 v[6:7], 2, v[6:7]
	s_or_b64 s[0:1], vcc, s[0:1]
	v_add_co_u32_e32 v8, vcc, s12, v6
	v_addc_co_u32_e32 v9, vcc, v4, v7, vcc
	v_add_co_u32_e32 v6, vcc, s14, v6
	v_addc_co_u32_e32 v7, vcc, v5, v7, vcc
	global_store_dword v[8:9], v1, off
	global_store_dword v[6:7], v2, off
	s_andn2_b64 exec, exec, s[0:1]
	s_cbranch_execnz .LBB252_28
.LBB252_29:
	s_endpgm
	.section	.rodata,"a",@progbits
	.p2align	6, 0x0
	.amdhsa_kernel _ZN5aiter19grouped_topk_kernelIN3c108BFloat16EDv1_fLi2ELb1ELb0ELb0EEEvPT_PKS4_PfPimiiiif
		.amdhsa_group_segment_fixed_size 0
		.amdhsa_private_segment_fixed_size 0
		.amdhsa_kernarg_size 320
		.amdhsa_user_sgpr_count 6
		.amdhsa_user_sgpr_private_segment_buffer 1
		.amdhsa_user_sgpr_dispatch_ptr 0
		.amdhsa_user_sgpr_queue_ptr 0
		.amdhsa_user_sgpr_kernarg_segment_ptr 1
		.amdhsa_user_sgpr_dispatch_id 0
		.amdhsa_user_sgpr_flat_scratch_init 0
		.amdhsa_user_sgpr_kernarg_preload_length 0
		.amdhsa_user_sgpr_kernarg_preload_offset 0
		.amdhsa_user_sgpr_private_segment_size 0
		.amdhsa_uses_dynamic_stack 0
		.amdhsa_system_sgpr_private_segment_wavefront_offset 0
		.amdhsa_system_sgpr_workgroup_id_x 1
		.amdhsa_system_sgpr_workgroup_id_y 0
		.amdhsa_system_sgpr_workgroup_id_z 0
		.amdhsa_system_sgpr_workgroup_info 0
		.amdhsa_system_vgpr_workitem_id 0
		.amdhsa_next_free_vgpr 12
		.amdhsa_next_free_sgpr 24
		.amdhsa_accum_offset 12
		.amdhsa_reserve_vcc 1
		.amdhsa_reserve_flat_scratch 0
		.amdhsa_float_round_mode_32 0
		.amdhsa_float_round_mode_16_64 0
		.amdhsa_float_denorm_mode_32 3
		.amdhsa_float_denorm_mode_16_64 3
		.amdhsa_dx10_clamp 1
		.amdhsa_ieee_mode 1
		.amdhsa_fp16_overflow 0
		.amdhsa_tg_split 0
		.amdhsa_exception_fp_ieee_invalid_op 0
		.amdhsa_exception_fp_denorm_src 0
		.amdhsa_exception_fp_ieee_div_zero 0
		.amdhsa_exception_fp_ieee_overflow 0
		.amdhsa_exception_fp_ieee_underflow 0
		.amdhsa_exception_fp_ieee_inexact 0
		.amdhsa_exception_int_div_zero 0
	.end_amdhsa_kernel
	.section	.text._ZN5aiter19grouped_topk_kernelIN3c108BFloat16EDv1_fLi2ELb1ELb0ELb0EEEvPT_PKS4_PfPimiiiif,"axG",@progbits,_ZN5aiter19grouped_topk_kernelIN3c108BFloat16EDv1_fLi2ELb1ELb0ELb0EEEvPT_PKS4_PfPimiiiif,comdat
.Lfunc_end252:
	.size	_ZN5aiter19grouped_topk_kernelIN3c108BFloat16EDv1_fLi2ELb1ELb0ELb0EEEvPT_PKS4_PfPimiiiif, .Lfunc_end252-_ZN5aiter19grouped_topk_kernelIN3c108BFloat16EDv1_fLi2ELb1ELb0ELb0EEEvPT_PKS4_PfPimiiiif
                                        ; -- End function
	.section	.AMDGPU.csdata,"",@progbits
; Kernel info:
; codeLenInByte = 1668
; NumSgprs: 28
; NumVgprs: 12
; NumAgprs: 0
; TotalNumVgprs: 12
; ScratchSize: 0
; MemoryBound: 0
; FloatMode: 240
; IeeeMode: 1
; LDSByteSize: 0 bytes/workgroup (compile time only)
; SGPRBlocks: 3
; VGPRBlocks: 1
; NumSGPRsForWavesPerEU: 28
; NumVGPRsForWavesPerEU: 12
; AccumOffset: 12
; Occupancy: 8
; WaveLimiterHint : 0
; COMPUTE_PGM_RSRC2:SCRATCH_EN: 0
; COMPUTE_PGM_RSRC2:USER_SGPR: 6
; COMPUTE_PGM_RSRC2:TRAP_HANDLER: 0
; COMPUTE_PGM_RSRC2:TGID_X_EN: 1
; COMPUTE_PGM_RSRC2:TGID_Y_EN: 0
; COMPUTE_PGM_RSRC2:TGID_Z_EN: 0
; COMPUTE_PGM_RSRC2:TIDIG_COMP_CNT: 0
; COMPUTE_PGM_RSRC3_GFX90A:ACCUM_OFFSET: 2
; COMPUTE_PGM_RSRC3_GFX90A:TG_SPLIT: 0
	.section	.text._ZN5aiter28grouped_topk_opt_sort_kernelIfDv1_fLi2ELb0ELb1ELb0EEEvPT_PKS2_PfPimiiiif,"axG",@progbits,_ZN5aiter28grouped_topk_opt_sort_kernelIfDv1_fLi2ELb0ELb1ELb0EEEvPT_PKS2_PfPimiiiif,comdat
	.protected	_ZN5aiter28grouped_topk_opt_sort_kernelIfDv1_fLi2ELb0ELb1ELb0EEEvPT_PKS2_PfPimiiiif ; -- Begin function _ZN5aiter28grouped_topk_opt_sort_kernelIfDv1_fLi2ELb0ELb1ELb0EEEvPT_PKS2_PfPimiiiif
	.globl	_ZN5aiter28grouped_topk_opt_sort_kernelIfDv1_fLi2ELb0ELb1ELb0EEEvPT_PKS2_PfPimiiiif
	.p2align	8
	.type	_ZN5aiter28grouped_topk_opt_sort_kernelIfDv1_fLi2ELb0ELb1ELb0EEEvPT_PKS2_PfPimiiiif,@function
_ZN5aiter28grouped_topk_opt_sort_kernelIfDv1_fLi2ELb0ELb1ELb0EEEvPT_PKS2_PfPimiiiif: ; @_ZN5aiter28grouped_topk_opt_sort_kernelIfDv1_fLi2ELb0ELb1ELb0EEEvPT_PKS2_PfPimiiiif
; %bb.0:
	s_load_dword s7, s[4:5], 0x28
	s_load_dwordx4 s[0:3], s[4:5], 0x0
	s_load_dword s8, s[4:5], 0x30
	v_lshlrev_b32_e32 v1, 2, v0
	v_mov_b32_e32 v5, 0x42800000
	s_waitcnt lgkmcnt(0)
	s_mul_i32 s4, s6, s7
	s_ashr_i32 s5, s4, 31
	s_lshl_b64 s[4:5], s[4:5], 2
	s_add_u32 s0, s0, s4
	s_addc_u32 s1, s1, s5
	global_load_dword v2, v1, s[0:1]
	global_load_dword v4, v1, s[2:3]
	s_mov_b32 s0, 0x652b82fe
	s_mov_b32 s1, 0xbff71547
	;; [unrolled: 1-line block ×3, first 2 shown]
	v_mov_b32_e32 v6, 0x1f800000
	v_mbcnt_lo_u32_b32 v8, -1, 0
	v_mov_b32_e32 v7, 0xff800000
	v_mov_b32_e32 v9, 0x7f800000
	v_add_u32_e32 v1, 0, v1
	s_waitcnt vmcnt(1)
	v_cvt_f64_f32_e32 v[2:3], v2
	v_mul_f64 v[2:3], v[2:3], s[0:1]
	v_cvt_f32_f64_e32 v2, v[2:3]
	v_cmp_gt_f32_e32 vcc, s2, v2
	v_cndmask_b32_e32 v3, 0, v5, vcc
	v_add_f32_e32 v2, v2, v3
	v_exp_f32_e32 v2, v2
	v_cndmask_b32_e32 v6, 1.0, v6, vcc
	v_mbcnt_hi_u32_b32 v5, -1, v8
	v_lshlrev_b32_e32 v3, 5, v0
	v_fma_f32 v2, v2, v6, 1.0
	v_rcp_f32_e32 v2, v2
	v_and_b32_e32 v5, 64, v5
	v_and_or_b32 v3, v3, 32, v5
	v_lshlrev_b32_e32 v3, 2, v3
	s_waitcnt vmcnt(0)
	v_add_f32_e32 v2, v4, v2
	v_cmp_o_f32_e32 vcc, v2, v2
	v_cndmask_b32_e32 v2, v7, v2, vcc
	v_add_f32_e32 v4, 0xff800000, v2
	ds_bpermute_b32 v3, v3, v4
	v_and_b32_e32 v4, 1, v0
	v_cmp_eq_u32_e32 vcc, 0, v4
	v_cndmask_b32_e32 v4, v7, v9, vcc
	v_lshlrev_b32_e32 v5, 2, v5
	s_waitcnt lgkmcnt(0)
	v_mov_b32_dpp v6, v3 quad_perm:[1,0,3,2] row_mask:0xf bank_mask:0xf bound_ctrl:1
	v_med3_f32 v4, v3, v6, v4
	ds_bpermute_b32 v4, v5, v4 offset:12
	ds_write_b32 v1, v2
	s_waitcnt lgkmcnt(1)
	v_cmp_gt_f32_e32 vcc, v3, v4
	v_cndmask_b32_e64 v1, 0, 1, vcc
	v_cmp_eq_f32_e64 s[0:1], v3, v4
	v_cndmask_b32_e64 v2, 0, 1, s[0:1]
	v_mov_b32_dpp v1, v1 row_shr:1 row_mask:0xf bank_mask:0xf bound_ctrl:1
	v_addc_co_u32_e32 v1, vcc, 0, v1, vcc
	v_readlane_b32 s4, v1, 1
	v_cmp_ge_f32_e64 s[2:3], v3, v4
	v_mov_b32_dpp v2, v2 row_shr:1 row_mask:0xf bank_mask:0xf bound_ctrl:1
	v_mov_b32_e32 v3, s4
	v_addc_co_u32_e64 v2, vcc, v2, v3, s[0:1]
	v_cndmask_b32_e64 v1, v1, v2, s[0:1]
	v_cmp_ge_i32_e32 vcc, s8, v1
	s_and_b64 s[0:1], s[2:3], vcc
	v_cmp_gt_u32_e32 vcc, 2, v0
	s_and_b64 s[2:3], vcc, s[0:1]
	s_and_saveexec_b64 s[0:1], s[2:3]
	s_cbranch_execz .LBB253_2
; %bb.1:
	s_lshl_b32 s2, s7, 2
	s_add_i32 s2, s2, 0
	v_lshl_add_u32 v1, v1, 2, s2
	ds_write_b32 v1, v0 offset:4
.LBB253_2:
	s_or_b64 exec, exec, s[0:1]
	s_waitcnt lgkmcnt(0)
	s_barrier
	s_endpgm
	.section	.rodata,"a",@progbits
	.p2align	6, 0x0
	.amdhsa_kernel _ZN5aiter28grouped_topk_opt_sort_kernelIfDv1_fLi2ELb0ELb1ELb0EEEvPT_PKS2_PfPimiiiif
		.amdhsa_group_segment_fixed_size 0
		.amdhsa_private_segment_fixed_size 0
		.amdhsa_kernarg_size 60
		.amdhsa_user_sgpr_count 6
		.amdhsa_user_sgpr_private_segment_buffer 1
		.amdhsa_user_sgpr_dispatch_ptr 0
		.amdhsa_user_sgpr_queue_ptr 0
		.amdhsa_user_sgpr_kernarg_segment_ptr 1
		.amdhsa_user_sgpr_dispatch_id 0
		.amdhsa_user_sgpr_flat_scratch_init 0
		.amdhsa_user_sgpr_kernarg_preload_length 0
		.amdhsa_user_sgpr_kernarg_preload_offset 0
		.amdhsa_user_sgpr_private_segment_size 0
		.amdhsa_uses_dynamic_stack 0
		.amdhsa_system_sgpr_private_segment_wavefront_offset 0
		.amdhsa_system_sgpr_workgroup_id_x 1
		.amdhsa_system_sgpr_workgroup_id_y 0
		.amdhsa_system_sgpr_workgroup_id_z 0
		.amdhsa_system_sgpr_workgroup_info 0
		.amdhsa_system_vgpr_workitem_id 0
		.amdhsa_next_free_vgpr 10
		.amdhsa_next_free_sgpr 9
		.amdhsa_accum_offset 12
		.amdhsa_reserve_vcc 1
		.amdhsa_reserve_flat_scratch 0
		.amdhsa_float_round_mode_32 0
		.amdhsa_float_round_mode_16_64 0
		.amdhsa_float_denorm_mode_32 3
		.amdhsa_float_denorm_mode_16_64 3
		.amdhsa_dx10_clamp 1
		.amdhsa_ieee_mode 1
		.amdhsa_fp16_overflow 0
		.amdhsa_tg_split 0
		.amdhsa_exception_fp_ieee_invalid_op 0
		.amdhsa_exception_fp_denorm_src 0
		.amdhsa_exception_fp_ieee_div_zero 0
		.amdhsa_exception_fp_ieee_overflow 0
		.amdhsa_exception_fp_ieee_underflow 0
		.amdhsa_exception_fp_ieee_inexact 0
		.amdhsa_exception_int_div_zero 0
	.end_amdhsa_kernel
	.section	.text._ZN5aiter28grouped_topk_opt_sort_kernelIfDv1_fLi2ELb0ELb1ELb0EEEvPT_PKS2_PfPimiiiif,"axG",@progbits,_ZN5aiter28grouped_topk_opt_sort_kernelIfDv1_fLi2ELb0ELb1ELb0EEEvPT_PKS2_PfPimiiiif,comdat
.Lfunc_end253:
	.size	_ZN5aiter28grouped_topk_opt_sort_kernelIfDv1_fLi2ELb0ELb1ELb0EEEvPT_PKS2_PfPimiiiif, .Lfunc_end253-_ZN5aiter28grouped_topk_opt_sort_kernelIfDv1_fLi2ELb0ELb1ELb0EEEvPT_PKS2_PfPimiiiif
                                        ; -- End function
	.section	.AMDGPU.csdata,"",@progbits
; Kernel info:
; codeLenInByte = 452
; NumSgprs: 13
; NumVgprs: 10
; NumAgprs: 0
; TotalNumVgprs: 10
; ScratchSize: 0
; MemoryBound: 0
; FloatMode: 240
; IeeeMode: 1
; LDSByteSize: 0 bytes/workgroup (compile time only)
; SGPRBlocks: 1
; VGPRBlocks: 1
; NumSGPRsForWavesPerEU: 13
; NumVGPRsForWavesPerEU: 10
; AccumOffset: 12
; Occupancy: 8
; WaveLimiterHint : 0
; COMPUTE_PGM_RSRC2:SCRATCH_EN: 0
; COMPUTE_PGM_RSRC2:USER_SGPR: 6
; COMPUTE_PGM_RSRC2:TRAP_HANDLER: 0
; COMPUTE_PGM_RSRC2:TGID_X_EN: 1
; COMPUTE_PGM_RSRC2:TGID_Y_EN: 0
; COMPUTE_PGM_RSRC2:TGID_Z_EN: 0
; COMPUTE_PGM_RSRC2:TIDIG_COMP_CNT: 0
; COMPUTE_PGM_RSRC3_GFX90A:ACCUM_OFFSET: 2
; COMPUTE_PGM_RSRC3_GFX90A:TG_SPLIT: 0
	.section	.text._ZN5aiter28grouped_topk_opt_sort_kernelIN3c104HalfEDv1_fLi2ELb0ELb1ELb0EEEvPT_PKS4_PfPimiiiif,"axG",@progbits,_ZN5aiter28grouped_topk_opt_sort_kernelIN3c104HalfEDv1_fLi2ELb0ELb1ELb0EEEvPT_PKS4_PfPimiiiif,comdat
	.protected	_ZN5aiter28grouped_topk_opt_sort_kernelIN3c104HalfEDv1_fLi2ELb0ELb1ELb0EEEvPT_PKS4_PfPimiiiif ; -- Begin function _ZN5aiter28grouped_topk_opt_sort_kernelIN3c104HalfEDv1_fLi2ELb0ELb1ELb0EEEvPT_PKS4_PfPimiiiif
	.globl	_ZN5aiter28grouped_topk_opt_sort_kernelIN3c104HalfEDv1_fLi2ELb0ELb1ELb0EEEvPT_PKS4_PfPimiiiif
	.p2align	8
	.type	_ZN5aiter28grouped_topk_opt_sort_kernelIN3c104HalfEDv1_fLi2ELb0ELb1ELb0EEEvPT_PKS4_PfPimiiiif,@function
_ZN5aiter28grouped_topk_opt_sort_kernelIN3c104HalfEDv1_fLi2ELb0ELb1ELb0EEEvPT_PKS4_PfPimiiiif: ; @_ZN5aiter28grouped_topk_opt_sort_kernelIN3c104HalfEDv1_fLi2ELb0ELb1ELb0EEEvPT_PKS4_PfPimiiiif
; %bb.0:
	s_load_dword s7, s[4:5], 0x28
	s_load_dwordx4 s[0:3], s[4:5], 0x0
	s_load_dword s8, s[4:5], 0x30
	v_lshlrev_b32_e32 v1, 1, v0
	v_mov_b32_e32 v5, 0x1f800000
	s_waitcnt lgkmcnt(0)
	s_mul_i32 s4, s6, s7
	s_ashr_i32 s5, s4, 31
	s_lshl_b64 s[4:5], s[4:5], 1
	s_add_u32 s0, s0, s4
	s_addc_u32 s1, s1, s5
	global_load_ushort v2, v1, s[0:1]
	global_load_ushort v4, v1, s[2:3]
	s_mov_b32 s0, 0x652b82fe
	s_mov_b32 s1, 0xbff71547
	;; [unrolled: 1-line block ×3, first 2 shown]
	v_mov_b32_e32 v1, 0x42800000
	v_mbcnt_lo_u32_b32 v7, -1, 0
	v_mov_b32_e32 v6, 0xff800000
	v_lshlrev_b32_e32 v9, 5, v0
	v_mov_b32_e32 v8, 0x7f800000
	s_waitcnt vmcnt(1)
	v_cvt_f32_f16_e32 v2, v2
	v_cvt_f64_f32_e32 v[2:3], v2
	v_mul_f64 v[2:3], v[2:3], s[0:1]
	v_cvt_f32_f64_e32 v2, v[2:3]
	v_cmp_gt_f32_e32 vcc, s2, v2
	v_cndmask_b32_e32 v1, 0, v1, vcc
	v_add_f32_e32 v1, v2, v1
	v_exp_f32_e32 v1, v1
	s_waitcnt vmcnt(0)
	v_cvt_f32_f16_e32 v3, v4
	v_cndmask_b32_e32 v4, 1.0, v5, vcc
	v_mbcnt_hi_u32_b32 v2, -1, v7
	v_fma_f32 v1, v1, v4, 1.0
	v_rcp_f32_e32 v1, v1
	v_and_b32_e32 v2, 64, v2
	v_and_or_b32 v4, v9, 32, v2
	v_lshlrev_b32_e32 v4, 2, v4
	v_add_f32_e32 v1, v1, v3
	v_cmp_o_f32_e32 vcc, v1, v1
	v_cndmask_b32_e32 v1, v6, v1, vcc
	v_add_f32_e32 v3, 0xff800000, v1
	ds_bpermute_b32 v3, v4, v3
	v_and_b32_e32 v4, 1, v0
	v_cmp_eq_u32_e32 vcc, 0, v4
	v_cndmask_b32_e32 v4, v6, v8, vcc
	v_lshlrev_b32_e32 v2, 2, v2
	s_waitcnt lgkmcnt(0)
	v_mov_b32_dpp v5, v3 quad_perm:[1,0,3,2] row_mask:0xf bank_mask:0xf bound_ctrl:1
	v_med3_f32 v4, v3, v5, v4
	ds_bpermute_b32 v2, v2, v4 offset:12
	v_lshl_add_u32 v4, v0, 2, 0
	ds_write_b32 v4, v1
	s_waitcnt lgkmcnt(1)
	v_cmp_gt_f32_e32 vcc, v3, v2
	v_cndmask_b32_e64 v1, 0, 1, vcc
	v_cmp_eq_f32_e64 s[0:1], v3, v2
	v_cndmask_b32_e64 v4, 0, 1, s[0:1]
	v_mov_b32_dpp v1, v1 row_shr:1 row_mask:0xf bank_mask:0xf bound_ctrl:1
	v_addc_co_u32_e32 v1, vcc, 0, v1, vcc
	v_readlane_b32 s4, v1, 1
	v_cmp_ge_f32_e64 s[2:3], v3, v2
	v_mov_b32_dpp v2, v4 row_shr:1 row_mask:0xf bank_mask:0xf bound_ctrl:1
	v_mov_b32_e32 v3, s4
	v_addc_co_u32_e64 v2, vcc, v2, v3, s[0:1]
	v_cndmask_b32_e64 v1, v1, v2, s[0:1]
	v_cmp_ge_i32_e32 vcc, s8, v1
	s_and_b64 s[0:1], s[2:3], vcc
	v_cmp_gt_u32_e32 vcc, 2, v0
	s_and_b64 s[2:3], vcc, s[0:1]
	s_and_saveexec_b64 s[0:1], s[2:3]
	s_cbranch_execz .LBB254_2
; %bb.1:
	s_lshl_b32 s2, s7, 2
	s_add_i32 s2, s2, 0
	v_lshl_add_u32 v1, v1, 2, s2
	ds_write_b32 v1, v0 offset:4
.LBB254_2:
	s_or_b64 exec, exec, s[0:1]
	s_waitcnt lgkmcnt(0)
	s_barrier
	s_endpgm
	.section	.rodata,"a",@progbits
	.p2align	6, 0x0
	.amdhsa_kernel _ZN5aiter28grouped_topk_opt_sort_kernelIN3c104HalfEDv1_fLi2ELb0ELb1ELb0EEEvPT_PKS4_PfPimiiiif
		.amdhsa_group_segment_fixed_size 0
		.amdhsa_private_segment_fixed_size 0
		.amdhsa_kernarg_size 60
		.amdhsa_user_sgpr_count 6
		.amdhsa_user_sgpr_private_segment_buffer 1
		.amdhsa_user_sgpr_dispatch_ptr 0
		.amdhsa_user_sgpr_queue_ptr 0
		.amdhsa_user_sgpr_kernarg_segment_ptr 1
		.amdhsa_user_sgpr_dispatch_id 0
		.amdhsa_user_sgpr_flat_scratch_init 0
		.amdhsa_user_sgpr_kernarg_preload_length 0
		.amdhsa_user_sgpr_kernarg_preload_offset 0
		.amdhsa_user_sgpr_private_segment_size 0
		.amdhsa_uses_dynamic_stack 0
		.amdhsa_system_sgpr_private_segment_wavefront_offset 0
		.amdhsa_system_sgpr_workgroup_id_x 1
		.amdhsa_system_sgpr_workgroup_id_y 0
		.amdhsa_system_sgpr_workgroup_id_z 0
		.amdhsa_system_sgpr_workgroup_info 0
		.amdhsa_system_vgpr_workitem_id 0
		.amdhsa_next_free_vgpr 10
		.amdhsa_next_free_sgpr 9
		.amdhsa_accum_offset 12
		.amdhsa_reserve_vcc 1
		.amdhsa_reserve_flat_scratch 0
		.amdhsa_float_round_mode_32 0
		.amdhsa_float_round_mode_16_64 0
		.amdhsa_float_denorm_mode_32 3
		.amdhsa_float_denorm_mode_16_64 3
		.amdhsa_dx10_clamp 1
		.amdhsa_ieee_mode 1
		.amdhsa_fp16_overflow 0
		.amdhsa_tg_split 0
		.amdhsa_exception_fp_ieee_invalid_op 0
		.amdhsa_exception_fp_denorm_src 0
		.amdhsa_exception_fp_ieee_div_zero 0
		.amdhsa_exception_fp_ieee_overflow 0
		.amdhsa_exception_fp_ieee_underflow 0
		.amdhsa_exception_fp_ieee_inexact 0
		.amdhsa_exception_int_div_zero 0
	.end_amdhsa_kernel
	.section	.text._ZN5aiter28grouped_topk_opt_sort_kernelIN3c104HalfEDv1_fLi2ELb0ELb1ELb0EEEvPT_PKS4_PfPimiiiif,"axG",@progbits,_ZN5aiter28grouped_topk_opt_sort_kernelIN3c104HalfEDv1_fLi2ELb0ELb1ELb0EEEvPT_PKS4_PfPimiiiif,comdat
.Lfunc_end254:
	.size	_ZN5aiter28grouped_topk_opt_sort_kernelIN3c104HalfEDv1_fLi2ELb0ELb1ELb0EEEvPT_PKS4_PfPimiiiif, .Lfunc_end254-_ZN5aiter28grouped_topk_opt_sort_kernelIN3c104HalfEDv1_fLi2ELb0ELb1ELb0EEEvPT_PKS4_PfPimiiiif
                                        ; -- End function
	.section	.AMDGPU.csdata,"",@progbits
; Kernel info:
; codeLenInByte = 464
; NumSgprs: 13
; NumVgprs: 10
; NumAgprs: 0
; TotalNumVgprs: 10
; ScratchSize: 0
; MemoryBound: 0
; FloatMode: 240
; IeeeMode: 1
; LDSByteSize: 0 bytes/workgroup (compile time only)
; SGPRBlocks: 1
; VGPRBlocks: 1
; NumSGPRsForWavesPerEU: 13
; NumVGPRsForWavesPerEU: 10
; AccumOffset: 12
; Occupancy: 8
; WaveLimiterHint : 0
; COMPUTE_PGM_RSRC2:SCRATCH_EN: 0
; COMPUTE_PGM_RSRC2:USER_SGPR: 6
; COMPUTE_PGM_RSRC2:TRAP_HANDLER: 0
; COMPUTE_PGM_RSRC2:TGID_X_EN: 1
; COMPUTE_PGM_RSRC2:TGID_Y_EN: 0
; COMPUTE_PGM_RSRC2:TGID_Z_EN: 0
; COMPUTE_PGM_RSRC2:TIDIG_COMP_CNT: 0
; COMPUTE_PGM_RSRC3_GFX90A:ACCUM_OFFSET: 2
; COMPUTE_PGM_RSRC3_GFX90A:TG_SPLIT: 0
	.section	.text._ZN5aiter28grouped_topk_opt_sort_kernelIN3c108BFloat16EDv1_fLi2ELb0ELb1ELb0EEEvPT_PKS4_PfPimiiiif,"axG",@progbits,_ZN5aiter28grouped_topk_opt_sort_kernelIN3c108BFloat16EDv1_fLi2ELb0ELb1ELb0EEEvPT_PKS4_PfPimiiiif,comdat
	.protected	_ZN5aiter28grouped_topk_opt_sort_kernelIN3c108BFloat16EDv1_fLi2ELb0ELb1ELb0EEEvPT_PKS4_PfPimiiiif ; -- Begin function _ZN5aiter28grouped_topk_opt_sort_kernelIN3c108BFloat16EDv1_fLi2ELb0ELb1ELb0EEEvPT_PKS4_PfPimiiiif
	.globl	_ZN5aiter28grouped_topk_opt_sort_kernelIN3c108BFloat16EDv1_fLi2ELb0ELb1ELb0EEEvPT_PKS4_PfPimiiiif
	.p2align	8
	.type	_ZN5aiter28grouped_topk_opt_sort_kernelIN3c108BFloat16EDv1_fLi2ELb0ELb1ELb0EEEvPT_PKS4_PfPimiiiif,@function
_ZN5aiter28grouped_topk_opt_sort_kernelIN3c108BFloat16EDv1_fLi2ELb0ELb1ELb0EEEvPT_PKS4_PfPimiiiif: ; @_ZN5aiter28grouped_topk_opt_sort_kernelIN3c108BFloat16EDv1_fLi2ELb0ELb1ELb0EEEvPT_PKS4_PfPimiiiif
; %bb.0:
	s_load_dword s7, s[4:5], 0x28
	s_load_dwordx4 s[0:3], s[4:5], 0x0
	s_load_dword s8, s[4:5], 0x30
	v_lshlrev_b32_e32 v1, 1, v0
	v_mov_b32_e32 v5, 0x1f800000
	s_waitcnt lgkmcnt(0)
	s_mul_i32 s4, s6, s7
	s_ashr_i32 s5, s4, 31
	s_lshl_b64 s[4:5], s[4:5], 1
	s_add_u32 s0, s0, s4
	s_addc_u32 s1, s1, s5
	global_load_ushort v2, v1, s[0:1]
	global_load_ushort v4, v1, s[2:3]
	s_mov_b32 s0, 0x652b82fe
	s_mov_b32 s1, 0xbff71547
	;; [unrolled: 1-line block ×3, first 2 shown]
	v_mov_b32_e32 v1, 0x42800000
	v_mbcnt_lo_u32_b32 v7, -1, 0
	v_mov_b32_e32 v6, 0xff800000
	v_lshlrev_b32_e32 v9, 5, v0
	v_mov_b32_e32 v8, 0x7f800000
	s_waitcnt vmcnt(1)
	v_cvt_f64_u32_e32 v[2:3], v2
	v_mul_f64 v[2:3], v[2:3], s[0:1]
	v_cvt_f32_f64_e32 v2, v[2:3]
	v_cmp_gt_f32_e32 vcc, s2, v2
	v_cndmask_b32_e32 v1, 0, v1, vcc
	v_add_f32_e32 v1, v2, v1
	v_exp_f32_e32 v1, v1
	s_waitcnt vmcnt(0)
	v_cvt_f32_u32_e32 v3, v4
	v_cndmask_b32_e32 v4, 1.0, v5, vcc
	v_mbcnt_hi_u32_b32 v2, -1, v7
	v_fma_f32 v1, v1, v4, 1.0
	v_rcp_f32_e32 v1, v1
	v_and_b32_e32 v2, 64, v2
	v_and_or_b32 v4, v9, 32, v2
	v_lshlrev_b32_e32 v4, 2, v4
	v_add_f32_e32 v1, v1, v3
	v_cmp_o_f32_e32 vcc, v1, v1
	v_cndmask_b32_e32 v1, v6, v1, vcc
	v_add_f32_e32 v3, 0xff800000, v1
	ds_bpermute_b32 v3, v4, v3
	v_and_b32_e32 v4, 1, v0
	v_cmp_eq_u32_e32 vcc, 0, v4
	v_cndmask_b32_e32 v4, v6, v8, vcc
	v_lshlrev_b32_e32 v2, 2, v2
	s_waitcnt lgkmcnt(0)
	v_mov_b32_dpp v5, v3 quad_perm:[1,0,3,2] row_mask:0xf bank_mask:0xf bound_ctrl:1
	v_med3_f32 v4, v3, v5, v4
	ds_bpermute_b32 v2, v2, v4 offset:12
	v_lshl_add_u32 v4, v0, 2, 0
	ds_write_b32 v4, v1
	s_waitcnt lgkmcnt(1)
	v_cmp_gt_f32_e32 vcc, v3, v2
	v_cndmask_b32_e64 v1, 0, 1, vcc
	v_cmp_eq_f32_e64 s[0:1], v3, v2
	v_cndmask_b32_e64 v4, 0, 1, s[0:1]
	v_mov_b32_dpp v1, v1 row_shr:1 row_mask:0xf bank_mask:0xf bound_ctrl:1
	v_addc_co_u32_e32 v1, vcc, 0, v1, vcc
	v_readlane_b32 s4, v1, 1
	v_cmp_ge_f32_e64 s[2:3], v3, v2
	v_mov_b32_dpp v2, v4 row_shr:1 row_mask:0xf bank_mask:0xf bound_ctrl:1
	v_mov_b32_e32 v3, s4
	v_addc_co_u32_e64 v2, vcc, v2, v3, s[0:1]
	v_cndmask_b32_e64 v1, v1, v2, s[0:1]
	v_cmp_ge_i32_e32 vcc, s8, v1
	s_and_b64 s[0:1], s[2:3], vcc
	v_cmp_gt_u32_e32 vcc, 2, v0
	s_and_b64 s[2:3], vcc, s[0:1]
	s_and_saveexec_b64 s[0:1], s[2:3]
	s_cbranch_execz .LBB255_2
; %bb.1:
	s_lshl_b32 s2, s7, 2
	s_add_i32 s2, s2, 0
	v_lshl_add_u32 v1, v1, 2, s2
	ds_write_b32 v1, v0 offset:4
.LBB255_2:
	s_or_b64 exec, exec, s[0:1]
	s_waitcnt lgkmcnt(0)
	s_barrier
	s_endpgm
	.section	.rodata,"a",@progbits
	.p2align	6, 0x0
	.amdhsa_kernel _ZN5aiter28grouped_topk_opt_sort_kernelIN3c108BFloat16EDv1_fLi2ELb0ELb1ELb0EEEvPT_PKS4_PfPimiiiif
		.amdhsa_group_segment_fixed_size 0
		.amdhsa_private_segment_fixed_size 0
		.amdhsa_kernarg_size 60
		.amdhsa_user_sgpr_count 6
		.amdhsa_user_sgpr_private_segment_buffer 1
		.amdhsa_user_sgpr_dispatch_ptr 0
		.amdhsa_user_sgpr_queue_ptr 0
		.amdhsa_user_sgpr_kernarg_segment_ptr 1
		.amdhsa_user_sgpr_dispatch_id 0
		.amdhsa_user_sgpr_flat_scratch_init 0
		.amdhsa_user_sgpr_kernarg_preload_length 0
		.amdhsa_user_sgpr_kernarg_preload_offset 0
		.amdhsa_user_sgpr_private_segment_size 0
		.amdhsa_uses_dynamic_stack 0
		.amdhsa_system_sgpr_private_segment_wavefront_offset 0
		.amdhsa_system_sgpr_workgroup_id_x 1
		.amdhsa_system_sgpr_workgroup_id_y 0
		.amdhsa_system_sgpr_workgroup_id_z 0
		.amdhsa_system_sgpr_workgroup_info 0
		.amdhsa_system_vgpr_workitem_id 0
		.amdhsa_next_free_vgpr 10
		.amdhsa_next_free_sgpr 9
		.amdhsa_accum_offset 12
		.amdhsa_reserve_vcc 1
		.amdhsa_reserve_flat_scratch 0
		.amdhsa_float_round_mode_32 0
		.amdhsa_float_round_mode_16_64 0
		.amdhsa_float_denorm_mode_32 3
		.amdhsa_float_denorm_mode_16_64 3
		.amdhsa_dx10_clamp 1
		.amdhsa_ieee_mode 1
		.amdhsa_fp16_overflow 0
		.amdhsa_tg_split 0
		.amdhsa_exception_fp_ieee_invalid_op 0
		.amdhsa_exception_fp_denorm_src 0
		.amdhsa_exception_fp_ieee_div_zero 0
		.amdhsa_exception_fp_ieee_overflow 0
		.amdhsa_exception_fp_ieee_underflow 0
		.amdhsa_exception_fp_ieee_inexact 0
		.amdhsa_exception_int_div_zero 0
	.end_amdhsa_kernel
	.section	.text._ZN5aiter28grouped_topk_opt_sort_kernelIN3c108BFloat16EDv1_fLi2ELb0ELb1ELb0EEEvPT_PKS4_PfPimiiiif,"axG",@progbits,_ZN5aiter28grouped_topk_opt_sort_kernelIN3c108BFloat16EDv1_fLi2ELb0ELb1ELb0EEEvPT_PKS4_PfPimiiiif,comdat
.Lfunc_end255:
	.size	_ZN5aiter28grouped_topk_opt_sort_kernelIN3c108BFloat16EDv1_fLi2ELb0ELb1ELb0EEEvPT_PKS4_PfPimiiiif, .Lfunc_end255-_ZN5aiter28grouped_topk_opt_sort_kernelIN3c108BFloat16EDv1_fLi2ELb0ELb1ELb0EEEvPT_PKS4_PfPimiiiif
                                        ; -- End function
	.section	.AMDGPU.csdata,"",@progbits
; Kernel info:
; codeLenInByte = 460
; NumSgprs: 13
; NumVgprs: 10
; NumAgprs: 0
; TotalNumVgprs: 10
; ScratchSize: 0
; MemoryBound: 0
; FloatMode: 240
; IeeeMode: 1
; LDSByteSize: 0 bytes/workgroup (compile time only)
; SGPRBlocks: 1
; VGPRBlocks: 1
; NumSGPRsForWavesPerEU: 13
; NumVGPRsForWavesPerEU: 10
; AccumOffset: 12
; Occupancy: 8
; WaveLimiterHint : 0
; COMPUTE_PGM_RSRC2:SCRATCH_EN: 0
; COMPUTE_PGM_RSRC2:USER_SGPR: 6
; COMPUTE_PGM_RSRC2:TRAP_HANDLER: 0
; COMPUTE_PGM_RSRC2:TGID_X_EN: 1
; COMPUTE_PGM_RSRC2:TGID_Y_EN: 0
; COMPUTE_PGM_RSRC2:TGID_Z_EN: 0
; COMPUTE_PGM_RSRC2:TIDIG_COMP_CNT: 0
; COMPUTE_PGM_RSRC3_GFX90A:ACCUM_OFFSET: 2
; COMPUTE_PGM_RSRC3_GFX90A:TG_SPLIT: 0
	.section	.text._ZN5aiter19grouped_topk_kernelIfDv1_fLi2ELb0ELb1ELb0EEEvPT_PKS2_PfPimiiiif,"axG",@progbits,_ZN5aiter19grouped_topk_kernelIfDv1_fLi2ELb0ELb1ELb0EEEvPT_PKS2_PfPimiiiif,comdat
	.protected	_ZN5aiter19grouped_topk_kernelIfDv1_fLi2ELb0ELb1ELb0EEEvPT_PKS2_PfPimiiiif ; -- Begin function _ZN5aiter19grouped_topk_kernelIfDv1_fLi2ELb0ELb1ELb0EEEvPT_PKS2_PfPimiiiif
	.globl	_ZN5aiter19grouped_topk_kernelIfDv1_fLi2ELb0ELb1ELb0EEEvPT_PKS2_PfPimiiiif
	.p2align	8
	.type	_ZN5aiter19grouped_topk_kernelIfDv1_fLi2ELb0ELb1ELb0EEEvPT_PKS2_PfPimiiiif,@function
_ZN5aiter19grouped_topk_kernelIfDv1_fLi2ELb0ELb1ELb0EEEvPT_PKS2_PfPimiiiif: ; @_ZN5aiter19grouped_topk_kernelIfDv1_fLi2ELb0ELb1ELb0EEEvPT_PKS2_PfPimiiiif
; %bb.0:
	s_load_dwordx4 s[12:15], s[4:5], 0x28
	s_load_dwordx4 s[16:19], s[4:5], 0x8
	s_load_dwordx2 s[10:11], s[4:5], 0x18
	v_lshl_add_u32 v1, v0, 2, 0
	s_waitcnt lgkmcnt(0)
	v_cmp_gt_i32_e64 s[0:1], s12, v0
	s_and_saveexec_b64 s[2:3], s[0:1]
	s_cbranch_execz .LBB256_3
; %bb.1:
	s_load_dwordx2 s[8:9], s[4:5], 0x0
	s_load_dword s15, s[4:5], 0x4c
	s_mul_i32 s20, s6, s12
	s_ashr_i32 s21, s20, 31
	s_lshl_b64 s[20:21], s[20:21], 2
	s_waitcnt lgkmcnt(0)
	s_add_u32 s7, s8, s20
	s_addc_u32 s21, s9, s21
	s_and_b32 s15, s15, 0xffff
	v_lshl_add_u32 v4, v0, 2, 0
	s_lshl_b32 s20, s15, 2
	s_mov_b64 s[8:9], 0
	v_mov_b32_e32 v5, s21
	v_mov_b32_e32 v6, s17
	s_mov_b32 s21, 0xbfb8aa3b
	s_mov_b32 s22, 0x42ce8ed0
	;; [unrolled: 1-line block ×3, first 2 shown]
	v_mov_b32_e32 v7, 0x7f800000
	v_mov_b32_e32 v2, v0
.LBB256_2:                              ; =>This Inner Loop Header: Depth=1
	v_ashrrev_i32_e32 v3, 31, v2
	v_lshlrev_b64 v[8:9], 2, v[2:3]
	v_add_co_u32_e32 v10, vcc, s7, v8
	v_addc_co_u32_e32 v11, vcc, v5, v9, vcc
	global_load_dword v3, v[10:11], off
	v_add_co_u32_e32 v8, vcc, s16, v8
	v_addc_co_u32_e32 v9, vcc, v6, v9, vcc
	global_load_dword v8, v[8:9], off
	v_add_u32_e32 v2, s15, v2
	v_cmp_le_i32_e32 vcc, s12, v2
	s_or_b64 s[8:9], vcc, s[8:9]
	s_waitcnt vmcnt(1)
	v_mul_f32_e32 v9, 0xbfb8aa3b, v3
	v_fma_f32 v10, v3, s21, -v9
	v_rndne_f32_e32 v11, v9
	v_fmac_f32_e32 v10, 0xb2a5705f, v3
	v_sub_f32_e32 v9, v9, v11
	v_add_f32_e32 v9, v9, v10
	v_cvt_i32_f32_e32 v11, v11
	v_exp_f32_e32 v9, v9
	v_cmp_nlt_f32_e32 vcc, s22, v3
	v_ldexp_f32 v9, v9, v11
	v_cndmask_b32_e32 v9, 0, v9, vcc
	v_cmp_ngt_f32_e32 vcc, s23, v3
	v_cndmask_b32_e32 v3, v7, v9, vcc
	v_add_f32_e32 v3, 1.0, v3
	v_div_scale_f32 v9, s[24:25], v3, v3, 1.0
	v_rcp_f32_e32 v10, v9
	v_div_scale_f32 v11, vcc, 1.0, v3, 1.0
	v_fma_f32 v12, -v9, v10, 1.0
	v_fmac_f32_e32 v10, v12, v10
	v_mul_f32_e32 v12, v11, v10
	v_fma_f32 v13, -v9, v12, v11
	v_fmac_f32_e32 v12, v13, v10
	v_fma_f32 v9, -v9, v12, v11
	v_div_fmas_f32 v9, v9, v10, v12
	v_div_fixup_f32 v3, v9, v3, 1.0
	s_waitcnt vmcnt(0)
	v_add_f32_e32 v3, v8, v3
	ds_write_b32 v4, v3
	v_add_u32_e32 v4, s20, v4
	s_andn2_b64 exec, exec, s[8:9]
	s_cbranch_execnz .LBB256_2
.LBB256_3:
	s_or_b64 exec, exec, s[2:3]
	s_lshr_b32 s2, s12, 31
	s_add_i32 s2, s12, s2
	s_ashr_i32 s15, s2, 1
	s_lshl_b32 s2, s12, 2
	s_add_i32 s7, s2, 0
	v_cmp_gt_u32_e32 vcc, 64, v0
	s_waitcnt lgkmcnt(0)
	s_barrier
	s_and_saveexec_b64 s[20:21], vcc
	s_cbranch_execz .LBB256_12
; %bb.4:
	s_load_dword s8, s[4:5], 0x4c
	v_lshrrev_b32_e32 v3, 5, v0
	v_and_b32_e32 v2, 31, v0
	v_mul_lo_u32 v4, s15, v3
	v_lshlrev_b32_e32 v4, 2, v4
	s_waitcnt lgkmcnt(0)
	s_bfe_u32 s28, s8, 0xb0005
	v_lshlrev_b32_e32 v5, 2, v2
	s_mul_i32 s8, s15, s28
	v_cmp_gt_i32_e32 vcc, s15, v2
	v_cmp_eq_u32_e64 s[2:3], 0, v2
	v_add3_u32 v4, v4, v5, 0
	s_lshl_b32 s29, s8, 2
	s_mov_b64 s[22:23], 0
	s_branch .LBB256_6
.LBB256_5:                              ;   in Loop: Header=BB256_6 Depth=1
	s_or_b64 exec, exec, s[8:9]
	v_add_u32_e32 v3, s28, v3
	v_cmp_lt_u32_e64 s[8:9], 1, v3
	s_or_b64 s[22:23], s[8:9], s[22:23]
	v_add_u32_e32 v4, s29, v4
	s_andn2_b64 exec, exec, s[22:23]
	s_cbranch_execz .LBB256_12
.LBB256_6:                              ; =>This Loop Header: Depth=1
                                        ;     Child Loop BB256_8 Depth 2
	v_mov_b32_e32 v5, 0xff800000
	v_mov_b32_e32 v6, 0xff800000
	s_and_saveexec_b64 s[24:25], vcc
	s_cbranch_execz .LBB256_10
; %bb.7:                                ;   in Loop: Header=BB256_6 Depth=1
	s_mov_b64 s[26:27], 0
	v_mov_b32_e32 v5, 0xff800000
	v_mov_b32_e32 v7, v4
	;; [unrolled: 1-line block ×4, first 2 shown]
.LBB256_8:                              ;   Parent Loop BB256_6 Depth=1
                                        ; =>  This Inner Loop Header: Depth=2
	ds_read_b32 v9, v7
	v_add_u32_e32 v8, 32, v8
	v_max_f32_e32 v6, v6, v6
	v_cmp_le_i32_e64 s[8:9], s15, v8
	v_max_f32_e32 v10, v5, v5
	s_waitcnt lgkmcnt(0)
	v_max_f32_e32 v11, v9, v9
	s_or_b64 s[26:27], s[8:9], s[26:27]
	v_max_f32_e32 v6, v11, v6
	v_cmp_gt_f32_e64 s[8:9], v9, v5
	v_add_u32_e32 v7, 0x80, v7
	v_cndmask_b32_e64 v6, v6, v5, s[8:9]
	v_max_f32_e32 v5, v11, v10
	s_andn2_b64 exec, exec, s[26:27]
	s_cbranch_execnz .LBB256_8
; %bb.9:                                ;   in Loop: Header=BB256_6 Depth=1
	s_or_b64 exec, exec, s[26:27]
.LBB256_10:                             ;   in Loop: Header=BB256_6 Depth=1
	s_or_b64 exec, exec, s[24:25]
	s_and_saveexec_b64 s[8:9], s[2:3]
	s_cbranch_execz .LBB256_5
; %bb.11:                               ;   in Loop: Header=BB256_6 Depth=1
	v_lshl_add_u32 v7, v3, 2, s7
	v_add_f32_e32 v5, v6, v5
	ds_write_b32 v7, v5
	s_branch .LBB256_5
.LBB256_12:
	s_or_b64 exec, exec, s[20:21]
	s_cmp_lt_i32 s14, 1
	s_waitcnt lgkmcnt(0)
	s_barrier
	s_cbranch_scc1 .LBB256_15
; %bb.13:
	v_mov_b32_e32 v2, s7
	s_mov_b32 s2, 0xff800000
	v_mov_b32_e32 v3, 0xff800000
.LBB256_14:                             ; =>This Inner Loop Header: Depth=1
	ds_read2_b32 v[4:5], v2 offset1:1
	s_add_i32 s14, s14, -1
	s_cmp_lg_u32 s14, 0
	s_waitcnt lgkmcnt(0)
	v_cmp_nlg_f32_e32 vcc, s2, v4
	v_cndmask_b32_e64 v6, 0, 1, vcc
	v_cmp_lg_f32_e32 vcc, s2, v4
	v_cndmask_b32_e32 v4, v3, v4, vcc
	v_lshlrev_b32_e32 v6, 1, v6
	v_cmp_ngt_f32_e32 vcc, v5, v4
	v_cndmask_b32_e32 v4, 1, v6, vcc
	v_lshlrev_b32_e32 v4, 2, v4
	v_add_u32_e32 v4, s7, v4
	ds_write_b32 v4, v3
	s_cbranch_scc1 .LBB256_14
.LBB256_15:
	s_and_saveexec_b64 s[2:3], s[0:1]
	s_cbranch_execz .LBB256_20
; %bb.16:
	s_abs_i32 s20, s15
	v_cvt_f32_u32_e32 v3, s20
	s_load_dword s14, s[4:5], 0x4c
	s_ashr_i32 s21, s15, 31
	s_sub_i32 s15, 0, s20
	v_rcp_iflag_f32_e32 v4, v3
	v_lshl_add_u32 v2, v0, 2, 0
	s_waitcnt lgkmcnt(0)
	s_and_b32 s23, s14, 0xffff
	s_mov_b64 s[8:9], 0
	v_mul_f32_e32 v4, 0x4f7ffffe, v4
	v_cvt_u32_f32_e32 v4, v4
	s_mov_b32 s22, 0xff800000
	v_mov_b32_e32 v3, 0xff800000
	s_lshl_b32 s24, s23, 2
	v_mul_lo_u32 v5, s15, v4
	v_mul_hi_u32 v5, v4, v5
	v_add_u32_e32 v4, v4, v5
	v_mov_b32_e32 v5, v0
	s_branch .LBB256_18
.LBB256_17:                             ;   in Loop: Header=BB256_18 Depth=1
	s_or_b64 exec, exec, s[14:15]
	v_add_u32_e32 v5, s23, v5
	v_cmp_le_i32_e32 vcc, s12, v5
	s_or_b64 s[8:9], vcc, s[8:9]
	v_add_u32_e32 v2, s24, v2
	s_andn2_b64 exec, exec, s[8:9]
	s_cbranch_execz .LBB256_20
.LBB256_18:                             ; =>This Inner Loop Header: Depth=1
	v_sub_u32_e32 v7, 0, v5
	v_max_i32_e32 v7, v5, v7
	v_mul_hi_u32 v8, v7, v4
	v_mul_lo_u32 v9, v8, s20
	v_sub_u32_e32 v7, v7, v9
	v_add_u32_e32 v9, 1, v8
	v_cmp_le_u32_e32 vcc, s20, v7
	v_cndmask_b32_e32 v8, v8, v9, vcc
	v_subrev_u32_e32 v9, s20, v7
	v_cndmask_b32_e32 v7, v7, v9, vcc
	v_ashrrev_i32_e32 v6, 31, v5
	v_add_u32_e32 v9, 1, v8
	v_cmp_le_u32_e32 vcc, s20, v7
	v_xor_b32_e32 v6, s21, v6
	v_cndmask_b32_e32 v7, v8, v9, vcc
	v_xor_b32_e32 v7, v7, v6
	v_sub_u32_e32 v6, v7, v6
	v_lshl_add_u32 v6, v6, 2, s7
	ds_read_b32 v6, v6
	s_waitcnt lgkmcnt(0)
	v_cmp_neq_f32_e32 vcc, s22, v6
	s_and_saveexec_b64 s[14:15], vcc
	s_cbranch_execz .LBB256_17
; %bb.19:                               ;   in Loop: Header=BB256_18 Depth=1
	ds_write_b32 v2, v3
	s_branch .LBB256_17
.LBB256_20:
	s_or_b64 exec, exec, s[2:3]
	s_cmp_lt_i32 s13, 1
	s_waitcnt lgkmcnt(0)
	s_barrier
	s_cbranch_scc1 .LBB256_27
; %bb.21:
	s_add_u32 s2, s4, 64
	s_addc_u32 s3, s5, 0
	s_mov_b32 s7, 0
	v_mov_b32_e32 v4, 0xff800000
                                        ; implicit-def: $vgpr3
                                        ; implicit-def: $vgpr2
	s_branch .LBB256_23
.LBB256_22:                             ;   in Loop: Header=BB256_23 Depth=1
	s_or_b64 exec, exec, s[8:9]
	v_mov_b32_dpp v8, v6 quad_perm:[1,0,3,2] row_mask:0xf bank_mask:0xf
	v_cmp_lt_f32_e32 vcc, v6, v8
	v_cndmask_b32_e32 v6, v6, v8, vcc
	v_mov_b32_dpp v7, v5 quad_perm:[1,0,3,2] row_mask:0xf bank_mask:0xf
	v_cndmask_b32_e32 v5, v5, v7, vcc
	v_mov_b32_dpp v8, v6 quad_perm:[2,3,0,1] row_mask:0xf bank_mask:0xf
	v_cmp_gt_f32_e32 vcc, v8, v6
	v_cndmask_b32_e32 v6, v6, v8, vcc
	v_mov_b32_dpp v7, v5 quad_perm:[2,3,0,1] row_mask:0xf bank_mask:0xf
	v_cndmask_b32_e32 v5, v5, v7, vcc
	v_mov_b32_dpp v8, v6 row_half_mirror row_mask:0xf bank_mask:0xf
	v_cmp_gt_f32_e32 vcc, v8, v6
	v_cndmask_b32_e32 v6, v6, v8, vcc
	v_mov_b32_dpp v7, v5 row_half_mirror row_mask:0xf bank_mask:0xf
	v_cndmask_b32_e32 v5, v5, v7, vcc
	v_mov_b32_dpp v8, v6 row_mirror row_mask:0xf bank_mask:0xf
	v_cmp_gt_f32_e32 vcc, v8, v6
	v_cndmask_b32_e32 v6, v6, v8, vcc
	v_mov_b32_dpp v7, v5 row_mirror row_mask:0xf bank_mask:0xf
	v_cndmask_b32_e32 v5, v5, v7, vcc
	v_mov_b32_dpp v8, v6 row_bcast:15 row_mask:0xf bank_mask:0xf
	v_cmp_gt_f32_e32 vcc, v8, v6
	v_mov_b32_dpp v7, v5 row_bcast:15 row_mask:0xf bank_mask:0xf
	v_cndmask_b32_e32 v6, v6, v8, vcc
	v_cndmask_b32_e32 v5, v5, v7, vcc
	s_nop 0
	v_mov_b32_dpp v8, v6 row_bcast:31 row_mask:0xf bank_mask:0xf
	v_mov_b32_dpp v7, v5 row_bcast:31 row_mask:0xf bank_mask:0xf
	v_cmp_gt_f32_e32 vcc, v8, v6
	v_cndmask_b32_e32 v5, v5, v7, vcc
	v_readlane_b32 s8, v5, 63
	s_ashr_i32 s9, s8, 31
	s_lshl_b64 s[14:15], s[8:9], 2
	s_add_u32 s14, s16, s14
	s_addc_u32 s15, s17, s15
	s_load_dword s9, s[14:15], 0x0
	v_cndmask_b32_e32 v5, v6, v8, vcc
	v_readlane_b32 s14, v5, 63
	v_cmp_eq_u32_e32 vcc, s7, v0
	s_add_i32 s7, s7, 1
	s_waitcnt lgkmcnt(0)
	v_mov_b32_e32 v5, s9
	s_lshl_b32 s9, s8, 2
	s_add_i32 s9, s9, 0
	v_mov_b32_e32 v6, s9
	v_sub_f32_e32 v5, s14, v5
	ds_write_b32 v6, v4
	v_mov_b32_e32 v6, s8
	v_cndmask_b32_e32 v2, v2, v6, vcc
	s_cmp_eq_u32 s7, s13
	v_cndmask_b32_e32 v3, v3, v5, vcc
	s_cbranch_scc1 .LBB256_28
.LBB256_23:                             ; =>This Loop Header: Depth=1
                                        ;     Child Loop BB256_25 Depth 2
	v_mov_b32_e32 v5, s7
	v_mov_b32_e32 v6, 0xff800000
	s_and_saveexec_b64 s[8:9], s[0:1]
	s_cbranch_execz .LBB256_22
; %bb.24:                               ;   in Loop: Header=BB256_23 Depth=1
	s_load_dword s20, s[2:3], 0xc
	s_mov_b64 s[14:15], 0
	v_mov_b32_e32 v5, s7
	v_mov_b32_e32 v6, 0xff800000
	;; [unrolled: 1-line block ×3, first 2 shown]
	s_waitcnt lgkmcnt(0)
	s_and_b32 s20, s20, 0xffff
	s_lshl_b32 s21, s20, 2
	v_mov_b32_e32 v8, v0
.LBB256_25:                             ;   Parent Loop BB256_23 Depth=1
                                        ; =>  This Inner Loop Header: Depth=2
	ds_read_b32 v9, v7
	v_add_u32_e32 v7, s21, v7
	s_waitcnt lgkmcnt(0)
	v_cmp_gt_f32_e32 vcc, v9, v6
	v_cndmask_b32_e32 v5, v5, v8, vcc
	v_add_u32_e32 v8, s20, v8
	v_cndmask_b32_e32 v6, v6, v9, vcc
	v_cmp_le_i32_e32 vcc, s12, v8
	s_or_b64 s[14:15], vcc, s[14:15]
	s_andn2_b64 exec, exec, s[14:15]
	s_cbranch_execnz .LBB256_25
; %bb.26:                               ;   in Loop: Header=BB256_23 Depth=1
	s_or_b64 exec, exec, s[14:15]
	s_branch .LBB256_22
.LBB256_27:
                                        ; implicit-def: $vgpr3
                                        ; implicit-def: $vgpr2
.LBB256_28:
	v_cmp_gt_i32_e32 vcc, s13, v0
	s_and_saveexec_b64 s[0:1], vcc
	s_cbranch_execz .LBB256_31
; %bb.29:
	s_load_dword s2, s[4:5], 0x38
	s_load_dwordx2 s[0:1], s[4:5], 0x20
	s_ashr_i32 s3, s6, 31
	s_load_dword s4, s[4:5], 0x4c
	v_mov_b32_e32 v4, s19
	s_waitcnt lgkmcnt(0)
	v_mul_f32_e32 v1, s2, v3
	s_mul_i32 s1, s6, s1
	s_mul_hi_u32 s2, s6, s0
	s_add_i32 s1, s2, s1
	s_mul_i32 s3, s3, s0
	s_add_i32 s5, s1, s3
	s_mul_i32 s2, s6, s0
	s_and_b32 s3, s4, 0xffff
	s_mov_b64 s[0:1], 0
	v_mov_b32_e32 v3, s5
	v_mov_b32_e32 v5, s11
.LBB256_30:                             ; =>This Inner Loop Header: Depth=1
	v_ashrrev_i32_e32 v7, 31, v0
	v_add_co_u32_e32 v6, vcc, s2, v0
	v_addc_co_u32_e32 v7, vcc, v3, v7, vcc
	v_add_u32_e32 v0, s3, v0
	v_cmp_le_i32_e32 vcc, s13, v0
	v_lshlrev_b64 v[6:7], 2, v[6:7]
	s_or_b64 s[0:1], vcc, s[0:1]
	v_add_co_u32_e32 v8, vcc, s18, v6
	v_addc_co_u32_e32 v9, vcc, v4, v7, vcc
	v_add_co_u32_e32 v6, vcc, s10, v6
	v_addc_co_u32_e32 v7, vcc, v5, v7, vcc
	global_store_dword v[8:9], v1, off
	global_store_dword v[6:7], v2, off
	s_andn2_b64 exec, exec, s[0:1]
	s_cbranch_execnz .LBB256_30
.LBB256_31:
	s_endpgm
	.section	.rodata,"a",@progbits
	.p2align	6, 0x0
	.amdhsa_kernel _ZN5aiter19grouped_topk_kernelIfDv1_fLi2ELb0ELb1ELb0EEEvPT_PKS2_PfPimiiiif
		.amdhsa_group_segment_fixed_size 0
		.amdhsa_private_segment_fixed_size 0
		.amdhsa_kernarg_size 320
		.amdhsa_user_sgpr_count 6
		.amdhsa_user_sgpr_private_segment_buffer 1
		.amdhsa_user_sgpr_dispatch_ptr 0
		.amdhsa_user_sgpr_queue_ptr 0
		.amdhsa_user_sgpr_kernarg_segment_ptr 1
		.amdhsa_user_sgpr_dispatch_id 0
		.amdhsa_user_sgpr_flat_scratch_init 0
		.amdhsa_user_sgpr_kernarg_preload_length 0
		.amdhsa_user_sgpr_kernarg_preload_offset 0
		.amdhsa_user_sgpr_private_segment_size 0
		.amdhsa_uses_dynamic_stack 0
		.amdhsa_system_sgpr_private_segment_wavefront_offset 0
		.amdhsa_system_sgpr_workgroup_id_x 1
		.amdhsa_system_sgpr_workgroup_id_y 0
		.amdhsa_system_sgpr_workgroup_id_z 0
		.amdhsa_system_sgpr_workgroup_info 0
		.amdhsa_system_vgpr_workitem_id 0
		.amdhsa_next_free_vgpr 14
		.amdhsa_next_free_sgpr 30
		.amdhsa_accum_offset 16
		.amdhsa_reserve_vcc 1
		.amdhsa_reserve_flat_scratch 0
		.amdhsa_float_round_mode_32 0
		.amdhsa_float_round_mode_16_64 0
		.amdhsa_float_denorm_mode_32 3
		.amdhsa_float_denorm_mode_16_64 3
		.amdhsa_dx10_clamp 1
		.amdhsa_ieee_mode 1
		.amdhsa_fp16_overflow 0
		.amdhsa_tg_split 0
		.amdhsa_exception_fp_ieee_invalid_op 0
		.amdhsa_exception_fp_denorm_src 0
		.amdhsa_exception_fp_ieee_div_zero 0
		.amdhsa_exception_fp_ieee_overflow 0
		.amdhsa_exception_fp_ieee_underflow 0
		.amdhsa_exception_fp_ieee_inexact 0
		.amdhsa_exception_int_div_zero 0
	.end_amdhsa_kernel
	.section	.text._ZN5aiter19grouped_topk_kernelIfDv1_fLi2ELb0ELb1ELb0EEEvPT_PKS2_PfPimiiiif,"axG",@progbits,_ZN5aiter19grouped_topk_kernelIfDv1_fLi2ELb0ELb1ELb0EEEvPT_PKS2_PfPimiiiif,comdat
.Lfunc_end256:
	.size	_ZN5aiter19grouped_topk_kernelIfDv1_fLi2ELb0ELb1ELb0EEEvPT_PKS2_PfPimiiiif, .Lfunc_end256-_ZN5aiter19grouped_topk_kernelIfDv1_fLi2ELb0ELb1ELb0EEEvPT_PKS2_PfPimiiiif
                                        ; -- End function
	.section	.AMDGPU.csdata,"",@progbits
; Kernel info:
; codeLenInByte = 1716
; NumSgprs: 34
; NumVgprs: 14
; NumAgprs: 0
; TotalNumVgprs: 14
; ScratchSize: 0
; MemoryBound: 0
; FloatMode: 240
; IeeeMode: 1
; LDSByteSize: 0 bytes/workgroup (compile time only)
; SGPRBlocks: 4
; VGPRBlocks: 1
; NumSGPRsForWavesPerEU: 34
; NumVGPRsForWavesPerEU: 14
; AccumOffset: 16
; Occupancy: 8
; WaveLimiterHint : 0
; COMPUTE_PGM_RSRC2:SCRATCH_EN: 0
; COMPUTE_PGM_RSRC2:USER_SGPR: 6
; COMPUTE_PGM_RSRC2:TRAP_HANDLER: 0
; COMPUTE_PGM_RSRC2:TGID_X_EN: 1
; COMPUTE_PGM_RSRC2:TGID_Y_EN: 0
; COMPUTE_PGM_RSRC2:TGID_Z_EN: 0
; COMPUTE_PGM_RSRC2:TIDIG_COMP_CNT: 0
; COMPUTE_PGM_RSRC3_GFX90A:ACCUM_OFFSET: 3
; COMPUTE_PGM_RSRC3_GFX90A:TG_SPLIT: 0
	.section	.text._ZN5aiter19grouped_topk_kernelIN3c104HalfEDv1_fLi2ELb0ELb1ELb0EEEvPT_PKS4_PfPimiiiif,"axG",@progbits,_ZN5aiter19grouped_topk_kernelIN3c104HalfEDv1_fLi2ELb0ELb1ELb0EEEvPT_PKS4_PfPimiiiif,comdat
	.protected	_ZN5aiter19grouped_topk_kernelIN3c104HalfEDv1_fLi2ELb0ELb1ELb0EEEvPT_PKS4_PfPimiiiif ; -- Begin function _ZN5aiter19grouped_topk_kernelIN3c104HalfEDv1_fLi2ELb0ELb1ELb0EEEvPT_PKS4_PfPimiiiif
	.globl	_ZN5aiter19grouped_topk_kernelIN3c104HalfEDv1_fLi2ELb0ELb1ELb0EEEvPT_PKS4_PfPimiiiif
	.p2align	8
	.type	_ZN5aiter19grouped_topk_kernelIN3c104HalfEDv1_fLi2ELb0ELb1ELb0EEEvPT_PKS4_PfPimiiiif,@function
_ZN5aiter19grouped_topk_kernelIN3c104HalfEDv1_fLi2ELb0ELb1ELb0EEEvPT_PKS4_PfPimiiiif: ; @_ZN5aiter19grouped_topk_kernelIN3c104HalfEDv1_fLi2ELb0ELb1ELb0EEEvPT_PKS4_PfPimiiiif
; %bb.0:
	s_load_dwordx4 s[12:15], s[4:5], 0x28
	s_load_dwordx4 s[16:19], s[4:5], 0x8
	s_load_dwordx2 s[10:11], s[4:5], 0x18
	v_lshl_add_u32 v1, v0, 2, 0
	s_waitcnt lgkmcnt(0)
	v_cmp_gt_i32_e64 s[0:1], s12, v0
	s_and_saveexec_b64 s[2:3], s[0:1]
	s_cbranch_execz .LBB257_3
; %bb.1:
	s_load_dwordx2 s[8:9], s[4:5], 0x0
	s_load_dword s15, s[4:5], 0x4c
	s_mul_i32 s20, s6, s12
	s_ashr_i32 s21, s20, 31
	s_lshl_b64 s[20:21], s[20:21], 1
	s_waitcnt lgkmcnt(0)
	s_add_u32 s7, s8, s20
	s_addc_u32 s21, s9, s21
	s_and_b32 s15, s15, 0xffff
	v_lshl_add_u32 v4, v0, 2, 0
	s_lshl_b32 s20, s15, 2
	s_mov_b64 s[8:9], 0
	v_mov_b32_e32 v5, s21
	v_mov_b32_e32 v6, s17
	s_mov_b32 s21, 0x3fb8aa3b
	s_mov_b32 s22, 0x32a5705f
	s_mov_b32 s23, 0xc2ce8ed0
	s_mov_b32 s24, 0x42b17218
	v_mov_b32_e32 v7, 0x7f800000
	v_mov_b32_e32 v2, v0
.LBB257_2:                              ; =>This Inner Loop Header: Depth=1
	v_ashrrev_i32_e32 v3, 31, v2
	v_lshlrev_b64 v[8:9], 1, v[2:3]
	v_add_co_u32_e32 v10, vcc, s7, v8
	v_addc_co_u32_e32 v11, vcc, v5, v9, vcc
	v_add_co_u32_e32 v8, vcc, s16, v8
	v_addc_co_u32_e32 v9, vcc, v6, v9, vcc
	global_load_ushort v3, v[10:11], off
	global_load_ushort v12, v[8:9], off
	v_add_u32_e32 v2, s15, v2
	v_cmp_le_i32_e32 vcc, s12, v2
	s_or_b64 s[8:9], vcc, s[8:9]
	s_waitcnt vmcnt(1)
	v_cvt_f32_f16_e64 v8, -v3
	s_waitcnt vmcnt(0)
	v_cvt_f32_f16_e32 v9, v12
	v_mul_f32_e32 v10, 0x3fb8aa3b, v8
	v_fma_mix_f32 v11, -v3, s21, -v10 op_sel_hi:[1,0,0]
	v_rndne_f32_e32 v12, v10
	v_fma_mix_f32 v3, -v3, s22, v11 op_sel_hi:[1,0,0]
	v_sub_f32_e32 v10, v10, v12
	v_add_f32_e32 v3, v10, v3
	v_cvt_i32_f32_e32 v11, v12
	v_exp_f32_e32 v3, v3
	v_cmp_ngt_f32_e32 vcc, s23, v8
	v_ldexp_f32 v3, v3, v11
	v_cndmask_b32_e32 v3, 0, v3, vcc
	v_cmp_nlt_f32_e32 vcc, s24, v8
	v_cndmask_b32_e32 v3, v7, v3, vcc
	v_add_f32_e32 v3, 1.0, v3
	v_div_scale_f32 v8, s[26:27], v3, v3, 1.0
	v_rcp_f32_e32 v10, v8
	v_div_scale_f32 v11, vcc, 1.0, v3, 1.0
	v_fma_f32 v12, -v8, v10, 1.0
	v_fmac_f32_e32 v10, v12, v10
	v_mul_f32_e32 v12, v11, v10
	v_fma_f32 v13, -v8, v12, v11
	v_fmac_f32_e32 v12, v13, v10
	v_fma_f32 v8, -v8, v12, v11
	v_div_fmas_f32 v8, v8, v10, v12
	v_div_fixup_f32 v3, v8, v3, 1.0
	v_add_f32_e32 v3, v3, v9
	ds_write_b32 v4, v3
	v_add_u32_e32 v4, s20, v4
	s_andn2_b64 exec, exec, s[8:9]
	s_cbranch_execnz .LBB257_2
.LBB257_3:
	s_or_b64 exec, exec, s[2:3]
	s_lshr_b32 s2, s12, 31
	s_add_i32 s2, s12, s2
	s_ashr_i32 s15, s2, 1
	s_lshl_b32 s2, s12, 2
	s_add_i32 s7, s2, 0
	v_cmp_gt_u32_e32 vcc, 64, v0
	s_waitcnt lgkmcnt(0)
	s_barrier
	s_and_saveexec_b64 s[20:21], vcc
	s_cbranch_execz .LBB257_12
; %bb.4:
	s_load_dword s8, s[4:5], 0x4c
	v_lshrrev_b32_e32 v3, 5, v0
	v_and_b32_e32 v2, 31, v0
	v_mul_lo_u32 v4, s15, v3
	v_lshlrev_b32_e32 v4, 2, v4
	s_waitcnt lgkmcnt(0)
	s_bfe_u32 s28, s8, 0xb0005
	v_lshlrev_b32_e32 v5, 2, v2
	s_mul_i32 s8, s15, s28
	v_cmp_gt_i32_e32 vcc, s15, v2
	v_cmp_eq_u32_e64 s[2:3], 0, v2
	v_add3_u32 v4, v4, v5, 0
	s_lshl_b32 s29, s8, 2
	s_mov_b64 s[22:23], 0
	s_branch .LBB257_6
.LBB257_5:                              ;   in Loop: Header=BB257_6 Depth=1
	s_or_b64 exec, exec, s[8:9]
	v_add_u32_e32 v3, s28, v3
	v_cmp_lt_u32_e64 s[8:9], 1, v3
	s_or_b64 s[22:23], s[8:9], s[22:23]
	v_add_u32_e32 v4, s29, v4
	s_andn2_b64 exec, exec, s[22:23]
	s_cbranch_execz .LBB257_12
.LBB257_6:                              ; =>This Loop Header: Depth=1
                                        ;     Child Loop BB257_8 Depth 2
	v_mov_b32_e32 v5, 0xff800000
	v_mov_b32_e32 v6, 0xff800000
	s_and_saveexec_b64 s[24:25], vcc
	s_cbranch_execz .LBB257_10
; %bb.7:                                ;   in Loop: Header=BB257_6 Depth=1
	s_mov_b64 s[26:27], 0
	v_mov_b32_e32 v5, 0xff800000
	v_mov_b32_e32 v7, v4
	;; [unrolled: 1-line block ×4, first 2 shown]
.LBB257_8:                              ;   Parent Loop BB257_6 Depth=1
                                        ; =>  This Inner Loop Header: Depth=2
	ds_read_b32 v9, v7
	v_add_u32_e32 v8, 32, v8
	v_max_f32_e32 v6, v6, v6
	v_cmp_le_i32_e64 s[8:9], s15, v8
	v_max_f32_e32 v10, v5, v5
	s_waitcnt lgkmcnt(0)
	v_max_f32_e32 v11, v9, v9
	s_or_b64 s[26:27], s[8:9], s[26:27]
	v_max_f32_e32 v6, v11, v6
	v_cmp_gt_f32_e64 s[8:9], v9, v5
	v_add_u32_e32 v7, 0x80, v7
	v_cndmask_b32_e64 v6, v6, v5, s[8:9]
	v_max_f32_e32 v5, v11, v10
	s_andn2_b64 exec, exec, s[26:27]
	s_cbranch_execnz .LBB257_8
; %bb.9:                                ;   in Loop: Header=BB257_6 Depth=1
	s_or_b64 exec, exec, s[26:27]
.LBB257_10:                             ;   in Loop: Header=BB257_6 Depth=1
	s_or_b64 exec, exec, s[24:25]
	s_and_saveexec_b64 s[8:9], s[2:3]
	s_cbranch_execz .LBB257_5
; %bb.11:                               ;   in Loop: Header=BB257_6 Depth=1
	v_lshl_add_u32 v7, v3, 2, s7
	v_add_f32_e32 v5, v6, v5
	ds_write_b32 v7, v5
	s_branch .LBB257_5
.LBB257_12:
	s_or_b64 exec, exec, s[20:21]
	s_cmp_lt_i32 s14, 1
	s_waitcnt lgkmcnt(0)
	s_barrier
	s_cbranch_scc1 .LBB257_15
; %bb.13:
	v_mov_b32_e32 v2, s7
	s_mov_b32 s2, 0xff800000
	v_mov_b32_e32 v3, 0xff800000
.LBB257_14:                             ; =>This Inner Loop Header: Depth=1
	ds_read2_b32 v[4:5], v2 offset1:1
	s_add_i32 s14, s14, -1
	s_cmp_lg_u32 s14, 0
	s_waitcnt lgkmcnt(0)
	v_cmp_nlg_f32_e32 vcc, s2, v4
	v_cndmask_b32_e64 v6, 0, 1, vcc
	v_cmp_lg_f32_e32 vcc, s2, v4
	v_cndmask_b32_e32 v4, v3, v4, vcc
	v_lshlrev_b32_e32 v6, 1, v6
	v_cmp_ngt_f32_e32 vcc, v5, v4
	v_cndmask_b32_e32 v4, 1, v6, vcc
	v_lshlrev_b32_e32 v4, 2, v4
	v_add_u32_e32 v4, s7, v4
	ds_write_b32 v4, v3
	s_cbranch_scc1 .LBB257_14
.LBB257_15:
	s_and_saveexec_b64 s[2:3], s[0:1]
	s_cbranch_execz .LBB257_20
; %bb.16:
	s_abs_i32 s20, s15
	v_cvt_f32_u32_e32 v3, s20
	s_load_dword s14, s[4:5], 0x4c
	s_ashr_i32 s21, s15, 31
	s_sub_i32 s15, 0, s20
	v_rcp_iflag_f32_e32 v4, v3
	v_lshl_add_u32 v2, v0, 2, 0
	s_waitcnt lgkmcnt(0)
	s_and_b32 s23, s14, 0xffff
	s_mov_b64 s[8:9], 0
	v_mul_f32_e32 v4, 0x4f7ffffe, v4
	v_cvt_u32_f32_e32 v4, v4
	s_mov_b32 s22, 0xff800000
	v_mov_b32_e32 v3, 0xff800000
	s_lshl_b32 s24, s23, 2
	v_mul_lo_u32 v5, s15, v4
	v_mul_hi_u32 v5, v4, v5
	v_add_u32_e32 v4, v4, v5
	v_mov_b32_e32 v5, v0
	s_branch .LBB257_18
.LBB257_17:                             ;   in Loop: Header=BB257_18 Depth=1
	s_or_b64 exec, exec, s[14:15]
	v_add_u32_e32 v5, s23, v5
	v_cmp_le_i32_e32 vcc, s12, v5
	s_or_b64 s[8:9], vcc, s[8:9]
	v_add_u32_e32 v2, s24, v2
	s_andn2_b64 exec, exec, s[8:9]
	s_cbranch_execz .LBB257_20
.LBB257_18:                             ; =>This Inner Loop Header: Depth=1
	v_sub_u32_e32 v7, 0, v5
	v_max_i32_e32 v7, v5, v7
	v_mul_hi_u32 v8, v7, v4
	v_mul_lo_u32 v9, v8, s20
	v_sub_u32_e32 v7, v7, v9
	v_add_u32_e32 v9, 1, v8
	v_cmp_le_u32_e32 vcc, s20, v7
	v_cndmask_b32_e32 v8, v8, v9, vcc
	v_subrev_u32_e32 v9, s20, v7
	v_cndmask_b32_e32 v7, v7, v9, vcc
	v_ashrrev_i32_e32 v6, 31, v5
	v_add_u32_e32 v9, 1, v8
	v_cmp_le_u32_e32 vcc, s20, v7
	v_xor_b32_e32 v6, s21, v6
	v_cndmask_b32_e32 v7, v8, v9, vcc
	v_xor_b32_e32 v7, v7, v6
	v_sub_u32_e32 v6, v7, v6
	v_lshl_add_u32 v6, v6, 2, s7
	ds_read_b32 v6, v6
	s_waitcnt lgkmcnt(0)
	v_cmp_neq_f32_e32 vcc, s22, v6
	s_and_saveexec_b64 s[14:15], vcc
	s_cbranch_execz .LBB257_17
; %bb.19:                               ;   in Loop: Header=BB257_18 Depth=1
	ds_write_b32 v2, v3
	s_branch .LBB257_17
.LBB257_20:
	s_or_b64 exec, exec, s[2:3]
	s_cmp_lt_i32 s13, 1
	s_waitcnt lgkmcnt(0)
	s_barrier
	s_cbranch_scc1 .LBB257_27
; %bb.21:
	s_add_u32 s2, s4, 64
	s_addc_u32 s3, s5, 0
	s_mov_b32 s7, 0
	v_mov_b32_e32 v4, 0
	v_mov_b32_e32 v5, 0xff800000
                                        ; implicit-def: $vgpr3
                                        ; implicit-def: $vgpr2
	s_branch .LBB257_23
.LBB257_22:                             ;   in Loop: Header=BB257_23 Depth=1
	s_or_b64 exec, exec, s[8:9]
	v_mov_b32_dpp v9, v7 quad_perm:[1,0,3,2] row_mask:0xf bank_mask:0xf
	v_cmp_lt_f32_e32 vcc, v7, v9
	v_cndmask_b32_e32 v7, v7, v9, vcc
	v_mov_b32_dpp v8, v6 quad_perm:[1,0,3,2] row_mask:0xf bank_mask:0xf
	v_cndmask_b32_e32 v6, v6, v8, vcc
	v_mov_b32_dpp v9, v7 quad_perm:[2,3,0,1] row_mask:0xf bank_mask:0xf
	v_cmp_gt_f32_e32 vcc, v9, v7
	v_cndmask_b32_e32 v7, v7, v9, vcc
	v_mov_b32_dpp v8, v6 quad_perm:[2,3,0,1] row_mask:0xf bank_mask:0xf
	v_cndmask_b32_e32 v6, v6, v8, vcc
	v_mov_b32_dpp v9, v7 row_half_mirror row_mask:0xf bank_mask:0xf
	v_cmp_gt_f32_e32 vcc, v9, v7
	v_cndmask_b32_e32 v7, v7, v9, vcc
	v_mov_b32_dpp v8, v6 row_half_mirror row_mask:0xf bank_mask:0xf
	v_cndmask_b32_e32 v6, v6, v8, vcc
	v_mov_b32_dpp v9, v7 row_mirror row_mask:0xf bank_mask:0xf
	v_cmp_gt_f32_e32 vcc, v9, v7
	v_cndmask_b32_e32 v7, v7, v9, vcc
	v_mov_b32_dpp v8, v6 row_mirror row_mask:0xf bank_mask:0xf
	v_cndmask_b32_e32 v6, v6, v8, vcc
	v_mov_b32_dpp v9, v7 row_bcast:15 row_mask:0xf bank_mask:0xf
	v_cmp_gt_f32_e32 vcc, v9, v7
	v_mov_b32_dpp v8, v6 row_bcast:15 row_mask:0xf bank_mask:0xf
	v_cndmask_b32_e32 v7, v7, v9, vcc
	v_cndmask_b32_e32 v6, v6, v8, vcc
	s_nop 0
	v_mov_b32_dpp v9, v7 row_bcast:31 row_mask:0xf bank_mask:0xf
	v_mov_b32_dpp v8, v6 row_bcast:31 row_mask:0xf bank_mask:0xf
	v_cmp_gt_f32_e32 vcc, v9, v7
	v_cndmask_b32_e32 v6, v6, v8, vcc
	v_readlane_b32 s8, v6, 63
	s_ashr_i32 s9, s8, 31
	s_lshl_b64 s[14:15], s[8:9], 1
	s_add_u32 s14, s16, s14
	s_addc_u32 s15, s17, s15
	global_load_ushort v6, v4, s[14:15]
	v_cndmask_b32_e32 v7, v7, v9, vcc
	v_readlane_b32 s9, v7, 63
	v_mov_b32_e32 v7, s8
	s_lshl_b32 s8, s8, 2
	v_cmp_eq_u32_e32 vcc, s7, v0
	s_add_i32 s7, s7, 1
	s_add_i32 s8, s8, 0
	v_cndmask_b32_e32 v2, v2, v7, vcc
	v_mov_b32_e32 v7, s8
	s_cmp_eq_u32 s7, s13
	ds_write_b32 v7, v5
	s_waitcnt vmcnt(0)
	v_cvt_f32_f16_e32 v6, v6
	v_sub_f32_e32 v6, s9, v6
	v_cndmask_b32_e32 v3, v3, v6, vcc
	s_cbranch_scc1 .LBB257_28
.LBB257_23:                             ; =>This Loop Header: Depth=1
                                        ;     Child Loop BB257_25 Depth 2
	v_mov_b32_e32 v6, s7
	v_mov_b32_e32 v7, 0xff800000
	s_and_saveexec_b64 s[8:9], s[0:1]
	s_cbranch_execz .LBB257_22
; %bb.24:                               ;   in Loop: Header=BB257_23 Depth=1
	s_load_dword s20, s[2:3], 0xc
	s_mov_b64 s[14:15], 0
	v_mov_b32_e32 v6, s7
	v_mov_b32_e32 v7, 0xff800000
	;; [unrolled: 1-line block ×3, first 2 shown]
	s_waitcnt lgkmcnt(0)
	s_and_b32 s20, s20, 0xffff
	s_lshl_b32 s21, s20, 2
	v_mov_b32_e32 v9, v0
.LBB257_25:                             ;   Parent Loop BB257_23 Depth=1
                                        ; =>  This Inner Loop Header: Depth=2
	ds_read_b32 v10, v8
	v_add_u32_e32 v8, s21, v8
	s_waitcnt lgkmcnt(0)
	v_cmp_gt_f32_e32 vcc, v10, v7
	v_cndmask_b32_e32 v6, v6, v9, vcc
	v_add_u32_e32 v9, s20, v9
	v_cndmask_b32_e32 v7, v7, v10, vcc
	v_cmp_le_i32_e32 vcc, s12, v9
	s_or_b64 s[14:15], vcc, s[14:15]
	s_andn2_b64 exec, exec, s[14:15]
	s_cbranch_execnz .LBB257_25
; %bb.26:                               ;   in Loop: Header=BB257_23 Depth=1
	s_or_b64 exec, exec, s[14:15]
	s_branch .LBB257_22
.LBB257_27:
                                        ; implicit-def: $vgpr3
                                        ; implicit-def: $vgpr2
.LBB257_28:
	v_cmp_gt_i32_e32 vcc, s13, v0
	s_and_saveexec_b64 s[0:1], vcc
	s_cbranch_execz .LBB257_31
; %bb.29:
	s_load_dword s2, s[4:5], 0x38
	s_load_dwordx2 s[0:1], s[4:5], 0x20
	s_ashr_i32 s3, s6, 31
	s_load_dword s4, s[4:5], 0x4c
	v_mov_b32_e32 v4, s19
	s_waitcnt lgkmcnt(0)
	v_mul_f32_e32 v1, s2, v3
	s_mul_i32 s1, s6, s1
	s_mul_hi_u32 s2, s6, s0
	s_add_i32 s1, s2, s1
	s_mul_i32 s3, s3, s0
	s_add_i32 s5, s1, s3
	s_mul_i32 s2, s6, s0
	s_and_b32 s3, s4, 0xffff
	s_mov_b64 s[0:1], 0
	v_mov_b32_e32 v3, s5
	v_mov_b32_e32 v5, s11
.LBB257_30:                             ; =>This Inner Loop Header: Depth=1
	v_ashrrev_i32_e32 v7, 31, v0
	v_add_co_u32_e32 v6, vcc, s2, v0
	v_addc_co_u32_e32 v7, vcc, v3, v7, vcc
	v_add_u32_e32 v0, s3, v0
	v_cmp_le_i32_e32 vcc, s13, v0
	v_lshlrev_b64 v[6:7], 2, v[6:7]
	s_or_b64 s[0:1], vcc, s[0:1]
	v_add_co_u32_e32 v8, vcc, s18, v6
	v_addc_co_u32_e32 v9, vcc, v4, v7, vcc
	v_add_co_u32_e32 v6, vcc, s10, v6
	v_addc_co_u32_e32 v7, vcc, v5, v7, vcc
	global_store_dword v[8:9], v1, off
	global_store_dword v[6:7], v2, off
	s_andn2_b64 exec, exec, s[0:1]
	s_cbranch_execnz .LBB257_30
.LBB257_31:
	s_endpgm
	.section	.rodata,"a",@progbits
	.p2align	6, 0x0
	.amdhsa_kernel _ZN5aiter19grouped_topk_kernelIN3c104HalfEDv1_fLi2ELb0ELb1ELb0EEEvPT_PKS4_PfPimiiiif
		.amdhsa_group_segment_fixed_size 0
		.amdhsa_private_segment_fixed_size 0
		.amdhsa_kernarg_size 320
		.amdhsa_user_sgpr_count 6
		.amdhsa_user_sgpr_private_segment_buffer 1
		.amdhsa_user_sgpr_dispatch_ptr 0
		.amdhsa_user_sgpr_queue_ptr 0
		.amdhsa_user_sgpr_kernarg_segment_ptr 1
		.amdhsa_user_sgpr_dispatch_id 0
		.amdhsa_user_sgpr_flat_scratch_init 0
		.amdhsa_user_sgpr_kernarg_preload_length 0
		.amdhsa_user_sgpr_kernarg_preload_offset 0
		.amdhsa_user_sgpr_private_segment_size 0
		.amdhsa_uses_dynamic_stack 0
		.amdhsa_system_sgpr_private_segment_wavefront_offset 0
		.amdhsa_system_sgpr_workgroup_id_x 1
		.amdhsa_system_sgpr_workgroup_id_y 0
		.amdhsa_system_sgpr_workgroup_id_z 0
		.amdhsa_system_sgpr_workgroup_info 0
		.amdhsa_system_vgpr_workitem_id 0
		.amdhsa_next_free_vgpr 14
		.amdhsa_next_free_sgpr 30
		.amdhsa_accum_offset 16
		.amdhsa_reserve_vcc 1
		.amdhsa_reserve_flat_scratch 0
		.amdhsa_float_round_mode_32 0
		.amdhsa_float_round_mode_16_64 0
		.amdhsa_float_denorm_mode_32 3
		.amdhsa_float_denorm_mode_16_64 3
		.amdhsa_dx10_clamp 1
		.amdhsa_ieee_mode 1
		.amdhsa_fp16_overflow 0
		.amdhsa_tg_split 0
		.amdhsa_exception_fp_ieee_invalid_op 0
		.amdhsa_exception_fp_denorm_src 0
		.amdhsa_exception_fp_ieee_div_zero 0
		.amdhsa_exception_fp_ieee_overflow 0
		.amdhsa_exception_fp_ieee_underflow 0
		.amdhsa_exception_fp_ieee_inexact 0
		.amdhsa_exception_int_div_zero 0
	.end_amdhsa_kernel
	.section	.text._ZN5aiter19grouped_topk_kernelIN3c104HalfEDv1_fLi2ELb0ELb1ELb0EEEvPT_PKS4_PfPimiiiif,"axG",@progbits,_ZN5aiter19grouped_topk_kernelIN3c104HalfEDv1_fLi2ELb0ELb1ELb0EEEvPT_PKS4_PfPimiiiif,comdat
.Lfunc_end257:
	.size	_ZN5aiter19grouped_topk_kernelIN3c104HalfEDv1_fLi2ELb0ELb1ELb0EEEvPT_PKS4_PfPimiiiif, .Lfunc_end257-_ZN5aiter19grouped_topk_kernelIN3c104HalfEDv1_fLi2ELb0ELb1ELb0EEEvPT_PKS4_PfPimiiiif
                                        ; -- End function
	.section	.AMDGPU.csdata,"",@progbits
; Kernel info:
; codeLenInByte = 1740
; NumSgprs: 34
; NumVgprs: 14
; NumAgprs: 0
; TotalNumVgprs: 14
; ScratchSize: 0
; MemoryBound: 0
; FloatMode: 240
; IeeeMode: 1
; LDSByteSize: 0 bytes/workgroup (compile time only)
; SGPRBlocks: 4
; VGPRBlocks: 1
; NumSGPRsForWavesPerEU: 34
; NumVGPRsForWavesPerEU: 14
; AccumOffset: 16
; Occupancy: 8
; WaveLimiterHint : 0
; COMPUTE_PGM_RSRC2:SCRATCH_EN: 0
; COMPUTE_PGM_RSRC2:USER_SGPR: 6
; COMPUTE_PGM_RSRC2:TRAP_HANDLER: 0
; COMPUTE_PGM_RSRC2:TGID_X_EN: 1
; COMPUTE_PGM_RSRC2:TGID_Y_EN: 0
; COMPUTE_PGM_RSRC2:TGID_Z_EN: 0
; COMPUTE_PGM_RSRC2:TIDIG_COMP_CNT: 0
; COMPUTE_PGM_RSRC3_GFX90A:ACCUM_OFFSET: 3
; COMPUTE_PGM_RSRC3_GFX90A:TG_SPLIT: 0
	.section	.text._ZN5aiter19grouped_topk_kernelIN3c108BFloat16EDv1_fLi2ELb0ELb1ELb0EEEvPT_PKS4_PfPimiiiif,"axG",@progbits,_ZN5aiter19grouped_topk_kernelIN3c108BFloat16EDv1_fLi2ELb0ELb1ELb0EEEvPT_PKS4_PfPimiiiif,comdat
	.protected	_ZN5aiter19grouped_topk_kernelIN3c108BFloat16EDv1_fLi2ELb0ELb1ELb0EEEvPT_PKS4_PfPimiiiif ; -- Begin function _ZN5aiter19grouped_topk_kernelIN3c108BFloat16EDv1_fLi2ELb0ELb1ELb0EEEvPT_PKS4_PfPimiiiif
	.globl	_ZN5aiter19grouped_topk_kernelIN3c108BFloat16EDv1_fLi2ELb0ELb1ELb0EEEvPT_PKS4_PfPimiiiif
	.p2align	8
	.type	_ZN5aiter19grouped_topk_kernelIN3c108BFloat16EDv1_fLi2ELb0ELb1ELb0EEEvPT_PKS4_PfPimiiiif,@function
_ZN5aiter19grouped_topk_kernelIN3c108BFloat16EDv1_fLi2ELb0ELb1ELb0EEEvPT_PKS4_PfPimiiiif: ; @_ZN5aiter19grouped_topk_kernelIN3c108BFloat16EDv1_fLi2ELb0ELb1ELb0EEEvPT_PKS4_PfPimiiiif
; %bb.0:
	s_load_dwordx4 s[12:15], s[4:5], 0x28
	s_load_dwordx4 s[16:19], s[4:5], 0x8
	s_load_dwordx2 s[10:11], s[4:5], 0x18
	v_lshl_add_u32 v1, v0, 2, 0
	s_waitcnt lgkmcnt(0)
	v_cmp_gt_i32_e64 s[0:1], s12, v0
	s_and_saveexec_b64 s[2:3], s[0:1]
	s_cbranch_execz .LBB258_3
; %bb.1:
	s_load_dwordx2 s[8:9], s[4:5], 0x0
	s_load_dword s15, s[4:5], 0x4c
	s_mul_i32 s20, s6, s12
	s_ashr_i32 s21, s20, 31
	s_lshl_b64 s[20:21], s[20:21], 1
	s_waitcnt lgkmcnt(0)
	s_add_u32 s7, s8, s20
	s_addc_u32 s21, s9, s21
	s_and_b32 s15, s15, 0xffff
	v_lshl_add_u32 v4, v0, 2, 0
	s_lshl_b32 s20, s15, 2
	s_mov_b64 s[8:9], 0
	v_mov_b32_e32 v5, s21
	v_mov_b32_e32 v6, s17
	s_mov_b32 s21, 0xbfb8aa3b
	s_mov_b32 s22, 0x42ce8ed0
	s_mov_b32 s23, 0xc2b17218
	v_mov_b32_e32 v7, 0x7f800000
	v_mov_b32_e32 v2, v0
.LBB258_2:                              ; =>This Inner Loop Header: Depth=1
	v_ashrrev_i32_e32 v3, 31, v2
	v_lshlrev_b64 v[8:9], 1, v[2:3]
	v_add_co_u32_e32 v10, vcc, s7, v8
	v_addc_co_u32_e32 v11, vcc, v5, v9, vcc
	v_add_co_u32_e32 v8, vcc, s16, v8
	v_addc_co_u32_e32 v9, vcc, v6, v9, vcc
	global_load_ushort v3, v[10:11], off
	global_load_ushort v12, v[8:9], off
	v_add_u32_e32 v2, s15, v2
	v_cmp_le_i32_e32 vcc, s12, v2
	s_or_b64 s[8:9], vcc, s[8:9]
	s_waitcnt vmcnt(1)
	v_cvt_f32_u32_e32 v3, v3
	s_waitcnt vmcnt(0)
	v_cvt_f32_u32_e32 v8, v12
	v_mul_f32_e32 v9, 0xbfb8aa3b, v3
	v_fma_f32 v10, v3, s21, -v9
	v_rndne_f32_e32 v11, v9
	v_fmac_f32_e32 v10, 0xb2a5705f, v3
	v_sub_f32_e32 v9, v9, v11
	v_add_f32_e32 v9, v9, v10
	v_cvt_i32_f32_e32 v11, v11
	v_exp_f32_e32 v9, v9
	v_cmp_nlt_f32_e32 vcc, s22, v3
	v_ldexp_f32 v9, v9, v11
	v_cndmask_b32_e32 v9, 0, v9, vcc
	v_cmp_ngt_f32_e32 vcc, s23, v3
	v_cndmask_b32_e32 v3, v7, v9, vcc
	v_add_f32_e32 v3, 1.0, v3
	v_div_scale_f32 v9, s[24:25], v3, v3, 1.0
	v_rcp_f32_e32 v10, v9
	v_div_scale_f32 v11, vcc, 1.0, v3, 1.0
	v_fma_f32 v12, -v9, v10, 1.0
	v_fmac_f32_e32 v10, v12, v10
	v_mul_f32_e32 v12, v11, v10
	v_fma_f32 v13, -v9, v12, v11
	v_fmac_f32_e32 v12, v13, v10
	v_fma_f32 v9, -v9, v12, v11
	v_div_fmas_f32 v9, v9, v10, v12
	v_div_fixup_f32 v3, v9, v3, 1.0
	v_add_f32_e32 v3, v3, v8
	ds_write_b32 v4, v3
	v_add_u32_e32 v4, s20, v4
	s_andn2_b64 exec, exec, s[8:9]
	s_cbranch_execnz .LBB258_2
.LBB258_3:
	s_or_b64 exec, exec, s[2:3]
	s_lshr_b32 s2, s12, 31
	s_add_i32 s2, s12, s2
	s_ashr_i32 s15, s2, 1
	s_lshl_b32 s2, s12, 2
	s_add_i32 s7, s2, 0
	v_cmp_gt_u32_e32 vcc, 64, v0
	s_waitcnt lgkmcnt(0)
	s_barrier
	s_and_saveexec_b64 s[20:21], vcc
	s_cbranch_execz .LBB258_12
; %bb.4:
	s_load_dword s8, s[4:5], 0x4c
	v_lshrrev_b32_e32 v3, 5, v0
	v_and_b32_e32 v2, 31, v0
	v_mul_lo_u32 v4, s15, v3
	v_lshlrev_b32_e32 v4, 2, v4
	s_waitcnt lgkmcnt(0)
	s_bfe_u32 s28, s8, 0xb0005
	v_lshlrev_b32_e32 v5, 2, v2
	s_mul_i32 s8, s15, s28
	v_cmp_gt_i32_e32 vcc, s15, v2
	v_cmp_eq_u32_e64 s[2:3], 0, v2
	v_add3_u32 v4, v4, v5, 0
	s_lshl_b32 s29, s8, 2
	s_mov_b64 s[22:23], 0
	s_branch .LBB258_6
.LBB258_5:                              ;   in Loop: Header=BB258_6 Depth=1
	s_or_b64 exec, exec, s[8:9]
	v_add_u32_e32 v3, s28, v3
	v_cmp_lt_u32_e64 s[8:9], 1, v3
	s_or_b64 s[22:23], s[8:9], s[22:23]
	v_add_u32_e32 v4, s29, v4
	s_andn2_b64 exec, exec, s[22:23]
	s_cbranch_execz .LBB258_12
.LBB258_6:                              ; =>This Loop Header: Depth=1
                                        ;     Child Loop BB258_8 Depth 2
	v_mov_b32_e32 v5, 0xff800000
	v_mov_b32_e32 v6, 0xff800000
	s_and_saveexec_b64 s[24:25], vcc
	s_cbranch_execz .LBB258_10
; %bb.7:                                ;   in Loop: Header=BB258_6 Depth=1
	s_mov_b64 s[26:27], 0
	v_mov_b32_e32 v5, 0xff800000
	v_mov_b32_e32 v7, v4
	v_mov_b32_e32 v8, v2
	v_mov_b32_e32 v6, 0xff800000
.LBB258_8:                              ;   Parent Loop BB258_6 Depth=1
                                        ; =>  This Inner Loop Header: Depth=2
	ds_read_b32 v9, v7
	v_add_u32_e32 v8, 32, v8
	v_max_f32_e32 v6, v6, v6
	v_cmp_le_i32_e64 s[8:9], s15, v8
	v_max_f32_e32 v10, v5, v5
	s_waitcnt lgkmcnt(0)
	v_max_f32_e32 v11, v9, v9
	s_or_b64 s[26:27], s[8:9], s[26:27]
	v_max_f32_e32 v6, v11, v6
	v_cmp_gt_f32_e64 s[8:9], v9, v5
	v_add_u32_e32 v7, 0x80, v7
	v_cndmask_b32_e64 v6, v6, v5, s[8:9]
	v_max_f32_e32 v5, v11, v10
	s_andn2_b64 exec, exec, s[26:27]
	s_cbranch_execnz .LBB258_8
; %bb.9:                                ;   in Loop: Header=BB258_6 Depth=1
	s_or_b64 exec, exec, s[26:27]
.LBB258_10:                             ;   in Loop: Header=BB258_6 Depth=1
	s_or_b64 exec, exec, s[24:25]
	s_and_saveexec_b64 s[8:9], s[2:3]
	s_cbranch_execz .LBB258_5
; %bb.11:                               ;   in Loop: Header=BB258_6 Depth=1
	v_lshl_add_u32 v7, v3, 2, s7
	v_add_f32_e32 v5, v6, v5
	ds_write_b32 v7, v5
	s_branch .LBB258_5
.LBB258_12:
	s_or_b64 exec, exec, s[20:21]
	s_cmp_lt_i32 s14, 1
	s_waitcnt lgkmcnt(0)
	s_barrier
	s_cbranch_scc1 .LBB258_15
; %bb.13:
	v_mov_b32_e32 v2, s7
	s_mov_b32 s2, 0xff800000
	v_mov_b32_e32 v3, 0xff800000
.LBB258_14:                             ; =>This Inner Loop Header: Depth=1
	ds_read2_b32 v[4:5], v2 offset1:1
	s_add_i32 s14, s14, -1
	s_cmp_lg_u32 s14, 0
	s_waitcnt lgkmcnt(0)
	v_cmp_nlg_f32_e32 vcc, s2, v4
	v_cndmask_b32_e64 v6, 0, 1, vcc
	v_cmp_lg_f32_e32 vcc, s2, v4
	v_cndmask_b32_e32 v4, v3, v4, vcc
	v_lshlrev_b32_e32 v6, 1, v6
	v_cmp_ngt_f32_e32 vcc, v5, v4
	v_cndmask_b32_e32 v4, 1, v6, vcc
	v_lshlrev_b32_e32 v4, 2, v4
	v_add_u32_e32 v4, s7, v4
	ds_write_b32 v4, v3
	s_cbranch_scc1 .LBB258_14
.LBB258_15:
	s_and_saveexec_b64 s[2:3], s[0:1]
	s_cbranch_execz .LBB258_20
; %bb.16:
	s_abs_i32 s20, s15
	v_cvt_f32_u32_e32 v3, s20
	s_load_dword s14, s[4:5], 0x4c
	s_ashr_i32 s21, s15, 31
	s_sub_i32 s15, 0, s20
	v_rcp_iflag_f32_e32 v4, v3
	v_lshl_add_u32 v2, v0, 2, 0
	s_waitcnt lgkmcnt(0)
	s_and_b32 s23, s14, 0xffff
	s_mov_b64 s[8:9], 0
	v_mul_f32_e32 v4, 0x4f7ffffe, v4
	v_cvt_u32_f32_e32 v4, v4
	s_mov_b32 s22, 0xff800000
	v_mov_b32_e32 v3, 0xff800000
	s_lshl_b32 s24, s23, 2
	v_mul_lo_u32 v5, s15, v4
	v_mul_hi_u32 v5, v4, v5
	v_add_u32_e32 v4, v4, v5
	v_mov_b32_e32 v5, v0
	s_branch .LBB258_18
.LBB258_17:                             ;   in Loop: Header=BB258_18 Depth=1
	s_or_b64 exec, exec, s[14:15]
	v_add_u32_e32 v5, s23, v5
	v_cmp_le_i32_e32 vcc, s12, v5
	s_or_b64 s[8:9], vcc, s[8:9]
	v_add_u32_e32 v2, s24, v2
	s_andn2_b64 exec, exec, s[8:9]
	s_cbranch_execz .LBB258_20
.LBB258_18:                             ; =>This Inner Loop Header: Depth=1
	v_sub_u32_e32 v7, 0, v5
	v_max_i32_e32 v7, v5, v7
	v_mul_hi_u32 v8, v7, v4
	v_mul_lo_u32 v9, v8, s20
	v_sub_u32_e32 v7, v7, v9
	v_add_u32_e32 v9, 1, v8
	v_cmp_le_u32_e32 vcc, s20, v7
	v_cndmask_b32_e32 v8, v8, v9, vcc
	v_subrev_u32_e32 v9, s20, v7
	v_cndmask_b32_e32 v7, v7, v9, vcc
	v_ashrrev_i32_e32 v6, 31, v5
	v_add_u32_e32 v9, 1, v8
	v_cmp_le_u32_e32 vcc, s20, v7
	v_xor_b32_e32 v6, s21, v6
	v_cndmask_b32_e32 v7, v8, v9, vcc
	v_xor_b32_e32 v7, v7, v6
	v_sub_u32_e32 v6, v7, v6
	v_lshl_add_u32 v6, v6, 2, s7
	ds_read_b32 v6, v6
	s_waitcnt lgkmcnt(0)
	v_cmp_neq_f32_e32 vcc, s22, v6
	s_and_saveexec_b64 s[14:15], vcc
	s_cbranch_execz .LBB258_17
; %bb.19:                               ;   in Loop: Header=BB258_18 Depth=1
	ds_write_b32 v2, v3
	s_branch .LBB258_17
.LBB258_20:
	s_or_b64 exec, exec, s[2:3]
	s_cmp_lt_i32 s13, 1
	s_waitcnt lgkmcnt(0)
	s_barrier
	s_cbranch_scc1 .LBB258_27
; %bb.21:
	s_add_u32 s2, s4, 64
	s_addc_u32 s3, s5, 0
	s_mov_b32 s7, 0
	v_mov_b32_e32 v4, 0
	v_mov_b32_e32 v5, 0xff800000
                                        ; implicit-def: $vgpr3
                                        ; implicit-def: $vgpr2
	s_branch .LBB258_23
.LBB258_22:                             ;   in Loop: Header=BB258_23 Depth=1
	s_or_b64 exec, exec, s[8:9]
	v_mov_b32_dpp v9, v7 quad_perm:[1,0,3,2] row_mask:0xf bank_mask:0xf
	v_cmp_lt_f32_e32 vcc, v7, v9
	v_cndmask_b32_e32 v7, v7, v9, vcc
	v_mov_b32_dpp v8, v6 quad_perm:[1,0,3,2] row_mask:0xf bank_mask:0xf
	v_cndmask_b32_e32 v6, v6, v8, vcc
	v_mov_b32_dpp v9, v7 quad_perm:[2,3,0,1] row_mask:0xf bank_mask:0xf
	v_cmp_gt_f32_e32 vcc, v9, v7
	v_cndmask_b32_e32 v7, v7, v9, vcc
	v_mov_b32_dpp v8, v6 quad_perm:[2,3,0,1] row_mask:0xf bank_mask:0xf
	v_cndmask_b32_e32 v6, v6, v8, vcc
	v_mov_b32_dpp v9, v7 row_half_mirror row_mask:0xf bank_mask:0xf
	v_cmp_gt_f32_e32 vcc, v9, v7
	v_cndmask_b32_e32 v7, v7, v9, vcc
	v_mov_b32_dpp v8, v6 row_half_mirror row_mask:0xf bank_mask:0xf
	v_cndmask_b32_e32 v6, v6, v8, vcc
	v_mov_b32_dpp v9, v7 row_mirror row_mask:0xf bank_mask:0xf
	v_cmp_gt_f32_e32 vcc, v9, v7
	v_cndmask_b32_e32 v7, v7, v9, vcc
	v_mov_b32_dpp v8, v6 row_mirror row_mask:0xf bank_mask:0xf
	v_cndmask_b32_e32 v6, v6, v8, vcc
	v_mov_b32_dpp v9, v7 row_bcast:15 row_mask:0xf bank_mask:0xf
	v_cmp_gt_f32_e32 vcc, v9, v7
	v_mov_b32_dpp v8, v6 row_bcast:15 row_mask:0xf bank_mask:0xf
	v_cndmask_b32_e32 v7, v7, v9, vcc
	v_cndmask_b32_e32 v6, v6, v8, vcc
	s_nop 0
	v_mov_b32_dpp v9, v7 row_bcast:31 row_mask:0xf bank_mask:0xf
	v_mov_b32_dpp v8, v6 row_bcast:31 row_mask:0xf bank_mask:0xf
	v_cmp_gt_f32_e32 vcc, v9, v7
	v_cndmask_b32_e32 v6, v6, v8, vcc
	v_readlane_b32 s8, v6, 63
	s_ashr_i32 s9, s8, 31
	s_lshl_b64 s[14:15], s[8:9], 1
	s_add_u32 s14, s16, s14
	s_addc_u32 s15, s17, s15
	global_load_ushort v6, v4, s[14:15]
	v_cndmask_b32_e32 v7, v7, v9, vcc
	v_readlane_b32 s9, v7, 63
	v_mov_b32_e32 v7, s8
	s_lshl_b32 s8, s8, 2
	v_cmp_eq_u32_e32 vcc, s7, v0
	s_add_i32 s8, s8, 0
	v_cndmask_b32_e32 v2, v2, v7, vcc
	v_mov_b32_e32 v7, s8
	ds_write_b32 v7, v5
	s_add_i32 s7, s7, 1
	s_cmp_eq_u32 s7, s13
	s_waitcnt vmcnt(0)
	v_and_b32_e32 v7, 0xff, v6
	v_lshlrev_b32_e32 v6, 16, v6
	v_lshlrev_b32_e32 v7, 16, v7
	v_and_b32_e32 v6, 0xff000000, v6
	v_or_b32_e32 v6, v7, v6
	v_sub_f32_e32 v6, s9, v6
	v_cndmask_b32_e32 v3, v3, v6, vcc
	s_cbranch_scc1 .LBB258_28
.LBB258_23:                             ; =>This Loop Header: Depth=1
                                        ;     Child Loop BB258_25 Depth 2
	v_mov_b32_e32 v6, s7
	v_mov_b32_e32 v7, 0xff800000
	s_and_saveexec_b64 s[8:9], s[0:1]
	s_cbranch_execz .LBB258_22
; %bb.24:                               ;   in Loop: Header=BB258_23 Depth=1
	s_load_dword s20, s[2:3], 0xc
	s_mov_b64 s[14:15], 0
	v_mov_b32_e32 v6, s7
	v_mov_b32_e32 v7, 0xff800000
	;; [unrolled: 1-line block ×3, first 2 shown]
	s_waitcnt lgkmcnt(0)
	s_and_b32 s20, s20, 0xffff
	s_lshl_b32 s21, s20, 2
	v_mov_b32_e32 v9, v0
.LBB258_25:                             ;   Parent Loop BB258_23 Depth=1
                                        ; =>  This Inner Loop Header: Depth=2
	ds_read_b32 v10, v8
	v_add_u32_e32 v8, s21, v8
	s_waitcnt lgkmcnt(0)
	v_cmp_gt_f32_e32 vcc, v10, v7
	v_cndmask_b32_e32 v6, v6, v9, vcc
	v_add_u32_e32 v9, s20, v9
	v_cndmask_b32_e32 v7, v7, v10, vcc
	v_cmp_le_i32_e32 vcc, s12, v9
	s_or_b64 s[14:15], vcc, s[14:15]
	s_andn2_b64 exec, exec, s[14:15]
	s_cbranch_execnz .LBB258_25
; %bb.26:                               ;   in Loop: Header=BB258_23 Depth=1
	s_or_b64 exec, exec, s[14:15]
	s_branch .LBB258_22
.LBB258_27:
                                        ; implicit-def: $vgpr3
                                        ; implicit-def: $vgpr2
.LBB258_28:
	v_cmp_gt_i32_e32 vcc, s13, v0
	s_and_saveexec_b64 s[0:1], vcc
	s_cbranch_execz .LBB258_31
; %bb.29:
	s_load_dword s2, s[4:5], 0x38
	s_load_dwordx2 s[0:1], s[4:5], 0x20
	s_ashr_i32 s3, s6, 31
	s_load_dword s4, s[4:5], 0x4c
	v_mov_b32_e32 v4, s19
	s_waitcnt lgkmcnt(0)
	v_mul_f32_e32 v1, s2, v3
	s_mul_i32 s1, s6, s1
	s_mul_hi_u32 s2, s6, s0
	s_add_i32 s1, s2, s1
	s_mul_i32 s3, s3, s0
	s_add_i32 s5, s1, s3
	s_mul_i32 s2, s6, s0
	s_and_b32 s3, s4, 0xffff
	s_mov_b64 s[0:1], 0
	v_mov_b32_e32 v3, s5
	v_mov_b32_e32 v5, s11
.LBB258_30:                             ; =>This Inner Loop Header: Depth=1
	v_ashrrev_i32_e32 v7, 31, v0
	v_add_co_u32_e32 v6, vcc, s2, v0
	v_addc_co_u32_e32 v7, vcc, v3, v7, vcc
	v_add_u32_e32 v0, s3, v0
	v_cmp_le_i32_e32 vcc, s13, v0
	v_lshlrev_b64 v[6:7], 2, v[6:7]
	s_or_b64 s[0:1], vcc, s[0:1]
	v_add_co_u32_e32 v8, vcc, s18, v6
	v_addc_co_u32_e32 v9, vcc, v4, v7, vcc
	v_add_co_u32_e32 v6, vcc, s10, v6
	v_addc_co_u32_e32 v7, vcc, v5, v7, vcc
	global_store_dword v[8:9], v1, off
	global_store_dword v[6:7], v2, off
	s_andn2_b64 exec, exec, s[0:1]
	s_cbranch_execnz .LBB258_30
.LBB258_31:
	s_endpgm
	.section	.rodata,"a",@progbits
	.p2align	6, 0x0
	.amdhsa_kernel _ZN5aiter19grouped_topk_kernelIN3c108BFloat16EDv1_fLi2ELb0ELb1ELb0EEEvPT_PKS4_PfPimiiiif
		.amdhsa_group_segment_fixed_size 0
		.amdhsa_private_segment_fixed_size 0
		.amdhsa_kernarg_size 320
		.amdhsa_user_sgpr_count 6
		.amdhsa_user_sgpr_private_segment_buffer 1
		.amdhsa_user_sgpr_dispatch_ptr 0
		.amdhsa_user_sgpr_queue_ptr 0
		.amdhsa_user_sgpr_kernarg_segment_ptr 1
		.amdhsa_user_sgpr_dispatch_id 0
		.amdhsa_user_sgpr_flat_scratch_init 0
		.amdhsa_user_sgpr_kernarg_preload_length 0
		.amdhsa_user_sgpr_kernarg_preload_offset 0
		.amdhsa_user_sgpr_private_segment_size 0
		.amdhsa_uses_dynamic_stack 0
		.amdhsa_system_sgpr_private_segment_wavefront_offset 0
		.amdhsa_system_sgpr_workgroup_id_x 1
		.amdhsa_system_sgpr_workgroup_id_y 0
		.amdhsa_system_sgpr_workgroup_id_z 0
		.amdhsa_system_sgpr_workgroup_info 0
		.amdhsa_system_vgpr_workitem_id 0
		.amdhsa_next_free_vgpr 14
		.amdhsa_next_free_sgpr 30
		.amdhsa_accum_offset 16
		.amdhsa_reserve_vcc 1
		.amdhsa_reserve_flat_scratch 0
		.amdhsa_float_round_mode_32 0
		.amdhsa_float_round_mode_16_64 0
		.amdhsa_float_denorm_mode_32 3
		.amdhsa_float_denorm_mode_16_64 3
		.amdhsa_dx10_clamp 1
		.amdhsa_ieee_mode 1
		.amdhsa_fp16_overflow 0
		.amdhsa_tg_split 0
		.amdhsa_exception_fp_ieee_invalid_op 0
		.amdhsa_exception_fp_denorm_src 0
		.amdhsa_exception_fp_ieee_div_zero 0
		.amdhsa_exception_fp_ieee_overflow 0
		.amdhsa_exception_fp_ieee_underflow 0
		.amdhsa_exception_fp_ieee_inexact 0
		.amdhsa_exception_int_div_zero 0
	.end_amdhsa_kernel
	.section	.text._ZN5aiter19grouped_topk_kernelIN3c108BFloat16EDv1_fLi2ELb0ELb1ELb0EEEvPT_PKS4_PfPimiiiif,"axG",@progbits,_ZN5aiter19grouped_topk_kernelIN3c108BFloat16EDv1_fLi2ELb0ELb1ELb0EEEvPT_PKS4_PfPimiiiif,comdat
.Lfunc_end258:
	.size	_ZN5aiter19grouped_topk_kernelIN3c108BFloat16EDv1_fLi2ELb0ELb1ELb0EEEvPT_PKS4_PfPimiiiif, .Lfunc_end258-_ZN5aiter19grouped_topk_kernelIN3c108BFloat16EDv1_fLi2ELb0ELb1ELb0EEEvPT_PKS4_PfPimiiiif
                                        ; -- End function
	.section	.AMDGPU.csdata,"",@progbits
; Kernel info:
; codeLenInByte = 1752
; NumSgprs: 34
; NumVgprs: 14
; NumAgprs: 0
; TotalNumVgprs: 14
; ScratchSize: 0
; MemoryBound: 0
; FloatMode: 240
; IeeeMode: 1
; LDSByteSize: 0 bytes/workgroup (compile time only)
; SGPRBlocks: 4
; VGPRBlocks: 1
; NumSGPRsForWavesPerEU: 34
; NumVGPRsForWavesPerEU: 14
; AccumOffset: 16
; Occupancy: 8
; WaveLimiterHint : 0
; COMPUTE_PGM_RSRC2:SCRATCH_EN: 0
; COMPUTE_PGM_RSRC2:USER_SGPR: 6
; COMPUTE_PGM_RSRC2:TRAP_HANDLER: 0
; COMPUTE_PGM_RSRC2:TGID_X_EN: 1
; COMPUTE_PGM_RSRC2:TGID_Y_EN: 0
; COMPUTE_PGM_RSRC2:TGID_Z_EN: 0
; COMPUTE_PGM_RSRC2:TIDIG_COMP_CNT: 0
; COMPUTE_PGM_RSRC3_GFX90A:ACCUM_OFFSET: 3
; COMPUTE_PGM_RSRC3_GFX90A:TG_SPLIT: 0
	.section	.text._ZN5aiter19grouped_topk_kernelIfDv1_fLi2ELb0ELb0ELb1EEEvPT_PKS2_PfPimiiiif,"axG",@progbits,_ZN5aiter19grouped_topk_kernelIfDv1_fLi2ELb0ELb0ELb1EEEvPT_PKS2_PfPimiiiif,comdat
	.protected	_ZN5aiter19grouped_topk_kernelIfDv1_fLi2ELb0ELb0ELb1EEEvPT_PKS2_PfPimiiiif ; -- Begin function _ZN5aiter19grouped_topk_kernelIfDv1_fLi2ELb0ELb0ELb1EEEvPT_PKS2_PfPimiiiif
	.globl	_ZN5aiter19grouped_topk_kernelIfDv1_fLi2ELb0ELb0ELb1EEEvPT_PKS2_PfPimiiiif
	.p2align	8
	.type	_ZN5aiter19grouped_topk_kernelIfDv1_fLi2ELb0ELb0ELb1EEEvPT_PKS2_PfPimiiiif,@function
_ZN5aiter19grouped_topk_kernelIfDv1_fLi2ELb0ELb0ELb1EEEvPT_PKS2_PfPimiiiif: ; @_ZN5aiter19grouped_topk_kernelIfDv1_fLi2ELb0ELb0ELb1EEEvPT_PKS2_PfPimiiiif
; %bb.0:
	s_load_dwordx4 s[8:11], s[4:5], 0x28
	s_load_dwordx4 s[12:15], s[4:5], 0x10
	v_mov_b32_e32 v2, 0xff800000
	v_lshl_add_u32 v1, v0, 2, 0
	s_waitcnt lgkmcnt(0)
	v_cmp_gt_i32_e64 s[0:1], s8, v0
	s_and_saveexec_b64 s[2:3], s[0:1]
	s_cbranch_execz .LBB259_4
; %bb.1:
	s_load_dword s11, s[4:5], 0x4c
	s_load_dwordx2 s[16:17], s[4:5], 0x0
	s_mul_i32 s7, s6, s8
	v_lshl_add_u32 v3, v0, 2, 0
	s_mov_b64 s[18:19], 0
	s_waitcnt lgkmcnt(0)
	s_and_b32 s11, s11, 0xffff
	s_lshl_b32 s20, s11, 2
	v_mov_b32_e32 v2, 0xff800000
	v_mov_b32_e32 v4, s17
	;; [unrolled: 1-line block ×3, first 2 shown]
.LBB259_2:                              ; =>This Inner Loop Header: Depth=1
	v_add_u32_e32 v6, s7, v5
	v_ashrrev_i32_e32 v7, 31, v6
	v_lshlrev_b64 v[6:7], 2, v[6:7]
	v_add_co_u32_e32 v6, vcc, s16, v6
	v_addc_co_u32_e32 v7, vcc, v4, v7, vcc
	global_load_dword v6, v[6:7], off
	v_add_u32_e32 v5, s11, v5
	v_cmp_le_i32_e32 vcc, s8, v5
	s_or_b64 s[18:19], vcc, s[18:19]
	s_waitcnt vmcnt(0)
	v_cmp_gt_f32_e32 vcc, v6, v2
	ds_write_b32 v3, v6
	v_cndmask_b32_e32 v2, v2, v6, vcc
	v_add_u32_e32 v3, s20, v3
	s_andn2_b64 exec, exec, s[18:19]
	s_cbranch_execnz .LBB259_2
; %bb.3:
	s_or_b64 exec, exec, s[18:19]
.LBB259_4:
	s_or_b64 exec, exec, s[2:3]
	v_mov_b32_dpp v3, v2 quad_perm:[1,0,3,2] row_mask:0xf bank_mask:0xf
	v_cmp_lt_f32_e32 vcc, v2, v3
	v_cndmask_b32_e32 v2, v2, v3, vcc
	v_bfrev_b32_e32 v4, 0.5
	s_waitcnt lgkmcnt(0)
	v_mov_b32_dpp v3, v2 quad_perm:[2,3,0,1] row_mask:0xf bank_mask:0xf
	v_cmp_lt_f32_e32 vcc, v2, v3
	v_cndmask_b32_e32 v2, v2, v3, vcc
	s_barrier
	s_nop 0
	v_mov_b32_dpp v3, v2 row_half_mirror row_mask:0xf bank_mask:0xf
	v_cmp_lt_f32_e32 vcc, v2, v3
	v_cndmask_b32_e32 v2, v2, v3, vcc
	s_nop 1
	v_mov_b32_dpp v3, v2 row_mirror row_mask:0xf bank_mask:0xf
	v_cmp_lt_f32_e32 vcc, v2, v3
	v_cndmask_b32_e32 v2, v2, v3, vcc
	s_nop 1
	v_mov_b32_dpp v3, v2 row_bcast:15 row_mask:0xf bank_mask:0xf
	v_cmp_lt_f32_e32 vcc, v2, v3
	v_cndmask_b32_e32 v2, v2, v3, vcc
	s_nop 1
	v_mov_b32_dpp v3, v2 row_bcast:31 row_mask:0xf bank_mask:0xf
	v_cmp_lt_f32_e32 vcc, v2, v3
	v_cndmask_b32_e32 v3, v2, v3, vcc
	v_mbcnt_lo_u32_b32 v2, -1, 0
	v_mbcnt_hi_u32_b32 v2, -1, v2
	v_lshl_or_b32 v2, v2, 2, v4
	ds_bpermute_b32 v4, v2, v3
	v_mov_b32_e32 v3, 0
	s_and_saveexec_b64 s[2:3], s[0:1]
	s_cbranch_execz .LBB259_8
; %bb.5:
	s_load_dword s11, s[4:5], 0x4c
	v_lshl_add_u32 v5, v0, 2, 0
	s_mov_b64 s[16:17], 0
	v_mov_b32_e32 v3, 0
	s_mov_b32 s7, 0x3fb8aa3b
	s_waitcnt lgkmcnt(0)
	s_and_b32 s11, s11, 0xffff
	s_lshl_b32 s18, s11, 2
	s_mov_b32 s19, 0xc2ce8ed0
	s_mov_b32 s20, 0x42b17218
	v_mov_b32_e32 v6, 0x7f800000
	v_mov_b32_e32 v7, v0
.LBB259_6:                              ; =>This Inner Loop Header: Depth=1
	ds_read_b32 v8, v5
	v_add_u32_e32 v7, s11, v7
	s_waitcnt lgkmcnt(0)
	v_sub_f32_e32 v8, v8, v4
	v_mul_f32_e32 v9, 0x3fb8aa3b, v8
	v_fma_f32 v10, v8, s7, -v9
	v_rndne_f32_e32 v11, v9
	v_fmac_f32_e32 v10, 0x32a5705f, v8
	v_sub_f32_e32 v9, v9, v11
	v_add_f32_e32 v9, v9, v10
	v_cvt_i32_f32_e32 v11, v11
	v_exp_f32_e32 v9, v9
	v_cmp_ngt_f32_e32 vcc, s19, v8
	v_ldexp_f32 v9, v9, v11
	v_cndmask_b32_e32 v9, 0, v9, vcc
	v_cmp_nlt_f32_e32 vcc, s20, v8
	v_cndmask_b32_e32 v8, v6, v9, vcc
	v_cmp_le_i32_e32 vcc, s8, v7
	ds_write_b32 v5, v8
	v_add_f32_e32 v3, v3, v8
	s_or_b64 s[16:17], vcc, s[16:17]
	v_add_u32_e32 v5, s18, v5
	s_andn2_b64 exec, exec, s[16:17]
	s_cbranch_execnz .LBB259_6
; %bb.7:
	s_or_b64 exec, exec, s[16:17]
.LBB259_8:
	s_or_b64 exec, exec, s[2:3]
	s_waitcnt lgkmcnt(0)
	v_mov_b32_dpp v4, v3 quad_perm:[1,0,3,2] row_mask:0xf bank_mask:0xf
	v_add_f32_e32 v3, v3, v4
	s_barrier
	s_nop 0
	v_mov_b32_dpp v4, v3 quad_perm:[2,3,0,1] row_mask:0xf bank_mask:0xf
	v_add_f32_e32 v3, v3, v4
	s_nop 1
	v_mov_b32_dpp v4, v3 row_half_mirror row_mask:0xf bank_mask:0xf
	v_add_f32_e32 v3, v3, v4
	s_nop 1
	v_mov_b32_dpp v4, v3 row_mirror row_mask:0xf bank_mask:0xf
	v_add_f32_e32 v3, v3, v4
	s_nop 1
	v_mov_b32_dpp v4, v3 row_bcast:15 row_mask:0xf bank_mask:0xf
	v_add_f32_e32 v3, v3, v4
	s_nop 1
	v_mov_b32_dpp v4, v3 row_bcast:31 row_mask:0xf bank_mask:0xf
	v_add_f32_e32 v3, v3, v4
	ds_bpermute_b32 v2, v2, v3
	s_and_saveexec_b64 s[2:3], s[0:1]
	s_cbranch_execz .LBB259_11
; %bb.9:
	s_load_dword s7, s[4:5], 0x4c
	v_lshl_add_u32 v3, v0, 2, 0
	s_mov_b64 s[16:17], 0
	v_mov_b32_e32 v4, v0
	s_waitcnt lgkmcnt(0)
	s_and_b32 s7, s7, 0xffff
	s_lshl_b32 s11, s7, 2
.LBB259_10:                             ; =>This Inner Loop Header: Depth=1
	ds_read_b32 v5, v3
	v_add_u32_e32 v4, s7, v4
	v_cmp_le_i32_e32 vcc, s8, v4
	s_or_b64 s[16:17], vcc, s[16:17]
	s_waitcnt lgkmcnt(0)
	v_div_scale_f32 v6, s[18:19], v2, v2, v5
	v_rcp_f32_e32 v7, v6
	v_div_scale_f32 v8, vcc, v5, v2, v5
	v_fma_f32 v9, -v6, v7, 1.0
	v_fmac_f32_e32 v7, v9, v7
	v_mul_f32_e32 v9, v8, v7
	v_fma_f32 v10, -v6, v9, v8
	v_fmac_f32_e32 v9, v10, v7
	v_fma_f32 v6, -v6, v9, v8
	v_div_fmas_f32 v6, v6, v7, v9
	v_div_fixup_f32 v5, v6, v2, v5
	ds_write_b32 v3, v5
	v_add_u32_e32 v3, s11, v3
	s_andn2_b64 exec, exec, s[16:17]
	s_cbranch_execnz .LBB259_10
.LBB259_11:
	s_or_b64 exec, exec, s[2:3]
	s_lshr_b32 s2, s8, 31
	s_add_i32 s2, s8, s2
	s_ashr_i32 s11, s2, 1
	s_lshl_b32 s2, s8, 2
	s_add_i32 s7, s2, 0
	v_cmp_gt_u32_e32 vcc, 2, v0
	s_waitcnt lgkmcnt(0)
	s_barrier
	s_and_saveexec_b64 s[16:17], vcc
	s_cbranch_execz .LBB259_18
; %bb.12:
	s_load_dword s2, s[4:5], 0x4c
	v_mul_lo_u32 v2, v0, s11
	v_lshl_add_u32 v2, v2, 2, 0
	s_waitcnt lgkmcnt(0)
	s_and_b32 s22, s2, 0xffff
	s_cmp_gt_i32 s8, 1
	s_cselect_b64 s[2:3], -1, 0
	s_mul_i32 s18, s11, s22
	v_cndmask_b32_e64 v3, 0, 1, s[2:3]
	s_lshl_b32 s23, s18, 2
	s_mov_b64 s[18:19], 0
	v_cmp_ne_u32_e64 s[2:3], 1, v3
	v_mov_b32_e32 v3, v0
	s_branch .LBB259_14
.LBB259_13:                             ;   in Loop: Header=BB259_14 Depth=1
	v_lshl_add_u32 v5, v3, 2, s7
	v_add_u32_e32 v3, s22, v3
	v_cmp_lt_u32_e32 vcc, 1, v3
	s_or_b64 s[18:19], vcc, s[18:19]
	v_add_u32_e32 v2, s23, v2
	ds_write_b32 v5, v4
	s_andn2_b64 exec, exec, s[18:19]
	s_cbranch_execz .LBB259_18
.LBB259_14:                             ; =>This Loop Header: Depth=1
                                        ;     Child Loop BB259_16 Depth 2
	s_and_b64 vcc, exec, s[2:3]
	v_mov_b32_e32 v4, 0xff800000
	s_cbranch_vccnz .LBB259_13
; %bb.15:                               ;   in Loop: Header=BB259_14 Depth=1
	v_mul_lo_u32 v5, v3, s11
	v_add_u32_e32 v6, s11, v5
	s_mov_b64 s[20:21], 0
	v_mov_b32_e32 v4, 0xff800000
	v_mov_b32_e32 v7, v2
.LBB259_16:                             ;   Parent Loop BB259_14 Depth=1
                                        ; =>  This Inner Loop Header: Depth=2
	ds_read_b32 v8, v7
	v_add_u32_e32 v5, 1, v5
	v_cmp_ge_i32_e32 vcc, v5, v6
	s_or_b64 s[20:21], vcc, s[20:21]
	v_add_u32_e32 v7, 4, v7
	s_waitcnt lgkmcnt(0)
	v_cmp_gt_f32_e32 vcc, v8, v4
	v_cndmask_b32_e32 v4, v4, v8, vcc
	s_andn2_b64 exec, exec, s[20:21]
	s_cbranch_execnz .LBB259_16
; %bb.17:                               ;   in Loop: Header=BB259_14 Depth=1
	s_or_b64 exec, exec, s[20:21]
	s_branch .LBB259_13
.LBB259_18:
	s_or_b64 exec, exec, s[16:17]
	s_cmp_lt_i32 s10, 1
	s_waitcnt lgkmcnt(0)
	s_barrier
	s_cbranch_scc1 .LBB259_21
; %bb.19:
	v_mov_b32_e32 v2, s7
	s_mov_b32 s2, 0xff800000
	v_mov_b32_e32 v3, 0xff800000
.LBB259_20:                             ; =>This Inner Loop Header: Depth=1
	ds_read2_b32 v[4:5], v2 offset1:1
	s_add_i32 s10, s10, -1
	s_cmp_lg_u32 s10, 0
	s_waitcnt lgkmcnt(0)
	v_cmp_nlg_f32_e32 vcc, s2, v4
	v_cndmask_b32_e64 v6, 0, 1, vcc
	v_cmp_lg_f32_e32 vcc, s2, v4
	v_cndmask_b32_e32 v4, v3, v4, vcc
	v_lshlrev_b32_e32 v6, 1, v6
	v_cmp_ngt_f32_e32 vcc, v5, v4
	v_cndmask_b32_e32 v4, 1, v6, vcc
	v_lshlrev_b32_e32 v4, 2, v4
	v_add_u32_e32 v4, s7, v4
	ds_write_b32 v4, v3
	s_cbranch_scc1 .LBB259_20
.LBB259_21:
	s_and_saveexec_b64 s[2:3], s[0:1]
	s_cbranch_execz .LBB259_26
; %bb.22:
	s_abs_i32 s18, s11
	v_cvt_f32_u32_e32 v3, s18
	s_load_dword s16, s[4:5], 0x4c
	s_sub_i32 s17, 0, s18
	s_ashr_i32 s19, s11, 31
	v_rcp_iflag_f32_e32 v4, v3
	v_lshl_add_u32 v2, v0, 2, 0
	s_waitcnt lgkmcnt(0)
	s_and_b32 s21, s16, 0xffff
	s_mov_b64 s[10:11], 0
	v_mul_f32_e32 v4, 0x4f7ffffe, v4
	v_cvt_u32_f32_e32 v4, v4
	s_mov_b32 s20, 0xff800000
	v_mov_b32_e32 v3, 0xff800000
	s_lshl_b32 s22, s21, 2
	v_mul_lo_u32 v5, s17, v4
	v_mul_hi_u32 v5, v4, v5
	v_add_u32_e32 v4, v4, v5
	v_mov_b32_e32 v5, v0
	s_branch .LBB259_24
.LBB259_23:                             ;   in Loop: Header=BB259_24 Depth=1
	s_or_b64 exec, exec, s[16:17]
	v_add_u32_e32 v5, s21, v5
	v_cmp_le_i32_e32 vcc, s8, v5
	s_or_b64 s[10:11], vcc, s[10:11]
	v_add_u32_e32 v2, s22, v2
	s_andn2_b64 exec, exec, s[10:11]
	s_cbranch_execz .LBB259_26
.LBB259_24:                             ; =>This Inner Loop Header: Depth=1
	v_sub_u32_e32 v7, 0, v5
	v_max_i32_e32 v7, v5, v7
	v_mul_hi_u32 v8, v7, v4
	v_mul_lo_u32 v9, v8, s18
	v_sub_u32_e32 v7, v7, v9
	v_add_u32_e32 v9, 1, v8
	v_cmp_le_u32_e32 vcc, s18, v7
	v_cndmask_b32_e32 v8, v8, v9, vcc
	v_subrev_u32_e32 v9, s18, v7
	v_cndmask_b32_e32 v7, v7, v9, vcc
	v_ashrrev_i32_e32 v6, 31, v5
	v_add_u32_e32 v9, 1, v8
	v_cmp_le_u32_e32 vcc, s18, v7
	v_xor_b32_e32 v6, s19, v6
	v_cndmask_b32_e32 v7, v8, v9, vcc
	v_xor_b32_e32 v7, v7, v6
	v_sub_u32_e32 v6, v7, v6
	v_lshl_add_u32 v6, v6, 2, s7
	ds_read_b32 v6, v6
	s_waitcnt lgkmcnt(0)
	v_cmp_neq_f32_e32 vcc, s20, v6
	s_and_saveexec_b64 s[16:17], vcc
	s_cbranch_execz .LBB259_23
; %bb.25:                               ;   in Loop: Header=BB259_24 Depth=1
	ds_write_b32 v2, v3
	s_branch .LBB259_23
.LBB259_26:
	s_or_b64 exec, exec, s[2:3]
	s_cmp_lt_i32 s9, 1
	s_waitcnt lgkmcnt(0)
	s_barrier
	s_cbranch_scc1 .LBB259_33
; %bb.27:
	s_add_u32 s2, s4, 64
	s_addc_u32 s3, s5, 0
	s_mov_b32 s7, 0
	v_mov_b32_e32 v4, 0xff800000
                                        ; implicit-def: $vgpr3
                                        ; implicit-def: $vgpr2
	s_branch .LBB259_29
.LBB259_28:                             ;   in Loop: Header=BB259_29 Depth=1
	s_or_b64 exec, exec, s[10:11]
	v_mov_b32_dpp v8, v6 quad_perm:[1,0,3,2] row_mask:0xf bank_mask:0xf
	v_cmp_lt_f32_e32 vcc, v6, v8
	v_cndmask_b32_e32 v6, v6, v8, vcc
	v_mov_b32_dpp v7, v5 quad_perm:[1,0,3,2] row_mask:0xf bank_mask:0xf
	v_cndmask_b32_e32 v5, v5, v7, vcc
	v_mov_b32_dpp v8, v6 quad_perm:[2,3,0,1] row_mask:0xf bank_mask:0xf
	v_cmp_gt_f32_e32 vcc, v8, v6
	v_cndmask_b32_e32 v6, v6, v8, vcc
	v_mov_b32_dpp v7, v5 quad_perm:[2,3,0,1] row_mask:0xf bank_mask:0xf
	v_cndmask_b32_e32 v5, v5, v7, vcc
	v_mov_b32_dpp v8, v6 row_half_mirror row_mask:0xf bank_mask:0xf
	v_cmp_gt_f32_e32 vcc, v8, v6
	v_cndmask_b32_e32 v6, v6, v8, vcc
	v_mov_b32_dpp v7, v5 row_half_mirror row_mask:0xf bank_mask:0xf
	v_cndmask_b32_e32 v5, v5, v7, vcc
	v_mov_b32_dpp v8, v6 row_mirror row_mask:0xf bank_mask:0xf
	v_cmp_gt_f32_e32 vcc, v8, v6
	v_cndmask_b32_e32 v6, v6, v8, vcc
	v_mov_b32_dpp v7, v5 row_mirror row_mask:0xf bank_mask:0xf
	v_cndmask_b32_e32 v5, v5, v7, vcc
	v_mov_b32_dpp v8, v6 row_bcast:15 row_mask:0xf bank_mask:0xf
	v_cmp_gt_f32_e32 vcc, v8, v6
	v_mov_b32_dpp v7, v5 row_bcast:15 row_mask:0xf bank_mask:0xf
	v_cndmask_b32_e32 v6, v6, v8, vcc
	v_cndmask_b32_e32 v5, v5, v7, vcc
	s_nop 0
	v_mov_b32_dpp v8, v6 row_bcast:31 row_mask:0xf bank_mask:0xf
	v_mov_b32_dpp v7, v5 row_bcast:31 row_mask:0xf bank_mask:0xf
	v_cmp_gt_f32_e32 vcc, v8, v6
	v_cndmask_b32_e32 v5, v5, v7, vcc
	v_readlane_b32 s11, v5, 63
	s_lshl_b32 s16, s11, 2
	s_add_i32 s16, s16, 0
	v_cndmask_b32_e32 v6, v6, v8, vcc
	v_mov_b32_e32 v5, s16
	v_readlane_b32 s10, v6, 63
	ds_write_b32 v5, v4
	v_mov_b32_e32 v5, s11
	v_cmp_eq_u32_e32 vcc, s7, v0
	v_cndmask_b32_e32 v2, v2, v5, vcc
	v_mov_b32_e32 v5, s10
	s_add_i32 s7, s7, 1
	s_cmp_eq_u32 s7, s9
	v_cndmask_b32_e32 v3, v3, v5, vcc
	s_cbranch_scc1 .LBB259_34
.LBB259_29:                             ; =>This Loop Header: Depth=1
                                        ;     Child Loop BB259_31 Depth 2
	v_mov_b32_e32 v5, s7
	v_mov_b32_e32 v6, 0xff800000
	s_and_saveexec_b64 s[10:11], s[0:1]
	s_cbranch_execz .LBB259_28
; %bb.30:                               ;   in Loop: Header=BB259_29 Depth=1
	s_load_dword s18, s[2:3], 0xc
	s_mov_b64 s[16:17], 0
	v_mov_b32_e32 v5, s7
	v_mov_b32_e32 v6, 0xff800000
	;; [unrolled: 1-line block ×3, first 2 shown]
	s_waitcnt lgkmcnt(0)
	s_and_b32 s18, s18, 0xffff
	s_lshl_b32 s19, s18, 2
	v_mov_b32_e32 v8, v0
.LBB259_31:                             ;   Parent Loop BB259_29 Depth=1
                                        ; =>  This Inner Loop Header: Depth=2
	ds_read_b32 v9, v7
	v_add_u32_e32 v7, s19, v7
	s_waitcnt lgkmcnt(0)
	v_cmp_gt_f32_e32 vcc, v9, v6
	v_cndmask_b32_e32 v5, v5, v8, vcc
	v_add_u32_e32 v8, s18, v8
	v_cndmask_b32_e32 v6, v6, v9, vcc
	v_cmp_le_i32_e32 vcc, s8, v8
	s_or_b64 s[16:17], vcc, s[16:17]
	s_andn2_b64 exec, exec, s[16:17]
	s_cbranch_execnz .LBB259_31
; %bb.32:                               ;   in Loop: Header=BB259_29 Depth=1
	s_or_b64 exec, exec, s[16:17]
	s_branch .LBB259_28
.LBB259_33:
                                        ; implicit-def: $vgpr3
                                        ; implicit-def: $vgpr2
.LBB259_34:
	v_cmp_gt_i32_e32 vcc, s9, v0
	s_and_saveexec_b64 s[0:1], vcc
	s_cbranch_execz .LBB259_37
; %bb.35:
	s_load_dword s2, s[4:5], 0x38
	s_load_dwordx2 s[0:1], s[4:5], 0x20
	s_ashr_i32 s3, s6, 31
	s_load_dword s4, s[4:5], 0x4c
	v_mov_b32_e32 v4, s13
	s_waitcnt lgkmcnt(0)
	v_mul_f32_e32 v1, s2, v3
	s_mul_i32 s1, s6, s1
	s_mul_hi_u32 s2, s6, s0
	s_add_i32 s1, s2, s1
	s_mul_i32 s3, s3, s0
	s_add_i32 s5, s1, s3
	s_mul_i32 s2, s6, s0
	s_and_b32 s3, s4, 0xffff
	s_mov_b64 s[0:1], 0
	v_mov_b32_e32 v3, s5
	v_mov_b32_e32 v5, s15
.LBB259_36:                             ; =>This Inner Loop Header: Depth=1
	v_ashrrev_i32_e32 v7, 31, v0
	v_add_co_u32_e32 v6, vcc, s2, v0
	v_addc_co_u32_e32 v7, vcc, v3, v7, vcc
	v_add_u32_e32 v0, s3, v0
	v_cmp_le_i32_e32 vcc, s9, v0
	v_lshlrev_b64 v[6:7], 2, v[6:7]
	s_or_b64 s[0:1], vcc, s[0:1]
	v_add_co_u32_e32 v8, vcc, s12, v6
	v_addc_co_u32_e32 v9, vcc, v4, v7, vcc
	v_add_co_u32_e32 v6, vcc, s14, v6
	v_addc_co_u32_e32 v7, vcc, v5, v7, vcc
	global_store_dword v[8:9], v1, off
	global_store_dword v[6:7], v2, off
	s_andn2_b64 exec, exec, s[0:1]
	s_cbranch_execnz .LBB259_36
.LBB259_37:
	s_endpgm
	.section	.rodata,"a",@progbits
	.p2align	6, 0x0
	.amdhsa_kernel _ZN5aiter19grouped_topk_kernelIfDv1_fLi2ELb0ELb0ELb1EEEvPT_PKS2_PfPimiiiif
		.amdhsa_group_segment_fixed_size 0
		.amdhsa_private_segment_fixed_size 0
		.amdhsa_kernarg_size 320
		.amdhsa_user_sgpr_count 6
		.amdhsa_user_sgpr_private_segment_buffer 1
		.amdhsa_user_sgpr_dispatch_ptr 0
		.amdhsa_user_sgpr_queue_ptr 0
		.amdhsa_user_sgpr_kernarg_segment_ptr 1
		.amdhsa_user_sgpr_dispatch_id 0
		.amdhsa_user_sgpr_flat_scratch_init 0
		.amdhsa_user_sgpr_kernarg_preload_length 0
		.amdhsa_user_sgpr_kernarg_preload_offset 0
		.amdhsa_user_sgpr_private_segment_size 0
		.amdhsa_uses_dynamic_stack 0
		.amdhsa_system_sgpr_private_segment_wavefront_offset 0
		.amdhsa_system_sgpr_workgroup_id_x 1
		.amdhsa_system_sgpr_workgroup_id_y 0
		.amdhsa_system_sgpr_workgroup_id_z 0
		.amdhsa_system_sgpr_workgroup_info 0
		.amdhsa_system_vgpr_workitem_id 0
		.amdhsa_next_free_vgpr 12
		.amdhsa_next_free_sgpr 24
		.amdhsa_accum_offset 12
		.amdhsa_reserve_vcc 1
		.amdhsa_reserve_flat_scratch 0
		.amdhsa_float_round_mode_32 0
		.amdhsa_float_round_mode_16_64 0
		.amdhsa_float_denorm_mode_32 3
		.amdhsa_float_denorm_mode_16_64 3
		.amdhsa_dx10_clamp 1
		.amdhsa_ieee_mode 1
		.amdhsa_fp16_overflow 0
		.amdhsa_tg_split 0
		.amdhsa_exception_fp_ieee_invalid_op 0
		.amdhsa_exception_fp_denorm_src 0
		.amdhsa_exception_fp_ieee_div_zero 0
		.amdhsa_exception_fp_ieee_overflow 0
		.amdhsa_exception_fp_ieee_underflow 0
		.amdhsa_exception_fp_ieee_inexact 0
		.amdhsa_exception_int_div_zero 0
	.end_amdhsa_kernel
	.section	.text._ZN5aiter19grouped_topk_kernelIfDv1_fLi2ELb0ELb0ELb1EEEvPT_PKS2_PfPimiiiif,"axG",@progbits,_ZN5aiter19grouped_topk_kernelIfDv1_fLi2ELb0ELb0ELb1EEEvPT_PKS2_PfPimiiiif,comdat
.Lfunc_end259:
	.size	_ZN5aiter19grouped_topk_kernelIfDv1_fLi2ELb0ELb0ELb1EEEvPT_PKS2_PfPimiiiif, .Lfunc_end259-_ZN5aiter19grouped_topk_kernelIfDv1_fLi2ELb0ELb0ELb1EEEvPT_PKS2_PfPimiiiif
                                        ; -- End function
	.section	.AMDGPU.csdata,"",@progbits
; Kernel info:
; codeLenInByte = 2068
; NumSgprs: 28
; NumVgprs: 12
; NumAgprs: 0
; TotalNumVgprs: 12
; ScratchSize: 0
; MemoryBound: 0
; FloatMode: 240
; IeeeMode: 1
; LDSByteSize: 0 bytes/workgroup (compile time only)
; SGPRBlocks: 3
; VGPRBlocks: 1
; NumSGPRsForWavesPerEU: 28
; NumVGPRsForWavesPerEU: 12
; AccumOffset: 12
; Occupancy: 8
; WaveLimiterHint : 0
; COMPUTE_PGM_RSRC2:SCRATCH_EN: 0
; COMPUTE_PGM_RSRC2:USER_SGPR: 6
; COMPUTE_PGM_RSRC2:TRAP_HANDLER: 0
; COMPUTE_PGM_RSRC2:TGID_X_EN: 1
; COMPUTE_PGM_RSRC2:TGID_Y_EN: 0
; COMPUTE_PGM_RSRC2:TGID_Z_EN: 0
; COMPUTE_PGM_RSRC2:TIDIG_COMP_CNT: 0
; COMPUTE_PGM_RSRC3_GFX90A:ACCUM_OFFSET: 2
; COMPUTE_PGM_RSRC3_GFX90A:TG_SPLIT: 0
	.section	.text._ZN5aiter19grouped_topk_kernelIN3c104HalfEDv1_fLi2ELb0ELb0ELb1EEEvPT_PKS4_PfPimiiiif,"axG",@progbits,_ZN5aiter19grouped_topk_kernelIN3c104HalfEDv1_fLi2ELb0ELb0ELb1EEEvPT_PKS4_PfPimiiiif,comdat
	.protected	_ZN5aiter19grouped_topk_kernelIN3c104HalfEDv1_fLi2ELb0ELb0ELb1EEEvPT_PKS4_PfPimiiiif ; -- Begin function _ZN5aiter19grouped_topk_kernelIN3c104HalfEDv1_fLi2ELb0ELb0ELb1EEEvPT_PKS4_PfPimiiiif
	.globl	_ZN5aiter19grouped_topk_kernelIN3c104HalfEDv1_fLi2ELb0ELb0ELb1EEEvPT_PKS4_PfPimiiiif
	.p2align	8
	.type	_ZN5aiter19grouped_topk_kernelIN3c104HalfEDv1_fLi2ELb0ELb0ELb1EEEvPT_PKS4_PfPimiiiif,@function
_ZN5aiter19grouped_topk_kernelIN3c104HalfEDv1_fLi2ELb0ELb0ELb1EEEvPT_PKS4_PfPimiiiif: ; @_ZN5aiter19grouped_topk_kernelIN3c104HalfEDv1_fLi2ELb0ELb0ELb1EEEvPT_PKS4_PfPimiiiif
; %bb.0:
	s_load_dwordx4 s[8:11], s[4:5], 0x28
	s_load_dwordx4 s[12:15], s[4:5], 0x10
	v_mov_b32_e32 v2, 0xff800000
	v_lshl_add_u32 v1, v0, 2, 0
	s_waitcnt lgkmcnt(0)
	v_cmp_gt_i32_e64 s[0:1], s8, v0
	s_and_saveexec_b64 s[2:3], s[0:1]
	s_cbranch_execz .LBB260_4
; %bb.1:
	s_load_dword s11, s[4:5], 0x4c
	s_load_dwordx2 s[16:17], s[4:5], 0x0
	s_mul_i32 s7, s6, s8
	v_lshl_add_u32 v3, v0, 2, 0
	s_mov_b64 s[18:19], 0
	s_waitcnt lgkmcnt(0)
	s_and_b32 s11, s11, 0xffff
	s_lshl_b32 s20, s11, 2
	v_mov_b32_e32 v2, 0xff800000
	v_mov_b32_e32 v4, s17
	;; [unrolled: 1-line block ×3, first 2 shown]
.LBB260_2:                              ; =>This Inner Loop Header: Depth=1
	v_add_u32_e32 v6, s7, v5
	v_ashrrev_i32_e32 v7, 31, v6
	v_lshlrev_b64 v[6:7], 1, v[6:7]
	v_add_co_u32_e32 v6, vcc, s16, v6
	v_addc_co_u32_e32 v7, vcc, v4, v7, vcc
	global_load_ushort v6, v[6:7], off
	v_add_u32_e32 v5, s11, v5
	v_cmp_le_i32_e32 vcc, s8, v5
	s_or_b64 s[18:19], vcc, s[18:19]
	s_waitcnt vmcnt(0)
	v_cvt_f32_f16_e32 v6, v6
	v_cmp_lt_f32_e32 vcc, v2, v6
	ds_write_b32 v3, v6
	v_cndmask_b32_e32 v2, v2, v6, vcc
	v_add_u32_e32 v3, s20, v3
	s_andn2_b64 exec, exec, s[18:19]
	s_cbranch_execnz .LBB260_2
; %bb.3:
	s_or_b64 exec, exec, s[18:19]
.LBB260_4:
	s_or_b64 exec, exec, s[2:3]
	v_mov_b32_dpp v3, v2 quad_perm:[1,0,3,2] row_mask:0xf bank_mask:0xf
	v_cmp_lt_f32_e32 vcc, v2, v3
	v_cndmask_b32_e32 v2, v2, v3, vcc
	v_bfrev_b32_e32 v4, 0.5
	s_waitcnt lgkmcnt(0)
	v_mov_b32_dpp v3, v2 quad_perm:[2,3,0,1] row_mask:0xf bank_mask:0xf
	v_cmp_lt_f32_e32 vcc, v2, v3
	v_cndmask_b32_e32 v2, v2, v3, vcc
	s_barrier
	s_nop 0
	v_mov_b32_dpp v3, v2 row_half_mirror row_mask:0xf bank_mask:0xf
	v_cmp_lt_f32_e32 vcc, v2, v3
	v_cndmask_b32_e32 v2, v2, v3, vcc
	s_nop 1
	v_mov_b32_dpp v3, v2 row_mirror row_mask:0xf bank_mask:0xf
	v_cmp_lt_f32_e32 vcc, v2, v3
	v_cndmask_b32_e32 v2, v2, v3, vcc
	s_nop 1
	v_mov_b32_dpp v3, v2 row_bcast:15 row_mask:0xf bank_mask:0xf
	v_cmp_lt_f32_e32 vcc, v2, v3
	v_cndmask_b32_e32 v2, v2, v3, vcc
	s_nop 1
	v_mov_b32_dpp v3, v2 row_bcast:31 row_mask:0xf bank_mask:0xf
	v_cmp_lt_f32_e32 vcc, v2, v3
	v_cndmask_b32_e32 v3, v2, v3, vcc
	v_mbcnt_lo_u32_b32 v2, -1, 0
	v_mbcnt_hi_u32_b32 v2, -1, v2
	v_lshl_or_b32 v2, v2, 2, v4
	ds_bpermute_b32 v4, v2, v3
	v_mov_b32_e32 v3, 0
	s_and_saveexec_b64 s[2:3], s[0:1]
	s_cbranch_execz .LBB260_8
; %bb.5:
	s_load_dword s11, s[4:5], 0x4c
	v_lshl_add_u32 v5, v0, 2, 0
	s_mov_b64 s[16:17], 0
	v_mov_b32_e32 v3, 0
	s_mov_b32 s7, 0x3fb8aa3b
	s_waitcnt lgkmcnt(0)
	s_and_b32 s11, s11, 0xffff
	s_lshl_b32 s18, s11, 2
	s_mov_b32 s19, 0xc2ce8ed0
	s_mov_b32 s20, 0x42b17218
	v_mov_b32_e32 v6, 0x7f800000
	v_mov_b32_e32 v7, v0
.LBB260_6:                              ; =>This Inner Loop Header: Depth=1
	ds_read_b32 v8, v5
	v_add_u32_e32 v7, s11, v7
	s_waitcnt lgkmcnt(0)
	v_sub_f32_e32 v8, v8, v4
	v_mul_f32_e32 v9, 0x3fb8aa3b, v8
	v_fma_f32 v10, v8, s7, -v9
	v_rndne_f32_e32 v11, v9
	v_fmac_f32_e32 v10, 0x32a5705f, v8
	v_sub_f32_e32 v9, v9, v11
	v_add_f32_e32 v9, v9, v10
	v_cvt_i32_f32_e32 v11, v11
	v_exp_f32_e32 v9, v9
	v_cmp_ngt_f32_e32 vcc, s19, v8
	v_ldexp_f32 v9, v9, v11
	v_cndmask_b32_e32 v9, 0, v9, vcc
	v_cmp_nlt_f32_e32 vcc, s20, v8
	v_cndmask_b32_e32 v8, v6, v9, vcc
	v_cmp_le_i32_e32 vcc, s8, v7
	ds_write_b32 v5, v8
	v_add_f32_e32 v3, v3, v8
	s_or_b64 s[16:17], vcc, s[16:17]
	v_add_u32_e32 v5, s18, v5
	s_andn2_b64 exec, exec, s[16:17]
	s_cbranch_execnz .LBB260_6
; %bb.7:
	s_or_b64 exec, exec, s[16:17]
.LBB260_8:
	s_or_b64 exec, exec, s[2:3]
	s_waitcnt lgkmcnt(0)
	v_mov_b32_dpp v4, v3 quad_perm:[1,0,3,2] row_mask:0xf bank_mask:0xf
	v_add_f32_e32 v3, v3, v4
	s_barrier
	s_nop 0
	v_mov_b32_dpp v4, v3 quad_perm:[2,3,0,1] row_mask:0xf bank_mask:0xf
	v_add_f32_e32 v3, v3, v4
	s_nop 1
	v_mov_b32_dpp v4, v3 row_half_mirror row_mask:0xf bank_mask:0xf
	v_add_f32_e32 v3, v3, v4
	s_nop 1
	v_mov_b32_dpp v4, v3 row_mirror row_mask:0xf bank_mask:0xf
	v_add_f32_e32 v3, v3, v4
	s_nop 1
	v_mov_b32_dpp v4, v3 row_bcast:15 row_mask:0xf bank_mask:0xf
	v_add_f32_e32 v3, v3, v4
	s_nop 1
	v_mov_b32_dpp v4, v3 row_bcast:31 row_mask:0xf bank_mask:0xf
	v_add_f32_e32 v3, v3, v4
	ds_bpermute_b32 v2, v2, v3
	s_and_saveexec_b64 s[2:3], s[0:1]
	s_cbranch_execz .LBB260_11
; %bb.9:
	s_load_dword s7, s[4:5], 0x4c
	v_lshl_add_u32 v3, v0, 2, 0
	s_mov_b64 s[16:17], 0
	v_mov_b32_e32 v4, v0
	s_waitcnt lgkmcnt(0)
	s_and_b32 s7, s7, 0xffff
	s_lshl_b32 s11, s7, 2
.LBB260_10:                             ; =>This Inner Loop Header: Depth=1
	ds_read_b32 v5, v3
	v_add_u32_e32 v4, s7, v4
	v_cmp_le_i32_e32 vcc, s8, v4
	s_or_b64 s[16:17], vcc, s[16:17]
	s_waitcnt lgkmcnt(0)
	v_div_scale_f32 v6, s[18:19], v2, v2, v5
	v_rcp_f32_e32 v7, v6
	v_div_scale_f32 v8, vcc, v5, v2, v5
	v_fma_f32 v9, -v6, v7, 1.0
	v_fmac_f32_e32 v7, v9, v7
	v_mul_f32_e32 v9, v8, v7
	v_fma_f32 v10, -v6, v9, v8
	v_fmac_f32_e32 v9, v10, v7
	v_fma_f32 v6, -v6, v9, v8
	v_div_fmas_f32 v6, v6, v7, v9
	v_div_fixup_f32 v5, v6, v2, v5
	ds_write_b32 v3, v5
	v_add_u32_e32 v3, s11, v3
	s_andn2_b64 exec, exec, s[16:17]
	s_cbranch_execnz .LBB260_10
.LBB260_11:
	s_or_b64 exec, exec, s[2:3]
	s_lshr_b32 s2, s8, 31
	s_add_i32 s2, s8, s2
	s_ashr_i32 s11, s2, 1
	s_lshl_b32 s2, s8, 2
	s_add_i32 s7, s2, 0
	v_cmp_gt_u32_e32 vcc, 2, v0
	s_waitcnt lgkmcnt(0)
	s_barrier
	s_and_saveexec_b64 s[16:17], vcc
	s_cbranch_execz .LBB260_18
; %bb.12:
	s_load_dword s2, s[4:5], 0x4c
	v_mul_lo_u32 v2, v0, s11
	v_lshl_add_u32 v2, v2, 2, 0
	s_waitcnt lgkmcnt(0)
	s_and_b32 s22, s2, 0xffff
	s_cmp_gt_i32 s8, 1
	s_cselect_b64 s[2:3], -1, 0
	s_mul_i32 s18, s11, s22
	v_cndmask_b32_e64 v3, 0, 1, s[2:3]
	s_lshl_b32 s23, s18, 2
	s_mov_b64 s[18:19], 0
	v_cmp_ne_u32_e64 s[2:3], 1, v3
	v_mov_b32_e32 v3, v0
	s_branch .LBB260_14
.LBB260_13:                             ;   in Loop: Header=BB260_14 Depth=1
	v_lshl_add_u32 v5, v3, 2, s7
	v_add_u32_e32 v3, s22, v3
	v_cmp_lt_u32_e32 vcc, 1, v3
	s_or_b64 s[18:19], vcc, s[18:19]
	v_add_u32_e32 v2, s23, v2
	ds_write_b32 v5, v4
	s_andn2_b64 exec, exec, s[18:19]
	s_cbranch_execz .LBB260_18
.LBB260_14:                             ; =>This Loop Header: Depth=1
                                        ;     Child Loop BB260_16 Depth 2
	s_and_b64 vcc, exec, s[2:3]
	v_mov_b32_e32 v4, 0xff800000
	s_cbranch_vccnz .LBB260_13
; %bb.15:                               ;   in Loop: Header=BB260_14 Depth=1
	v_mul_lo_u32 v5, v3, s11
	v_add_u32_e32 v6, s11, v5
	s_mov_b64 s[20:21], 0
	v_mov_b32_e32 v4, 0xff800000
	v_mov_b32_e32 v7, v2
.LBB260_16:                             ;   Parent Loop BB260_14 Depth=1
                                        ; =>  This Inner Loop Header: Depth=2
	ds_read_b32 v8, v7
	v_add_u32_e32 v5, 1, v5
	v_cmp_ge_i32_e32 vcc, v5, v6
	s_or_b64 s[20:21], vcc, s[20:21]
	v_add_u32_e32 v7, 4, v7
	s_waitcnt lgkmcnt(0)
	v_cmp_gt_f32_e32 vcc, v8, v4
	v_cndmask_b32_e32 v4, v4, v8, vcc
	s_andn2_b64 exec, exec, s[20:21]
	s_cbranch_execnz .LBB260_16
; %bb.17:                               ;   in Loop: Header=BB260_14 Depth=1
	s_or_b64 exec, exec, s[20:21]
	s_branch .LBB260_13
.LBB260_18:
	s_or_b64 exec, exec, s[16:17]
	s_cmp_lt_i32 s10, 1
	s_waitcnt lgkmcnt(0)
	s_barrier
	s_cbranch_scc1 .LBB260_21
; %bb.19:
	v_mov_b32_e32 v2, s7
	s_mov_b32 s2, 0xff800000
	v_mov_b32_e32 v3, 0xff800000
.LBB260_20:                             ; =>This Inner Loop Header: Depth=1
	ds_read2_b32 v[4:5], v2 offset1:1
	s_add_i32 s10, s10, -1
	s_cmp_lg_u32 s10, 0
	s_waitcnt lgkmcnt(0)
	v_cmp_nlg_f32_e32 vcc, s2, v4
	v_cndmask_b32_e64 v6, 0, 1, vcc
	v_cmp_lg_f32_e32 vcc, s2, v4
	v_cndmask_b32_e32 v4, v3, v4, vcc
	v_lshlrev_b32_e32 v6, 1, v6
	v_cmp_ngt_f32_e32 vcc, v5, v4
	v_cndmask_b32_e32 v4, 1, v6, vcc
	v_lshlrev_b32_e32 v4, 2, v4
	v_add_u32_e32 v4, s7, v4
	ds_write_b32 v4, v3
	s_cbranch_scc1 .LBB260_20
.LBB260_21:
	s_and_saveexec_b64 s[2:3], s[0:1]
	s_cbranch_execz .LBB260_26
; %bb.22:
	s_abs_i32 s18, s11
	v_cvt_f32_u32_e32 v3, s18
	s_load_dword s16, s[4:5], 0x4c
	s_sub_i32 s17, 0, s18
	s_ashr_i32 s19, s11, 31
	v_rcp_iflag_f32_e32 v4, v3
	v_lshl_add_u32 v2, v0, 2, 0
	s_waitcnt lgkmcnt(0)
	s_and_b32 s21, s16, 0xffff
	s_mov_b64 s[10:11], 0
	v_mul_f32_e32 v4, 0x4f7ffffe, v4
	v_cvt_u32_f32_e32 v4, v4
	s_mov_b32 s20, 0xff800000
	v_mov_b32_e32 v3, 0xff800000
	s_lshl_b32 s22, s21, 2
	v_mul_lo_u32 v5, s17, v4
	v_mul_hi_u32 v5, v4, v5
	v_add_u32_e32 v4, v4, v5
	v_mov_b32_e32 v5, v0
	s_branch .LBB260_24
.LBB260_23:                             ;   in Loop: Header=BB260_24 Depth=1
	s_or_b64 exec, exec, s[16:17]
	v_add_u32_e32 v5, s21, v5
	v_cmp_le_i32_e32 vcc, s8, v5
	s_or_b64 s[10:11], vcc, s[10:11]
	v_add_u32_e32 v2, s22, v2
	s_andn2_b64 exec, exec, s[10:11]
	s_cbranch_execz .LBB260_26
.LBB260_24:                             ; =>This Inner Loop Header: Depth=1
	v_sub_u32_e32 v7, 0, v5
	v_max_i32_e32 v7, v5, v7
	v_mul_hi_u32 v8, v7, v4
	v_mul_lo_u32 v9, v8, s18
	v_sub_u32_e32 v7, v7, v9
	v_add_u32_e32 v9, 1, v8
	v_cmp_le_u32_e32 vcc, s18, v7
	v_cndmask_b32_e32 v8, v8, v9, vcc
	v_subrev_u32_e32 v9, s18, v7
	v_cndmask_b32_e32 v7, v7, v9, vcc
	v_ashrrev_i32_e32 v6, 31, v5
	v_add_u32_e32 v9, 1, v8
	v_cmp_le_u32_e32 vcc, s18, v7
	v_xor_b32_e32 v6, s19, v6
	v_cndmask_b32_e32 v7, v8, v9, vcc
	v_xor_b32_e32 v7, v7, v6
	v_sub_u32_e32 v6, v7, v6
	v_lshl_add_u32 v6, v6, 2, s7
	ds_read_b32 v6, v6
	s_waitcnt lgkmcnt(0)
	v_cmp_neq_f32_e32 vcc, s20, v6
	s_and_saveexec_b64 s[16:17], vcc
	s_cbranch_execz .LBB260_23
; %bb.25:                               ;   in Loop: Header=BB260_24 Depth=1
	ds_write_b32 v2, v3
	s_branch .LBB260_23
.LBB260_26:
	s_or_b64 exec, exec, s[2:3]
	s_cmp_lt_i32 s9, 1
	s_waitcnt lgkmcnt(0)
	s_barrier
	s_cbranch_scc1 .LBB260_33
; %bb.27:
	s_add_u32 s2, s4, 64
	s_addc_u32 s3, s5, 0
	s_mov_b32 s7, 0
	v_mov_b32_e32 v4, 0xff800000
                                        ; implicit-def: $vgpr3
                                        ; implicit-def: $vgpr2
	s_branch .LBB260_29
.LBB260_28:                             ;   in Loop: Header=BB260_29 Depth=1
	s_or_b64 exec, exec, s[10:11]
	v_mov_b32_dpp v8, v6 quad_perm:[1,0,3,2] row_mask:0xf bank_mask:0xf
	v_cmp_lt_f32_e32 vcc, v6, v8
	v_cndmask_b32_e32 v6, v6, v8, vcc
	v_mov_b32_dpp v7, v5 quad_perm:[1,0,3,2] row_mask:0xf bank_mask:0xf
	v_cndmask_b32_e32 v5, v5, v7, vcc
	v_mov_b32_dpp v8, v6 quad_perm:[2,3,0,1] row_mask:0xf bank_mask:0xf
	v_cmp_gt_f32_e32 vcc, v8, v6
	v_cndmask_b32_e32 v6, v6, v8, vcc
	v_mov_b32_dpp v7, v5 quad_perm:[2,3,0,1] row_mask:0xf bank_mask:0xf
	v_cndmask_b32_e32 v5, v5, v7, vcc
	v_mov_b32_dpp v8, v6 row_half_mirror row_mask:0xf bank_mask:0xf
	v_cmp_gt_f32_e32 vcc, v8, v6
	v_cndmask_b32_e32 v6, v6, v8, vcc
	v_mov_b32_dpp v7, v5 row_half_mirror row_mask:0xf bank_mask:0xf
	v_cndmask_b32_e32 v5, v5, v7, vcc
	v_mov_b32_dpp v8, v6 row_mirror row_mask:0xf bank_mask:0xf
	v_cmp_gt_f32_e32 vcc, v8, v6
	v_cndmask_b32_e32 v6, v6, v8, vcc
	v_mov_b32_dpp v7, v5 row_mirror row_mask:0xf bank_mask:0xf
	v_cndmask_b32_e32 v5, v5, v7, vcc
	v_mov_b32_dpp v8, v6 row_bcast:15 row_mask:0xf bank_mask:0xf
	v_cmp_gt_f32_e32 vcc, v8, v6
	v_mov_b32_dpp v7, v5 row_bcast:15 row_mask:0xf bank_mask:0xf
	v_cndmask_b32_e32 v6, v6, v8, vcc
	v_cndmask_b32_e32 v5, v5, v7, vcc
	s_nop 0
	v_mov_b32_dpp v8, v6 row_bcast:31 row_mask:0xf bank_mask:0xf
	v_mov_b32_dpp v7, v5 row_bcast:31 row_mask:0xf bank_mask:0xf
	v_cmp_gt_f32_e32 vcc, v8, v6
	v_cndmask_b32_e32 v5, v5, v7, vcc
	v_readlane_b32 s11, v5, 63
	s_lshl_b32 s16, s11, 2
	s_add_i32 s16, s16, 0
	v_cndmask_b32_e32 v6, v6, v8, vcc
	v_mov_b32_e32 v5, s16
	v_readlane_b32 s10, v6, 63
	ds_write_b32 v5, v4
	v_mov_b32_e32 v5, s11
	v_cmp_eq_u32_e32 vcc, s7, v0
	v_cndmask_b32_e32 v2, v2, v5, vcc
	v_mov_b32_e32 v5, s10
	s_add_i32 s7, s7, 1
	s_cmp_eq_u32 s7, s9
	v_cndmask_b32_e32 v3, v3, v5, vcc
	s_cbranch_scc1 .LBB260_34
.LBB260_29:                             ; =>This Loop Header: Depth=1
                                        ;     Child Loop BB260_31 Depth 2
	v_mov_b32_e32 v5, s7
	v_mov_b32_e32 v6, 0xff800000
	s_and_saveexec_b64 s[10:11], s[0:1]
	s_cbranch_execz .LBB260_28
; %bb.30:                               ;   in Loop: Header=BB260_29 Depth=1
	s_load_dword s18, s[2:3], 0xc
	s_mov_b64 s[16:17], 0
	v_mov_b32_e32 v5, s7
	v_mov_b32_e32 v6, 0xff800000
	;; [unrolled: 1-line block ×3, first 2 shown]
	s_waitcnt lgkmcnt(0)
	s_and_b32 s18, s18, 0xffff
	s_lshl_b32 s19, s18, 2
	v_mov_b32_e32 v8, v0
.LBB260_31:                             ;   Parent Loop BB260_29 Depth=1
                                        ; =>  This Inner Loop Header: Depth=2
	ds_read_b32 v9, v7
	v_add_u32_e32 v7, s19, v7
	s_waitcnt lgkmcnt(0)
	v_cmp_gt_f32_e32 vcc, v9, v6
	v_cndmask_b32_e32 v5, v5, v8, vcc
	v_add_u32_e32 v8, s18, v8
	v_cndmask_b32_e32 v6, v6, v9, vcc
	v_cmp_le_i32_e32 vcc, s8, v8
	s_or_b64 s[16:17], vcc, s[16:17]
	s_andn2_b64 exec, exec, s[16:17]
	s_cbranch_execnz .LBB260_31
; %bb.32:                               ;   in Loop: Header=BB260_29 Depth=1
	s_or_b64 exec, exec, s[16:17]
	s_branch .LBB260_28
.LBB260_33:
                                        ; implicit-def: $vgpr3
                                        ; implicit-def: $vgpr2
.LBB260_34:
	v_cmp_gt_i32_e32 vcc, s9, v0
	s_and_saveexec_b64 s[0:1], vcc
	s_cbranch_execz .LBB260_37
; %bb.35:
	s_load_dword s2, s[4:5], 0x38
	s_load_dwordx2 s[0:1], s[4:5], 0x20
	s_ashr_i32 s3, s6, 31
	s_load_dword s4, s[4:5], 0x4c
	v_mov_b32_e32 v4, s13
	s_waitcnt lgkmcnt(0)
	v_mul_f32_e32 v1, s2, v3
	s_mul_i32 s1, s6, s1
	s_mul_hi_u32 s2, s6, s0
	s_add_i32 s1, s2, s1
	s_mul_i32 s3, s3, s0
	s_add_i32 s5, s1, s3
	s_mul_i32 s2, s6, s0
	s_and_b32 s3, s4, 0xffff
	s_mov_b64 s[0:1], 0
	v_mov_b32_e32 v3, s5
	v_mov_b32_e32 v5, s15
.LBB260_36:                             ; =>This Inner Loop Header: Depth=1
	v_ashrrev_i32_e32 v7, 31, v0
	v_add_co_u32_e32 v6, vcc, s2, v0
	v_addc_co_u32_e32 v7, vcc, v3, v7, vcc
	v_add_u32_e32 v0, s3, v0
	v_cmp_le_i32_e32 vcc, s9, v0
	v_lshlrev_b64 v[6:7], 2, v[6:7]
	s_or_b64 s[0:1], vcc, s[0:1]
	v_add_co_u32_e32 v8, vcc, s12, v6
	v_addc_co_u32_e32 v9, vcc, v4, v7, vcc
	v_add_co_u32_e32 v6, vcc, s14, v6
	v_addc_co_u32_e32 v7, vcc, v5, v7, vcc
	global_store_dword v[8:9], v1, off
	global_store_dword v[6:7], v2, off
	s_andn2_b64 exec, exec, s[0:1]
	s_cbranch_execnz .LBB260_36
.LBB260_37:
	s_endpgm
	.section	.rodata,"a",@progbits
	.p2align	6, 0x0
	.amdhsa_kernel _ZN5aiter19grouped_topk_kernelIN3c104HalfEDv1_fLi2ELb0ELb0ELb1EEEvPT_PKS4_PfPimiiiif
		.amdhsa_group_segment_fixed_size 0
		.amdhsa_private_segment_fixed_size 0
		.amdhsa_kernarg_size 320
		.amdhsa_user_sgpr_count 6
		.amdhsa_user_sgpr_private_segment_buffer 1
		.amdhsa_user_sgpr_dispatch_ptr 0
		.amdhsa_user_sgpr_queue_ptr 0
		.amdhsa_user_sgpr_kernarg_segment_ptr 1
		.amdhsa_user_sgpr_dispatch_id 0
		.amdhsa_user_sgpr_flat_scratch_init 0
		.amdhsa_user_sgpr_kernarg_preload_length 0
		.amdhsa_user_sgpr_kernarg_preload_offset 0
		.amdhsa_user_sgpr_private_segment_size 0
		.amdhsa_uses_dynamic_stack 0
		.amdhsa_system_sgpr_private_segment_wavefront_offset 0
		.amdhsa_system_sgpr_workgroup_id_x 1
		.amdhsa_system_sgpr_workgroup_id_y 0
		.amdhsa_system_sgpr_workgroup_id_z 0
		.amdhsa_system_sgpr_workgroup_info 0
		.amdhsa_system_vgpr_workitem_id 0
		.amdhsa_next_free_vgpr 12
		.amdhsa_next_free_sgpr 24
		.amdhsa_accum_offset 12
		.amdhsa_reserve_vcc 1
		.amdhsa_reserve_flat_scratch 0
		.amdhsa_float_round_mode_32 0
		.amdhsa_float_round_mode_16_64 0
		.amdhsa_float_denorm_mode_32 3
		.amdhsa_float_denorm_mode_16_64 3
		.amdhsa_dx10_clamp 1
		.amdhsa_ieee_mode 1
		.amdhsa_fp16_overflow 0
		.amdhsa_tg_split 0
		.amdhsa_exception_fp_ieee_invalid_op 0
		.amdhsa_exception_fp_denorm_src 0
		.amdhsa_exception_fp_ieee_div_zero 0
		.amdhsa_exception_fp_ieee_overflow 0
		.amdhsa_exception_fp_ieee_underflow 0
		.amdhsa_exception_fp_ieee_inexact 0
		.amdhsa_exception_int_div_zero 0
	.end_amdhsa_kernel
	.section	.text._ZN5aiter19grouped_topk_kernelIN3c104HalfEDv1_fLi2ELb0ELb0ELb1EEEvPT_PKS4_PfPimiiiif,"axG",@progbits,_ZN5aiter19grouped_topk_kernelIN3c104HalfEDv1_fLi2ELb0ELb0ELb1EEEvPT_PKS4_PfPimiiiif,comdat
.Lfunc_end260:
	.size	_ZN5aiter19grouped_topk_kernelIN3c104HalfEDv1_fLi2ELb0ELb0ELb1EEEvPT_PKS4_PfPimiiiif, .Lfunc_end260-_ZN5aiter19grouped_topk_kernelIN3c104HalfEDv1_fLi2ELb0ELb0ELb1EEEvPT_PKS4_PfPimiiiif
                                        ; -- End function
	.section	.AMDGPU.csdata,"",@progbits
; Kernel info:
; codeLenInByte = 2072
; NumSgprs: 28
; NumVgprs: 12
; NumAgprs: 0
; TotalNumVgprs: 12
; ScratchSize: 0
; MemoryBound: 0
; FloatMode: 240
; IeeeMode: 1
; LDSByteSize: 0 bytes/workgroup (compile time only)
; SGPRBlocks: 3
; VGPRBlocks: 1
; NumSGPRsForWavesPerEU: 28
; NumVGPRsForWavesPerEU: 12
; AccumOffset: 12
; Occupancy: 8
; WaveLimiterHint : 0
; COMPUTE_PGM_RSRC2:SCRATCH_EN: 0
; COMPUTE_PGM_RSRC2:USER_SGPR: 6
; COMPUTE_PGM_RSRC2:TRAP_HANDLER: 0
; COMPUTE_PGM_RSRC2:TGID_X_EN: 1
; COMPUTE_PGM_RSRC2:TGID_Y_EN: 0
; COMPUTE_PGM_RSRC2:TGID_Z_EN: 0
; COMPUTE_PGM_RSRC2:TIDIG_COMP_CNT: 0
; COMPUTE_PGM_RSRC3_GFX90A:ACCUM_OFFSET: 2
; COMPUTE_PGM_RSRC3_GFX90A:TG_SPLIT: 0
	.section	.text._ZN5aiter19grouped_topk_kernelIN3c108BFloat16EDv1_fLi2ELb0ELb0ELb1EEEvPT_PKS4_PfPimiiiif,"axG",@progbits,_ZN5aiter19grouped_topk_kernelIN3c108BFloat16EDv1_fLi2ELb0ELb0ELb1EEEvPT_PKS4_PfPimiiiif,comdat
	.protected	_ZN5aiter19grouped_topk_kernelIN3c108BFloat16EDv1_fLi2ELb0ELb0ELb1EEEvPT_PKS4_PfPimiiiif ; -- Begin function _ZN5aiter19grouped_topk_kernelIN3c108BFloat16EDv1_fLi2ELb0ELb0ELb1EEEvPT_PKS4_PfPimiiiif
	.globl	_ZN5aiter19grouped_topk_kernelIN3c108BFloat16EDv1_fLi2ELb0ELb0ELb1EEEvPT_PKS4_PfPimiiiif
	.p2align	8
	.type	_ZN5aiter19grouped_topk_kernelIN3c108BFloat16EDv1_fLi2ELb0ELb0ELb1EEEvPT_PKS4_PfPimiiiif,@function
_ZN5aiter19grouped_topk_kernelIN3c108BFloat16EDv1_fLi2ELb0ELb0ELb1EEEvPT_PKS4_PfPimiiiif: ; @_ZN5aiter19grouped_topk_kernelIN3c108BFloat16EDv1_fLi2ELb0ELb0ELb1EEEvPT_PKS4_PfPimiiiif
; %bb.0:
	s_load_dwordx4 s[8:11], s[4:5], 0x28
	s_load_dwordx4 s[12:15], s[4:5], 0x10
	v_mov_b32_e32 v2, 0xff800000
	v_lshl_add_u32 v1, v0, 2, 0
	s_waitcnt lgkmcnt(0)
	v_cmp_gt_i32_e64 s[0:1], s8, v0
	s_and_saveexec_b64 s[2:3], s[0:1]
	s_cbranch_execz .LBB261_4
; %bb.1:
	s_load_dword s11, s[4:5], 0x4c
	s_load_dwordx2 s[16:17], s[4:5], 0x0
	s_mul_i32 s7, s6, s8
	v_lshl_add_u32 v3, v0, 2, 0
	s_mov_b64 s[18:19], 0
	s_waitcnt lgkmcnt(0)
	s_and_b32 s11, s11, 0xffff
	s_lshl_b32 s20, s11, 2
	v_mov_b32_e32 v2, 0xff800000
	v_mov_b32_e32 v4, s17
	;; [unrolled: 1-line block ×3, first 2 shown]
.LBB261_2:                              ; =>This Inner Loop Header: Depth=1
	v_add_u32_e32 v6, s7, v5
	v_ashrrev_i32_e32 v7, 31, v6
	v_lshlrev_b64 v[6:7], 1, v[6:7]
	v_add_co_u32_e32 v6, vcc, s16, v6
	v_addc_co_u32_e32 v7, vcc, v4, v7, vcc
	global_load_ushort v6, v[6:7], off
	v_add_u32_e32 v5, s11, v5
	v_cmp_le_i32_e32 vcc, s8, v5
	s_or_b64 s[18:19], vcc, s[18:19]
	s_waitcnt vmcnt(0)
	v_lshrrev_b16_e32 v7, 8, v6
	v_and_b32_e32 v6, 0xff, v6
	v_lshlrev_b32_e32 v6, 16, v6
	v_lshl_or_b32 v6, v7, 24, v6
	v_cmp_lt_f32_e32 vcc, v2, v6
	ds_write_b32 v3, v6
	v_cndmask_b32_e32 v2, v2, v6, vcc
	v_add_u32_e32 v3, s20, v3
	s_andn2_b64 exec, exec, s[18:19]
	s_cbranch_execnz .LBB261_2
; %bb.3:
	s_or_b64 exec, exec, s[18:19]
.LBB261_4:
	s_or_b64 exec, exec, s[2:3]
	v_mov_b32_dpp v3, v2 quad_perm:[1,0,3,2] row_mask:0xf bank_mask:0xf
	v_cmp_lt_f32_e32 vcc, v2, v3
	v_cndmask_b32_e32 v2, v2, v3, vcc
	v_bfrev_b32_e32 v4, 0.5
	s_waitcnt lgkmcnt(0)
	v_mov_b32_dpp v3, v2 quad_perm:[2,3,0,1] row_mask:0xf bank_mask:0xf
	v_cmp_lt_f32_e32 vcc, v2, v3
	v_cndmask_b32_e32 v2, v2, v3, vcc
	s_barrier
	s_nop 0
	v_mov_b32_dpp v3, v2 row_half_mirror row_mask:0xf bank_mask:0xf
	v_cmp_lt_f32_e32 vcc, v2, v3
	v_cndmask_b32_e32 v2, v2, v3, vcc
	s_nop 1
	v_mov_b32_dpp v3, v2 row_mirror row_mask:0xf bank_mask:0xf
	v_cmp_lt_f32_e32 vcc, v2, v3
	v_cndmask_b32_e32 v2, v2, v3, vcc
	s_nop 1
	v_mov_b32_dpp v3, v2 row_bcast:15 row_mask:0xf bank_mask:0xf
	v_cmp_lt_f32_e32 vcc, v2, v3
	v_cndmask_b32_e32 v2, v2, v3, vcc
	s_nop 1
	v_mov_b32_dpp v3, v2 row_bcast:31 row_mask:0xf bank_mask:0xf
	v_cmp_lt_f32_e32 vcc, v2, v3
	v_cndmask_b32_e32 v3, v2, v3, vcc
	v_mbcnt_lo_u32_b32 v2, -1, 0
	v_mbcnt_hi_u32_b32 v2, -1, v2
	v_lshl_or_b32 v2, v2, 2, v4
	ds_bpermute_b32 v4, v2, v3
	v_mov_b32_e32 v3, 0
	s_and_saveexec_b64 s[2:3], s[0:1]
	s_cbranch_execz .LBB261_8
; %bb.5:
	s_load_dword s11, s[4:5], 0x4c
	v_lshl_add_u32 v5, v0, 2, 0
	s_mov_b64 s[16:17], 0
	v_mov_b32_e32 v3, 0
	s_mov_b32 s7, 0x3fb8aa3b
	s_waitcnt lgkmcnt(0)
	s_and_b32 s11, s11, 0xffff
	s_lshl_b32 s18, s11, 2
	s_mov_b32 s19, 0xc2ce8ed0
	s_mov_b32 s20, 0x42b17218
	v_mov_b32_e32 v6, 0x7f800000
	v_mov_b32_e32 v7, v0
.LBB261_6:                              ; =>This Inner Loop Header: Depth=1
	ds_read_b32 v8, v5
	v_add_u32_e32 v7, s11, v7
	s_waitcnt lgkmcnt(0)
	v_sub_f32_e32 v8, v8, v4
	v_mul_f32_e32 v9, 0x3fb8aa3b, v8
	v_fma_f32 v10, v8, s7, -v9
	v_rndne_f32_e32 v11, v9
	v_fmac_f32_e32 v10, 0x32a5705f, v8
	v_sub_f32_e32 v9, v9, v11
	v_add_f32_e32 v9, v9, v10
	v_cvt_i32_f32_e32 v11, v11
	v_exp_f32_e32 v9, v9
	v_cmp_ngt_f32_e32 vcc, s19, v8
	v_ldexp_f32 v9, v9, v11
	v_cndmask_b32_e32 v9, 0, v9, vcc
	v_cmp_nlt_f32_e32 vcc, s20, v8
	v_cndmask_b32_e32 v8, v6, v9, vcc
	v_cmp_le_i32_e32 vcc, s8, v7
	ds_write_b32 v5, v8
	v_add_f32_e32 v3, v3, v8
	s_or_b64 s[16:17], vcc, s[16:17]
	v_add_u32_e32 v5, s18, v5
	s_andn2_b64 exec, exec, s[16:17]
	s_cbranch_execnz .LBB261_6
; %bb.7:
	s_or_b64 exec, exec, s[16:17]
.LBB261_8:
	s_or_b64 exec, exec, s[2:3]
	s_waitcnt lgkmcnt(0)
	v_mov_b32_dpp v4, v3 quad_perm:[1,0,3,2] row_mask:0xf bank_mask:0xf
	v_add_f32_e32 v3, v3, v4
	s_barrier
	s_nop 0
	v_mov_b32_dpp v4, v3 quad_perm:[2,3,0,1] row_mask:0xf bank_mask:0xf
	v_add_f32_e32 v3, v3, v4
	s_nop 1
	v_mov_b32_dpp v4, v3 row_half_mirror row_mask:0xf bank_mask:0xf
	v_add_f32_e32 v3, v3, v4
	s_nop 1
	v_mov_b32_dpp v4, v3 row_mirror row_mask:0xf bank_mask:0xf
	v_add_f32_e32 v3, v3, v4
	s_nop 1
	v_mov_b32_dpp v4, v3 row_bcast:15 row_mask:0xf bank_mask:0xf
	v_add_f32_e32 v3, v3, v4
	s_nop 1
	v_mov_b32_dpp v4, v3 row_bcast:31 row_mask:0xf bank_mask:0xf
	v_add_f32_e32 v3, v3, v4
	ds_bpermute_b32 v2, v2, v3
	s_and_saveexec_b64 s[2:3], s[0:1]
	s_cbranch_execz .LBB261_11
; %bb.9:
	s_load_dword s7, s[4:5], 0x4c
	v_lshl_add_u32 v3, v0, 2, 0
	s_mov_b64 s[16:17], 0
	v_mov_b32_e32 v4, v0
	s_waitcnt lgkmcnt(0)
	s_and_b32 s7, s7, 0xffff
	s_lshl_b32 s11, s7, 2
.LBB261_10:                             ; =>This Inner Loop Header: Depth=1
	ds_read_b32 v5, v3
	v_add_u32_e32 v4, s7, v4
	v_cmp_le_i32_e32 vcc, s8, v4
	s_or_b64 s[16:17], vcc, s[16:17]
	s_waitcnt lgkmcnt(0)
	v_div_scale_f32 v6, s[18:19], v2, v2, v5
	v_rcp_f32_e32 v7, v6
	v_div_scale_f32 v8, vcc, v5, v2, v5
	v_fma_f32 v9, -v6, v7, 1.0
	v_fmac_f32_e32 v7, v9, v7
	v_mul_f32_e32 v9, v8, v7
	v_fma_f32 v10, -v6, v9, v8
	v_fmac_f32_e32 v9, v10, v7
	v_fma_f32 v6, -v6, v9, v8
	v_div_fmas_f32 v6, v6, v7, v9
	v_div_fixup_f32 v5, v6, v2, v5
	ds_write_b32 v3, v5
	v_add_u32_e32 v3, s11, v3
	s_andn2_b64 exec, exec, s[16:17]
	s_cbranch_execnz .LBB261_10
.LBB261_11:
	s_or_b64 exec, exec, s[2:3]
	s_lshr_b32 s2, s8, 31
	s_add_i32 s2, s8, s2
	s_ashr_i32 s11, s2, 1
	s_lshl_b32 s2, s8, 2
	s_add_i32 s7, s2, 0
	v_cmp_gt_u32_e32 vcc, 2, v0
	s_waitcnt lgkmcnt(0)
	s_barrier
	s_and_saveexec_b64 s[16:17], vcc
	s_cbranch_execz .LBB261_18
; %bb.12:
	s_load_dword s2, s[4:5], 0x4c
	v_mul_lo_u32 v2, v0, s11
	v_lshl_add_u32 v2, v2, 2, 0
	s_waitcnt lgkmcnt(0)
	s_and_b32 s22, s2, 0xffff
	s_cmp_gt_i32 s8, 1
	s_cselect_b64 s[2:3], -1, 0
	s_mul_i32 s18, s11, s22
	v_cndmask_b32_e64 v3, 0, 1, s[2:3]
	s_lshl_b32 s23, s18, 2
	s_mov_b64 s[18:19], 0
	v_cmp_ne_u32_e64 s[2:3], 1, v3
	v_mov_b32_e32 v3, v0
	s_branch .LBB261_14
.LBB261_13:                             ;   in Loop: Header=BB261_14 Depth=1
	v_lshl_add_u32 v5, v3, 2, s7
	v_add_u32_e32 v3, s22, v3
	v_cmp_lt_u32_e32 vcc, 1, v3
	s_or_b64 s[18:19], vcc, s[18:19]
	v_add_u32_e32 v2, s23, v2
	ds_write_b32 v5, v4
	s_andn2_b64 exec, exec, s[18:19]
	s_cbranch_execz .LBB261_18
.LBB261_14:                             ; =>This Loop Header: Depth=1
                                        ;     Child Loop BB261_16 Depth 2
	s_and_b64 vcc, exec, s[2:3]
	v_mov_b32_e32 v4, 0xff800000
	s_cbranch_vccnz .LBB261_13
; %bb.15:                               ;   in Loop: Header=BB261_14 Depth=1
	v_mul_lo_u32 v5, v3, s11
	v_add_u32_e32 v6, s11, v5
	s_mov_b64 s[20:21], 0
	v_mov_b32_e32 v4, 0xff800000
	v_mov_b32_e32 v7, v2
.LBB261_16:                             ;   Parent Loop BB261_14 Depth=1
                                        ; =>  This Inner Loop Header: Depth=2
	ds_read_b32 v8, v7
	v_add_u32_e32 v5, 1, v5
	v_cmp_ge_i32_e32 vcc, v5, v6
	s_or_b64 s[20:21], vcc, s[20:21]
	v_add_u32_e32 v7, 4, v7
	s_waitcnt lgkmcnt(0)
	v_cmp_gt_f32_e32 vcc, v8, v4
	v_cndmask_b32_e32 v4, v4, v8, vcc
	s_andn2_b64 exec, exec, s[20:21]
	s_cbranch_execnz .LBB261_16
; %bb.17:                               ;   in Loop: Header=BB261_14 Depth=1
	s_or_b64 exec, exec, s[20:21]
	s_branch .LBB261_13
.LBB261_18:
	s_or_b64 exec, exec, s[16:17]
	s_cmp_lt_i32 s10, 1
	s_waitcnt lgkmcnt(0)
	s_barrier
	s_cbranch_scc1 .LBB261_21
; %bb.19:
	v_mov_b32_e32 v2, s7
	s_mov_b32 s2, 0xff800000
	v_mov_b32_e32 v3, 0xff800000
.LBB261_20:                             ; =>This Inner Loop Header: Depth=1
	ds_read2_b32 v[4:5], v2 offset1:1
	s_add_i32 s10, s10, -1
	s_cmp_lg_u32 s10, 0
	s_waitcnt lgkmcnt(0)
	v_cmp_nlg_f32_e32 vcc, s2, v4
	v_cndmask_b32_e64 v6, 0, 1, vcc
	v_cmp_lg_f32_e32 vcc, s2, v4
	v_cndmask_b32_e32 v4, v3, v4, vcc
	v_lshlrev_b32_e32 v6, 1, v6
	v_cmp_ngt_f32_e32 vcc, v5, v4
	v_cndmask_b32_e32 v4, 1, v6, vcc
	v_lshlrev_b32_e32 v4, 2, v4
	v_add_u32_e32 v4, s7, v4
	ds_write_b32 v4, v3
	s_cbranch_scc1 .LBB261_20
.LBB261_21:
	s_and_saveexec_b64 s[2:3], s[0:1]
	s_cbranch_execz .LBB261_26
; %bb.22:
	s_abs_i32 s18, s11
	v_cvt_f32_u32_e32 v3, s18
	s_load_dword s16, s[4:5], 0x4c
	s_sub_i32 s17, 0, s18
	s_ashr_i32 s19, s11, 31
	v_rcp_iflag_f32_e32 v4, v3
	v_lshl_add_u32 v2, v0, 2, 0
	s_waitcnt lgkmcnt(0)
	s_and_b32 s21, s16, 0xffff
	s_mov_b64 s[10:11], 0
	v_mul_f32_e32 v4, 0x4f7ffffe, v4
	v_cvt_u32_f32_e32 v4, v4
	s_mov_b32 s20, 0xff800000
	v_mov_b32_e32 v3, 0xff800000
	s_lshl_b32 s22, s21, 2
	v_mul_lo_u32 v5, s17, v4
	v_mul_hi_u32 v5, v4, v5
	v_add_u32_e32 v4, v4, v5
	v_mov_b32_e32 v5, v0
	s_branch .LBB261_24
.LBB261_23:                             ;   in Loop: Header=BB261_24 Depth=1
	s_or_b64 exec, exec, s[16:17]
	v_add_u32_e32 v5, s21, v5
	v_cmp_le_i32_e32 vcc, s8, v5
	s_or_b64 s[10:11], vcc, s[10:11]
	v_add_u32_e32 v2, s22, v2
	s_andn2_b64 exec, exec, s[10:11]
	s_cbranch_execz .LBB261_26
.LBB261_24:                             ; =>This Inner Loop Header: Depth=1
	v_sub_u32_e32 v7, 0, v5
	v_max_i32_e32 v7, v5, v7
	v_mul_hi_u32 v8, v7, v4
	v_mul_lo_u32 v9, v8, s18
	v_sub_u32_e32 v7, v7, v9
	v_add_u32_e32 v9, 1, v8
	v_cmp_le_u32_e32 vcc, s18, v7
	v_cndmask_b32_e32 v8, v8, v9, vcc
	v_subrev_u32_e32 v9, s18, v7
	v_cndmask_b32_e32 v7, v7, v9, vcc
	v_ashrrev_i32_e32 v6, 31, v5
	v_add_u32_e32 v9, 1, v8
	v_cmp_le_u32_e32 vcc, s18, v7
	v_xor_b32_e32 v6, s19, v6
	v_cndmask_b32_e32 v7, v8, v9, vcc
	v_xor_b32_e32 v7, v7, v6
	v_sub_u32_e32 v6, v7, v6
	v_lshl_add_u32 v6, v6, 2, s7
	ds_read_b32 v6, v6
	s_waitcnt lgkmcnt(0)
	v_cmp_neq_f32_e32 vcc, s20, v6
	s_and_saveexec_b64 s[16:17], vcc
	s_cbranch_execz .LBB261_23
; %bb.25:                               ;   in Loop: Header=BB261_24 Depth=1
	ds_write_b32 v2, v3
	s_branch .LBB261_23
.LBB261_26:
	s_or_b64 exec, exec, s[2:3]
	s_cmp_lt_i32 s9, 1
	s_waitcnt lgkmcnt(0)
	s_barrier
	s_cbranch_scc1 .LBB261_33
; %bb.27:
	s_add_u32 s2, s4, 64
	s_addc_u32 s3, s5, 0
	s_mov_b32 s7, 0
	v_mov_b32_e32 v4, 0xff800000
                                        ; implicit-def: $vgpr3
                                        ; implicit-def: $vgpr2
	s_branch .LBB261_29
.LBB261_28:                             ;   in Loop: Header=BB261_29 Depth=1
	s_or_b64 exec, exec, s[10:11]
	v_mov_b32_dpp v8, v6 quad_perm:[1,0,3,2] row_mask:0xf bank_mask:0xf
	v_cmp_lt_f32_e32 vcc, v6, v8
	v_cndmask_b32_e32 v6, v6, v8, vcc
	v_mov_b32_dpp v7, v5 quad_perm:[1,0,3,2] row_mask:0xf bank_mask:0xf
	v_cndmask_b32_e32 v5, v5, v7, vcc
	v_mov_b32_dpp v8, v6 quad_perm:[2,3,0,1] row_mask:0xf bank_mask:0xf
	v_cmp_gt_f32_e32 vcc, v8, v6
	v_cndmask_b32_e32 v6, v6, v8, vcc
	v_mov_b32_dpp v7, v5 quad_perm:[2,3,0,1] row_mask:0xf bank_mask:0xf
	v_cndmask_b32_e32 v5, v5, v7, vcc
	v_mov_b32_dpp v8, v6 row_half_mirror row_mask:0xf bank_mask:0xf
	v_cmp_gt_f32_e32 vcc, v8, v6
	v_cndmask_b32_e32 v6, v6, v8, vcc
	v_mov_b32_dpp v7, v5 row_half_mirror row_mask:0xf bank_mask:0xf
	v_cndmask_b32_e32 v5, v5, v7, vcc
	v_mov_b32_dpp v8, v6 row_mirror row_mask:0xf bank_mask:0xf
	v_cmp_gt_f32_e32 vcc, v8, v6
	v_cndmask_b32_e32 v6, v6, v8, vcc
	v_mov_b32_dpp v7, v5 row_mirror row_mask:0xf bank_mask:0xf
	v_cndmask_b32_e32 v5, v5, v7, vcc
	v_mov_b32_dpp v8, v6 row_bcast:15 row_mask:0xf bank_mask:0xf
	v_cmp_gt_f32_e32 vcc, v8, v6
	v_mov_b32_dpp v7, v5 row_bcast:15 row_mask:0xf bank_mask:0xf
	v_cndmask_b32_e32 v6, v6, v8, vcc
	v_cndmask_b32_e32 v5, v5, v7, vcc
	s_nop 0
	v_mov_b32_dpp v8, v6 row_bcast:31 row_mask:0xf bank_mask:0xf
	v_mov_b32_dpp v7, v5 row_bcast:31 row_mask:0xf bank_mask:0xf
	v_cmp_gt_f32_e32 vcc, v8, v6
	v_cndmask_b32_e32 v5, v5, v7, vcc
	v_readlane_b32 s11, v5, 63
	s_lshl_b32 s16, s11, 2
	s_add_i32 s16, s16, 0
	v_cndmask_b32_e32 v6, v6, v8, vcc
	v_mov_b32_e32 v5, s16
	v_readlane_b32 s10, v6, 63
	ds_write_b32 v5, v4
	v_mov_b32_e32 v5, s11
	v_cmp_eq_u32_e32 vcc, s7, v0
	v_cndmask_b32_e32 v2, v2, v5, vcc
	v_mov_b32_e32 v5, s10
	s_add_i32 s7, s7, 1
	s_cmp_eq_u32 s7, s9
	v_cndmask_b32_e32 v3, v3, v5, vcc
	s_cbranch_scc1 .LBB261_34
.LBB261_29:                             ; =>This Loop Header: Depth=1
                                        ;     Child Loop BB261_31 Depth 2
	v_mov_b32_e32 v5, s7
	v_mov_b32_e32 v6, 0xff800000
	s_and_saveexec_b64 s[10:11], s[0:1]
	s_cbranch_execz .LBB261_28
; %bb.30:                               ;   in Loop: Header=BB261_29 Depth=1
	s_load_dword s18, s[2:3], 0xc
	s_mov_b64 s[16:17], 0
	v_mov_b32_e32 v5, s7
	v_mov_b32_e32 v6, 0xff800000
	;; [unrolled: 1-line block ×3, first 2 shown]
	s_waitcnt lgkmcnt(0)
	s_and_b32 s18, s18, 0xffff
	s_lshl_b32 s19, s18, 2
	v_mov_b32_e32 v8, v0
.LBB261_31:                             ;   Parent Loop BB261_29 Depth=1
                                        ; =>  This Inner Loop Header: Depth=2
	ds_read_b32 v9, v7
	v_add_u32_e32 v7, s19, v7
	s_waitcnt lgkmcnt(0)
	v_cmp_gt_f32_e32 vcc, v9, v6
	v_cndmask_b32_e32 v5, v5, v8, vcc
	v_add_u32_e32 v8, s18, v8
	v_cndmask_b32_e32 v6, v6, v9, vcc
	v_cmp_le_i32_e32 vcc, s8, v8
	s_or_b64 s[16:17], vcc, s[16:17]
	s_andn2_b64 exec, exec, s[16:17]
	s_cbranch_execnz .LBB261_31
; %bb.32:                               ;   in Loop: Header=BB261_29 Depth=1
	s_or_b64 exec, exec, s[16:17]
	s_branch .LBB261_28
.LBB261_33:
                                        ; implicit-def: $vgpr3
                                        ; implicit-def: $vgpr2
.LBB261_34:
	v_cmp_gt_i32_e32 vcc, s9, v0
	s_and_saveexec_b64 s[0:1], vcc
	s_cbranch_execz .LBB261_37
; %bb.35:
	s_load_dword s2, s[4:5], 0x38
	s_load_dwordx2 s[0:1], s[4:5], 0x20
	s_ashr_i32 s3, s6, 31
	s_load_dword s4, s[4:5], 0x4c
	v_mov_b32_e32 v4, s13
	s_waitcnt lgkmcnt(0)
	v_mul_f32_e32 v1, s2, v3
	s_mul_i32 s1, s6, s1
	s_mul_hi_u32 s2, s6, s0
	s_add_i32 s1, s2, s1
	s_mul_i32 s3, s3, s0
	s_add_i32 s5, s1, s3
	s_mul_i32 s2, s6, s0
	s_and_b32 s3, s4, 0xffff
	s_mov_b64 s[0:1], 0
	v_mov_b32_e32 v3, s5
	v_mov_b32_e32 v5, s15
.LBB261_36:                             ; =>This Inner Loop Header: Depth=1
	v_ashrrev_i32_e32 v7, 31, v0
	v_add_co_u32_e32 v6, vcc, s2, v0
	v_addc_co_u32_e32 v7, vcc, v3, v7, vcc
	v_add_u32_e32 v0, s3, v0
	v_cmp_le_i32_e32 vcc, s9, v0
	v_lshlrev_b64 v[6:7], 2, v[6:7]
	s_or_b64 s[0:1], vcc, s[0:1]
	v_add_co_u32_e32 v8, vcc, s12, v6
	v_addc_co_u32_e32 v9, vcc, v4, v7, vcc
	v_add_co_u32_e32 v6, vcc, s14, v6
	v_addc_co_u32_e32 v7, vcc, v5, v7, vcc
	global_store_dword v[8:9], v1, off
	global_store_dword v[6:7], v2, off
	s_andn2_b64 exec, exec, s[0:1]
	s_cbranch_execnz .LBB261_36
.LBB261_37:
	s_endpgm
	.section	.rodata,"a",@progbits
	.p2align	6, 0x0
	.amdhsa_kernel _ZN5aiter19grouped_topk_kernelIN3c108BFloat16EDv1_fLi2ELb0ELb0ELb1EEEvPT_PKS4_PfPimiiiif
		.amdhsa_group_segment_fixed_size 0
		.amdhsa_private_segment_fixed_size 0
		.amdhsa_kernarg_size 320
		.amdhsa_user_sgpr_count 6
		.amdhsa_user_sgpr_private_segment_buffer 1
		.amdhsa_user_sgpr_dispatch_ptr 0
		.amdhsa_user_sgpr_queue_ptr 0
		.amdhsa_user_sgpr_kernarg_segment_ptr 1
		.amdhsa_user_sgpr_dispatch_id 0
		.amdhsa_user_sgpr_flat_scratch_init 0
		.amdhsa_user_sgpr_kernarg_preload_length 0
		.amdhsa_user_sgpr_kernarg_preload_offset 0
		.amdhsa_user_sgpr_private_segment_size 0
		.amdhsa_uses_dynamic_stack 0
		.amdhsa_system_sgpr_private_segment_wavefront_offset 0
		.amdhsa_system_sgpr_workgroup_id_x 1
		.amdhsa_system_sgpr_workgroup_id_y 0
		.amdhsa_system_sgpr_workgroup_id_z 0
		.amdhsa_system_sgpr_workgroup_info 0
		.amdhsa_system_vgpr_workitem_id 0
		.amdhsa_next_free_vgpr 12
		.amdhsa_next_free_sgpr 24
		.amdhsa_accum_offset 12
		.amdhsa_reserve_vcc 1
		.amdhsa_reserve_flat_scratch 0
		.amdhsa_float_round_mode_32 0
		.amdhsa_float_round_mode_16_64 0
		.amdhsa_float_denorm_mode_32 3
		.amdhsa_float_denorm_mode_16_64 3
		.amdhsa_dx10_clamp 1
		.amdhsa_ieee_mode 1
		.amdhsa_fp16_overflow 0
		.amdhsa_tg_split 0
		.amdhsa_exception_fp_ieee_invalid_op 0
		.amdhsa_exception_fp_denorm_src 0
		.amdhsa_exception_fp_ieee_div_zero 0
		.amdhsa_exception_fp_ieee_overflow 0
		.amdhsa_exception_fp_ieee_underflow 0
		.amdhsa_exception_fp_ieee_inexact 0
		.amdhsa_exception_int_div_zero 0
	.end_amdhsa_kernel
	.section	.text._ZN5aiter19grouped_topk_kernelIN3c108BFloat16EDv1_fLi2ELb0ELb0ELb1EEEvPT_PKS4_PfPimiiiif,"axG",@progbits,_ZN5aiter19grouped_topk_kernelIN3c108BFloat16EDv1_fLi2ELb0ELb0ELb1EEEvPT_PKS4_PfPimiiiif,comdat
.Lfunc_end261:
	.size	_ZN5aiter19grouped_topk_kernelIN3c108BFloat16EDv1_fLi2ELb0ELb0ELb1EEEvPT_PKS4_PfPimiiiif, .Lfunc_end261-_ZN5aiter19grouped_topk_kernelIN3c108BFloat16EDv1_fLi2ELb0ELb0ELb1EEEvPT_PKS4_PfPimiiiif
                                        ; -- End function
	.section	.AMDGPU.csdata,"",@progbits
; Kernel info:
; codeLenInByte = 2092
; NumSgprs: 28
; NumVgprs: 12
; NumAgprs: 0
; TotalNumVgprs: 12
; ScratchSize: 0
; MemoryBound: 0
; FloatMode: 240
; IeeeMode: 1
; LDSByteSize: 0 bytes/workgroup (compile time only)
; SGPRBlocks: 3
; VGPRBlocks: 1
; NumSGPRsForWavesPerEU: 28
; NumVGPRsForWavesPerEU: 12
; AccumOffset: 12
; Occupancy: 8
; WaveLimiterHint : 0
; COMPUTE_PGM_RSRC2:SCRATCH_EN: 0
; COMPUTE_PGM_RSRC2:USER_SGPR: 6
; COMPUTE_PGM_RSRC2:TRAP_HANDLER: 0
; COMPUTE_PGM_RSRC2:TGID_X_EN: 1
; COMPUTE_PGM_RSRC2:TGID_Y_EN: 0
; COMPUTE_PGM_RSRC2:TGID_Z_EN: 0
; COMPUTE_PGM_RSRC2:TIDIG_COMP_CNT: 0
; COMPUTE_PGM_RSRC3_GFX90A:ACCUM_OFFSET: 2
; COMPUTE_PGM_RSRC3_GFX90A:TG_SPLIT: 0
	.section	.text._ZN5aiter19grouped_topk_kernelIfDv1_fLi2ELb0ELb0ELb0EEEvPT_PKS2_PfPimiiiif,"axG",@progbits,_ZN5aiter19grouped_topk_kernelIfDv1_fLi2ELb0ELb0ELb0EEEvPT_PKS2_PfPimiiiif,comdat
	.protected	_ZN5aiter19grouped_topk_kernelIfDv1_fLi2ELb0ELb0ELb0EEEvPT_PKS2_PfPimiiiif ; -- Begin function _ZN5aiter19grouped_topk_kernelIfDv1_fLi2ELb0ELb0ELb0EEEvPT_PKS2_PfPimiiiif
	.globl	_ZN5aiter19grouped_topk_kernelIfDv1_fLi2ELb0ELb0ELb0EEEvPT_PKS2_PfPimiiiif
	.p2align	8
	.type	_ZN5aiter19grouped_topk_kernelIfDv1_fLi2ELb0ELb0ELb0EEEvPT_PKS2_PfPimiiiif,@function
_ZN5aiter19grouped_topk_kernelIfDv1_fLi2ELb0ELb0ELb0EEEvPT_PKS2_PfPimiiiif: ; @_ZN5aiter19grouped_topk_kernelIfDv1_fLi2ELb0ELb0ELb0EEEvPT_PKS2_PfPimiiiif
; %bb.0:
	s_load_dwordx4 s[8:11], s[4:5], 0x28
	s_load_dwordx4 s[12:15], s[4:5], 0x10
	v_lshl_add_u32 v1, v0, 2, 0
	s_waitcnt lgkmcnt(0)
	v_cmp_gt_i32_e64 s[0:1], s8, v0
	s_and_saveexec_b64 s[2:3], s[0:1]
	s_cbranch_execz .LBB262_3
; %bb.1:
	s_load_dwordx2 s[16:17], s[4:5], 0x0
	s_load_dword s11, s[4:5], 0x4c
	s_mul_i32 s18, s6, s8
	s_ashr_i32 s19, s18, 31
	s_lshl_b64 s[18:19], s[18:19], 2
	s_waitcnt lgkmcnt(0)
	s_add_u32 s7, s16, s18
	s_addc_u32 s19, s17, s19
	s_and_b32 s11, s11, 0xffff
	v_lshl_add_u32 v4, v0, 2, 0
	s_lshl_b32 s18, s11, 2
	s_mov_b64 s[16:17], 0
	v_mov_b32_e32 v5, s19
	s_mov_b32 s19, 0xbfb8aa3b
	s_mov_b32 s20, 0x42ce8ed0
	s_mov_b32 s21, 0xc2b17218
	v_mov_b32_e32 v6, 0x7f800000
	v_mov_b32_e32 v2, v0
.LBB262_2:                              ; =>This Inner Loop Header: Depth=1
	v_ashrrev_i32_e32 v3, 31, v2
	v_lshlrev_b64 v[8:9], 2, v[2:3]
	v_add_co_u32_e32 v8, vcc, s7, v8
	v_addc_co_u32_e32 v9, vcc, v5, v9, vcc
	global_load_dword v3, v[8:9], off
	v_add_u32_e32 v2, s11, v2
	v_cmp_le_i32_e32 vcc, s8, v2
	s_or_b64 s[16:17], vcc, s[16:17]
	s_waitcnt vmcnt(0)
	v_mul_f32_e32 v7, 0xbfb8aa3b, v3
	v_fma_f32 v8, v3, s19, -v7
	v_rndne_f32_e32 v9, v7
	v_fmac_f32_e32 v8, 0xb2a5705f, v3
	v_sub_f32_e32 v7, v7, v9
	v_add_f32_e32 v7, v7, v8
	v_cvt_i32_f32_e32 v9, v9
	v_exp_f32_e32 v7, v7
	v_cmp_nlt_f32_e32 vcc, s20, v3
	v_ldexp_f32 v7, v7, v9
	v_cndmask_b32_e32 v7, 0, v7, vcc
	v_cmp_ngt_f32_e32 vcc, s21, v3
	v_cndmask_b32_e32 v3, v6, v7, vcc
	v_add_f32_e32 v3, 1.0, v3
	v_div_scale_f32 v7, s[22:23], v3, v3, 1.0
	v_rcp_f32_e32 v8, v7
	v_div_scale_f32 v9, vcc, 1.0, v3, 1.0
	v_fma_f32 v10, -v7, v8, 1.0
	v_fmac_f32_e32 v8, v10, v8
	v_mul_f32_e32 v10, v9, v8
	v_fma_f32 v11, -v7, v10, v9
	v_fmac_f32_e32 v10, v11, v8
	v_fma_f32 v7, -v7, v10, v9
	v_div_fmas_f32 v7, v7, v8, v10
	v_div_fixup_f32 v3, v7, v3, 1.0
	ds_write_b32 v4, v3
	v_add_u32_e32 v4, s18, v4
	s_andn2_b64 exec, exec, s[16:17]
	s_cbranch_execnz .LBB262_2
.LBB262_3:
	s_or_b64 exec, exec, s[2:3]
	s_lshr_b32 s2, s8, 31
	s_add_i32 s2, s8, s2
	s_ashr_i32 s11, s2, 1
	s_lshl_b32 s2, s8, 2
	s_add_i32 s7, s2, 0
	v_cmp_gt_u32_e32 vcc, 2, v0
	s_waitcnt lgkmcnt(0)
	s_barrier
	s_and_saveexec_b64 s[16:17], vcc
	s_cbranch_execz .LBB262_10
; %bb.4:
	s_load_dword s2, s[4:5], 0x4c
	v_mul_lo_u32 v2, v0, s11
	v_lshl_add_u32 v2, v2, 2, 0
	s_waitcnt lgkmcnt(0)
	s_and_b32 s22, s2, 0xffff
	s_cmp_gt_i32 s8, 1
	s_cselect_b64 s[2:3], -1, 0
	s_mul_i32 s18, s11, s22
	v_cndmask_b32_e64 v3, 0, 1, s[2:3]
	s_lshl_b32 s23, s18, 2
	s_mov_b64 s[18:19], 0
	v_cmp_ne_u32_e64 s[2:3], 1, v3
	v_mov_b32_e32 v3, v0
	s_branch .LBB262_6
.LBB262_5:                              ;   in Loop: Header=BB262_6 Depth=1
	v_lshl_add_u32 v5, v3, 2, s7
	v_add_u32_e32 v3, s22, v3
	v_cmp_lt_u32_e32 vcc, 1, v3
	s_or_b64 s[18:19], vcc, s[18:19]
	v_add_u32_e32 v2, s23, v2
	ds_write_b32 v5, v4
	s_andn2_b64 exec, exec, s[18:19]
	s_cbranch_execz .LBB262_10
.LBB262_6:                              ; =>This Loop Header: Depth=1
                                        ;     Child Loop BB262_8 Depth 2
	s_and_b64 vcc, exec, s[2:3]
	v_mov_b32_e32 v4, 0xff800000
	s_cbranch_vccnz .LBB262_5
; %bb.7:                                ;   in Loop: Header=BB262_6 Depth=1
	v_mul_lo_u32 v5, v3, s11
	v_add_u32_e32 v6, s11, v5
	s_mov_b64 s[20:21], 0
	v_mov_b32_e32 v4, 0xff800000
	v_mov_b32_e32 v7, v2
.LBB262_8:                              ;   Parent Loop BB262_6 Depth=1
                                        ; =>  This Inner Loop Header: Depth=2
	ds_read_b32 v8, v7
	v_add_u32_e32 v5, 1, v5
	v_cmp_ge_i32_e32 vcc, v5, v6
	s_or_b64 s[20:21], vcc, s[20:21]
	v_add_u32_e32 v7, 4, v7
	s_waitcnt lgkmcnt(0)
	v_cmp_gt_f32_e32 vcc, v8, v4
	v_cndmask_b32_e32 v4, v4, v8, vcc
	s_andn2_b64 exec, exec, s[20:21]
	s_cbranch_execnz .LBB262_8
; %bb.9:                                ;   in Loop: Header=BB262_6 Depth=1
	s_or_b64 exec, exec, s[20:21]
	s_branch .LBB262_5
.LBB262_10:
	s_or_b64 exec, exec, s[16:17]
	s_cmp_lt_i32 s10, 1
	s_waitcnt lgkmcnt(0)
	s_barrier
	s_cbranch_scc1 .LBB262_13
; %bb.11:
	v_mov_b32_e32 v2, s7
	s_mov_b32 s2, 0xff800000
	v_mov_b32_e32 v3, 0xff800000
.LBB262_12:                             ; =>This Inner Loop Header: Depth=1
	ds_read2_b32 v[4:5], v2 offset1:1
	s_add_i32 s10, s10, -1
	s_cmp_lg_u32 s10, 0
	s_waitcnt lgkmcnt(0)
	v_cmp_nlg_f32_e32 vcc, s2, v4
	v_cndmask_b32_e64 v6, 0, 1, vcc
	v_cmp_lg_f32_e32 vcc, s2, v4
	v_cndmask_b32_e32 v4, v3, v4, vcc
	v_lshlrev_b32_e32 v6, 1, v6
	v_cmp_ngt_f32_e32 vcc, v5, v4
	v_cndmask_b32_e32 v4, 1, v6, vcc
	v_lshlrev_b32_e32 v4, 2, v4
	v_add_u32_e32 v4, s7, v4
	ds_write_b32 v4, v3
	s_cbranch_scc1 .LBB262_12
.LBB262_13:
	s_and_saveexec_b64 s[2:3], s[0:1]
	s_cbranch_execz .LBB262_18
; %bb.14:
	s_abs_i32 s18, s11
	v_cvt_f32_u32_e32 v3, s18
	s_load_dword s16, s[4:5], 0x4c
	s_sub_i32 s17, 0, s18
	s_ashr_i32 s19, s11, 31
	v_rcp_iflag_f32_e32 v4, v3
	v_lshl_add_u32 v2, v0, 2, 0
	s_waitcnt lgkmcnt(0)
	s_and_b32 s21, s16, 0xffff
	s_mov_b64 s[10:11], 0
	v_mul_f32_e32 v4, 0x4f7ffffe, v4
	v_cvt_u32_f32_e32 v4, v4
	s_mov_b32 s20, 0xff800000
	v_mov_b32_e32 v3, 0xff800000
	s_lshl_b32 s22, s21, 2
	v_mul_lo_u32 v5, s17, v4
	v_mul_hi_u32 v5, v4, v5
	v_add_u32_e32 v4, v4, v5
	v_mov_b32_e32 v5, v0
	s_branch .LBB262_16
.LBB262_15:                             ;   in Loop: Header=BB262_16 Depth=1
	s_or_b64 exec, exec, s[16:17]
	v_add_u32_e32 v5, s21, v5
	v_cmp_le_i32_e32 vcc, s8, v5
	s_or_b64 s[10:11], vcc, s[10:11]
	v_add_u32_e32 v2, s22, v2
	s_andn2_b64 exec, exec, s[10:11]
	s_cbranch_execz .LBB262_18
.LBB262_16:                             ; =>This Inner Loop Header: Depth=1
	v_sub_u32_e32 v7, 0, v5
	v_max_i32_e32 v7, v5, v7
	v_mul_hi_u32 v8, v7, v4
	v_mul_lo_u32 v9, v8, s18
	v_sub_u32_e32 v7, v7, v9
	v_add_u32_e32 v9, 1, v8
	v_cmp_le_u32_e32 vcc, s18, v7
	v_cndmask_b32_e32 v8, v8, v9, vcc
	v_subrev_u32_e32 v9, s18, v7
	v_cndmask_b32_e32 v7, v7, v9, vcc
	v_ashrrev_i32_e32 v6, 31, v5
	v_add_u32_e32 v9, 1, v8
	v_cmp_le_u32_e32 vcc, s18, v7
	v_xor_b32_e32 v6, s19, v6
	v_cndmask_b32_e32 v7, v8, v9, vcc
	v_xor_b32_e32 v7, v7, v6
	v_sub_u32_e32 v6, v7, v6
	v_lshl_add_u32 v6, v6, 2, s7
	ds_read_b32 v6, v6
	s_waitcnt lgkmcnt(0)
	v_cmp_neq_f32_e32 vcc, s20, v6
	s_and_saveexec_b64 s[16:17], vcc
	s_cbranch_execz .LBB262_15
; %bb.17:                               ;   in Loop: Header=BB262_16 Depth=1
	ds_write_b32 v2, v3
	s_branch .LBB262_15
.LBB262_18:
	s_or_b64 exec, exec, s[2:3]
	s_cmp_lt_i32 s9, 1
	s_waitcnt lgkmcnt(0)
	s_barrier
	s_cbranch_scc1 .LBB262_25
; %bb.19:
	s_add_u32 s2, s4, 64
	s_addc_u32 s3, s5, 0
	s_mov_b32 s7, 0
	v_mov_b32_e32 v4, 0xff800000
                                        ; implicit-def: $vgpr3
                                        ; implicit-def: $vgpr2
	s_branch .LBB262_21
.LBB262_20:                             ;   in Loop: Header=BB262_21 Depth=1
	s_or_b64 exec, exec, s[10:11]
	v_mov_b32_dpp v8, v6 quad_perm:[1,0,3,2] row_mask:0xf bank_mask:0xf
	v_cmp_lt_f32_e32 vcc, v6, v8
	v_cndmask_b32_e32 v6, v6, v8, vcc
	v_mov_b32_dpp v7, v5 quad_perm:[1,0,3,2] row_mask:0xf bank_mask:0xf
	v_cndmask_b32_e32 v5, v5, v7, vcc
	v_mov_b32_dpp v8, v6 quad_perm:[2,3,0,1] row_mask:0xf bank_mask:0xf
	v_cmp_gt_f32_e32 vcc, v8, v6
	v_cndmask_b32_e32 v6, v6, v8, vcc
	v_mov_b32_dpp v7, v5 quad_perm:[2,3,0,1] row_mask:0xf bank_mask:0xf
	v_cndmask_b32_e32 v5, v5, v7, vcc
	v_mov_b32_dpp v8, v6 row_half_mirror row_mask:0xf bank_mask:0xf
	v_cmp_gt_f32_e32 vcc, v8, v6
	v_cndmask_b32_e32 v6, v6, v8, vcc
	v_mov_b32_dpp v7, v5 row_half_mirror row_mask:0xf bank_mask:0xf
	v_cndmask_b32_e32 v5, v5, v7, vcc
	v_mov_b32_dpp v8, v6 row_mirror row_mask:0xf bank_mask:0xf
	v_cmp_gt_f32_e32 vcc, v8, v6
	v_cndmask_b32_e32 v6, v6, v8, vcc
	v_mov_b32_dpp v7, v5 row_mirror row_mask:0xf bank_mask:0xf
	v_cndmask_b32_e32 v5, v5, v7, vcc
	v_mov_b32_dpp v8, v6 row_bcast:15 row_mask:0xf bank_mask:0xf
	v_cmp_gt_f32_e32 vcc, v8, v6
	v_mov_b32_dpp v7, v5 row_bcast:15 row_mask:0xf bank_mask:0xf
	v_cndmask_b32_e32 v6, v6, v8, vcc
	v_cndmask_b32_e32 v5, v5, v7, vcc
	s_nop 0
	v_mov_b32_dpp v8, v6 row_bcast:31 row_mask:0xf bank_mask:0xf
	v_mov_b32_dpp v7, v5 row_bcast:31 row_mask:0xf bank_mask:0xf
	v_cmp_gt_f32_e32 vcc, v8, v6
	v_cndmask_b32_e32 v5, v5, v7, vcc
	v_readlane_b32 s11, v5, 63
	s_lshl_b32 s16, s11, 2
	s_add_i32 s16, s16, 0
	v_cndmask_b32_e32 v6, v6, v8, vcc
	v_mov_b32_e32 v5, s16
	v_readlane_b32 s10, v6, 63
	ds_write_b32 v5, v4
	v_mov_b32_e32 v5, s11
	v_cmp_eq_u32_e32 vcc, s7, v0
	v_cndmask_b32_e32 v2, v2, v5, vcc
	v_mov_b32_e32 v5, s10
	s_add_i32 s7, s7, 1
	s_cmp_eq_u32 s7, s9
	v_cndmask_b32_e32 v3, v3, v5, vcc
	s_cbranch_scc1 .LBB262_26
.LBB262_21:                             ; =>This Loop Header: Depth=1
                                        ;     Child Loop BB262_23 Depth 2
	v_mov_b32_e32 v5, s7
	v_mov_b32_e32 v6, 0xff800000
	s_and_saveexec_b64 s[10:11], s[0:1]
	s_cbranch_execz .LBB262_20
; %bb.22:                               ;   in Loop: Header=BB262_21 Depth=1
	s_load_dword s18, s[2:3], 0xc
	s_mov_b64 s[16:17], 0
	v_mov_b32_e32 v5, s7
	v_mov_b32_e32 v6, 0xff800000
	;; [unrolled: 1-line block ×3, first 2 shown]
	s_waitcnt lgkmcnt(0)
	s_and_b32 s18, s18, 0xffff
	s_lshl_b32 s19, s18, 2
	v_mov_b32_e32 v8, v0
.LBB262_23:                             ;   Parent Loop BB262_21 Depth=1
                                        ; =>  This Inner Loop Header: Depth=2
	ds_read_b32 v9, v7
	v_add_u32_e32 v7, s19, v7
	s_waitcnt lgkmcnt(0)
	v_cmp_gt_f32_e32 vcc, v9, v6
	v_cndmask_b32_e32 v5, v5, v8, vcc
	v_add_u32_e32 v8, s18, v8
	v_cndmask_b32_e32 v6, v6, v9, vcc
	v_cmp_le_i32_e32 vcc, s8, v8
	s_or_b64 s[16:17], vcc, s[16:17]
	s_andn2_b64 exec, exec, s[16:17]
	s_cbranch_execnz .LBB262_23
; %bb.24:                               ;   in Loop: Header=BB262_21 Depth=1
	s_or_b64 exec, exec, s[16:17]
	s_branch .LBB262_20
.LBB262_25:
                                        ; implicit-def: $vgpr3
                                        ; implicit-def: $vgpr2
.LBB262_26:
	v_cmp_gt_i32_e32 vcc, s9, v0
	s_and_saveexec_b64 s[0:1], vcc
	s_cbranch_execz .LBB262_29
; %bb.27:
	s_load_dword s2, s[4:5], 0x38
	s_load_dwordx2 s[0:1], s[4:5], 0x20
	s_ashr_i32 s3, s6, 31
	s_load_dword s4, s[4:5], 0x4c
	v_mov_b32_e32 v4, s13
	s_waitcnt lgkmcnt(0)
	v_mul_f32_e32 v1, s2, v3
	s_mul_i32 s1, s6, s1
	s_mul_hi_u32 s2, s6, s0
	s_add_i32 s1, s2, s1
	s_mul_i32 s3, s3, s0
	s_add_i32 s5, s1, s3
	s_mul_i32 s2, s6, s0
	s_and_b32 s3, s4, 0xffff
	s_mov_b64 s[0:1], 0
	v_mov_b32_e32 v3, s5
	v_mov_b32_e32 v5, s15
.LBB262_28:                             ; =>This Inner Loop Header: Depth=1
	v_ashrrev_i32_e32 v7, 31, v0
	v_add_co_u32_e32 v6, vcc, s2, v0
	v_addc_co_u32_e32 v7, vcc, v3, v7, vcc
	v_add_u32_e32 v0, s3, v0
	v_cmp_le_i32_e32 vcc, s9, v0
	v_lshlrev_b64 v[6:7], 2, v[6:7]
	s_or_b64 s[0:1], vcc, s[0:1]
	v_add_co_u32_e32 v8, vcc, s12, v6
	v_addc_co_u32_e32 v9, vcc, v4, v7, vcc
	v_add_co_u32_e32 v6, vcc, s14, v6
	v_addc_co_u32_e32 v7, vcc, v5, v7, vcc
	global_store_dword v[8:9], v1, off
	global_store_dword v[6:7], v2, off
	s_andn2_b64 exec, exec, s[0:1]
	s_cbranch_execnz .LBB262_28
.LBB262_29:
	s_endpgm
	.section	.rodata,"a",@progbits
	.p2align	6, 0x0
	.amdhsa_kernel _ZN5aiter19grouped_topk_kernelIfDv1_fLi2ELb0ELb0ELb0EEEvPT_PKS2_PfPimiiiif
		.amdhsa_group_segment_fixed_size 0
		.amdhsa_private_segment_fixed_size 0
		.amdhsa_kernarg_size 320
		.amdhsa_user_sgpr_count 6
		.amdhsa_user_sgpr_private_segment_buffer 1
		.amdhsa_user_sgpr_dispatch_ptr 0
		.amdhsa_user_sgpr_queue_ptr 0
		.amdhsa_user_sgpr_kernarg_segment_ptr 1
		.amdhsa_user_sgpr_dispatch_id 0
		.amdhsa_user_sgpr_flat_scratch_init 0
		.amdhsa_user_sgpr_kernarg_preload_length 0
		.amdhsa_user_sgpr_kernarg_preload_offset 0
		.amdhsa_user_sgpr_private_segment_size 0
		.amdhsa_uses_dynamic_stack 0
		.amdhsa_system_sgpr_private_segment_wavefront_offset 0
		.amdhsa_system_sgpr_workgroup_id_x 1
		.amdhsa_system_sgpr_workgroup_id_y 0
		.amdhsa_system_sgpr_workgroup_id_z 0
		.amdhsa_system_sgpr_workgroup_info 0
		.amdhsa_system_vgpr_workitem_id 0
		.amdhsa_next_free_vgpr 12
		.amdhsa_next_free_sgpr 24
		.amdhsa_accum_offset 12
		.amdhsa_reserve_vcc 1
		.amdhsa_reserve_flat_scratch 0
		.amdhsa_float_round_mode_32 0
		.amdhsa_float_round_mode_16_64 0
		.amdhsa_float_denorm_mode_32 3
		.amdhsa_float_denorm_mode_16_64 3
		.amdhsa_dx10_clamp 1
		.amdhsa_ieee_mode 1
		.amdhsa_fp16_overflow 0
		.amdhsa_tg_split 0
		.amdhsa_exception_fp_ieee_invalid_op 0
		.amdhsa_exception_fp_denorm_src 0
		.amdhsa_exception_fp_ieee_div_zero 0
		.amdhsa_exception_fp_ieee_overflow 0
		.amdhsa_exception_fp_ieee_underflow 0
		.amdhsa_exception_fp_ieee_inexact 0
		.amdhsa_exception_int_div_zero 0
	.end_amdhsa_kernel
	.section	.text._ZN5aiter19grouped_topk_kernelIfDv1_fLi2ELb0ELb0ELb0EEEvPT_PKS2_PfPimiiiif,"axG",@progbits,_ZN5aiter19grouped_topk_kernelIfDv1_fLi2ELb0ELb0ELb0EEEvPT_PKS2_PfPimiiiif,comdat
.Lfunc_end262:
	.size	_ZN5aiter19grouped_topk_kernelIfDv1_fLi2ELb0ELb0ELb0EEEvPT_PKS2_PfPimiiiif, .Lfunc_end262-_ZN5aiter19grouped_topk_kernelIfDv1_fLi2ELb0ELb0ELb0EEEvPT_PKS2_PfPimiiiif
                                        ; -- End function
	.section	.AMDGPU.csdata,"",@progbits
; Kernel info:
; codeLenInByte = 1580
; NumSgprs: 28
; NumVgprs: 12
; NumAgprs: 0
; TotalNumVgprs: 12
; ScratchSize: 0
; MemoryBound: 0
; FloatMode: 240
; IeeeMode: 1
; LDSByteSize: 0 bytes/workgroup (compile time only)
; SGPRBlocks: 3
; VGPRBlocks: 1
; NumSGPRsForWavesPerEU: 28
; NumVGPRsForWavesPerEU: 12
; AccumOffset: 12
; Occupancy: 8
; WaveLimiterHint : 0
; COMPUTE_PGM_RSRC2:SCRATCH_EN: 0
; COMPUTE_PGM_RSRC2:USER_SGPR: 6
; COMPUTE_PGM_RSRC2:TRAP_HANDLER: 0
; COMPUTE_PGM_RSRC2:TGID_X_EN: 1
; COMPUTE_PGM_RSRC2:TGID_Y_EN: 0
; COMPUTE_PGM_RSRC2:TGID_Z_EN: 0
; COMPUTE_PGM_RSRC2:TIDIG_COMP_CNT: 0
; COMPUTE_PGM_RSRC3_GFX90A:ACCUM_OFFSET: 2
; COMPUTE_PGM_RSRC3_GFX90A:TG_SPLIT: 0
	.section	.text._ZN5aiter19grouped_topk_kernelIN3c104HalfEDv1_fLi2ELb0ELb0ELb0EEEvPT_PKS4_PfPimiiiif,"axG",@progbits,_ZN5aiter19grouped_topk_kernelIN3c104HalfEDv1_fLi2ELb0ELb0ELb0EEEvPT_PKS4_PfPimiiiif,comdat
	.protected	_ZN5aiter19grouped_topk_kernelIN3c104HalfEDv1_fLi2ELb0ELb0ELb0EEEvPT_PKS4_PfPimiiiif ; -- Begin function _ZN5aiter19grouped_topk_kernelIN3c104HalfEDv1_fLi2ELb0ELb0ELb0EEEvPT_PKS4_PfPimiiiif
	.globl	_ZN5aiter19grouped_topk_kernelIN3c104HalfEDv1_fLi2ELb0ELb0ELb0EEEvPT_PKS4_PfPimiiiif
	.p2align	8
	.type	_ZN5aiter19grouped_topk_kernelIN3c104HalfEDv1_fLi2ELb0ELb0ELb0EEEvPT_PKS4_PfPimiiiif,@function
_ZN5aiter19grouped_topk_kernelIN3c104HalfEDv1_fLi2ELb0ELb0ELb0EEEvPT_PKS4_PfPimiiiif: ; @_ZN5aiter19grouped_topk_kernelIN3c104HalfEDv1_fLi2ELb0ELb0ELb0EEEvPT_PKS4_PfPimiiiif
; %bb.0:
	s_load_dwordx4 s[8:11], s[4:5], 0x28
	s_load_dwordx4 s[12:15], s[4:5], 0x10
	v_lshl_add_u32 v1, v0, 2, 0
	s_waitcnt lgkmcnt(0)
	v_cmp_gt_i32_e64 s[0:1], s8, v0
	s_and_saveexec_b64 s[2:3], s[0:1]
	s_cbranch_execz .LBB263_3
; %bb.1:
	s_load_dwordx2 s[16:17], s[4:5], 0x0
	s_load_dword s11, s[4:5], 0x4c
	s_mul_i32 s18, s6, s8
	s_ashr_i32 s19, s18, 31
	s_lshl_b64 s[18:19], s[18:19], 1
	s_waitcnt lgkmcnt(0)
	s_add_u32 s7, s16, s18
	s_addc_u32 s19, s17, s19
	s_and_b32 s11, s11, 0xffff
	v_lshl_add_u32 v4, v0, 2, 0
	s_lshl_b32 s18, s11, 2
	s_mov_b64 s[16:17], 0
	v_mov_b32_e32 v5, s19
	s_mov_b32 s19, 0x3fb8aa3b
	s_mov_b32 s20, 0x32a5705f
	;; [unrolled: 1-line block ×4, first 2 shown]
	v_mov_b32_e32 v6, 0x7f800000
	v_mov_b32_e32 v2, v0
.LBB263_2:                              ; =>This Inner Loop Header: Depth=1
	v_ashrrev_i32_e32 v3, 31, v2
	v_lshlrev_b64 v[8:9], 1, v[2:3]
	v_add_co_u32_e32 v8, vcc, s7, v8
	v_addc_co_u32_e32 v9, vcc, v5, v9, vcc
	global_load_ushort v3, v[8:9], off
	v_add_u32_e32 v2, s11, v2
	v_cmp_le_i32_e32 vcc, s8, v2
	s_or_b64 s[16:17], vcc, s[16:17]
	s_waitcnt vmcnt(0)
	v_cvt_f32_f16_e64 v7, -v3
	v_mul_f32_e32 v8, 0x3fb8aa3b, v7
	v_fma_mix_f32 v9, -v3, s19, -v8 op_sel_hi:[1,0,0]
	v_rndne_f32_e32 v10, v8
	v_fma_mix_f32 v3, -v3, s20, v9 op_sel_hi:[1,0,0]
	v_sub_f32_e32 v8, v8, v10
	v_add_f32_e32 v3, v8, v3
	v_cvt_i32_f32_e32 v9, v10
	v_exp_f32_e32 v3, v3
	v_cmp_ngt_f32_e32 vcc, s21, v7
	v_ldexp_f32 v3, v3, v9
	v_cndmask_b32_e32 v3, 0, v3, vcc
	v_cmp_nlt_f32_e32 vcc, s22, v7
	v_cndmask_b32_e32 v3, v6, v3, vcc
	v_add_f32_e32 v3, 1.0, v3
	v_div_scale_f32 v7, s[24:25], v3, v3, 1.0
	v_rcp_f32_e32 v8, v7
	v_div_scale_f32 v9, vcc, 1.0, v3, 1.0
	v_fma_f32 v10, -v7, v8, 1.0
	v_fmac_f32_e32 v8, v10, v8
	v_mul_f32_e32 v10, v9, v8
	v_fma_f32 v11, -v7, v10, v9
	v_fmac_f32_e32 v10, v11, v8
	v_fma_f32 v7, -v7, v10, v9
	v_div_fmas_f32 v7, v7, v8, v10
	v_div_fixup_f32 v3, v7, v3, 1.0
	ds_write_b32 v4, v3
	v_add_u32_e32 v4, s18, v4
	s_andn2_b64 exec, exec, s[16:17]
	s_cbranch_execnz .LBB263_2
.LBB263_3:
	s_or_b64 exec, exec, s[2:3]
	s_lshr_b32 s2, s8, 31
	s_add_i32 s2, s8, s2
	s_ashr_i32 s11, s2, 1
	s_lshl_b32 s2, s8, 2
	s_add_i32 s7, s2, 0
	v_cmp_gt_u32_e32 vcc, 2, v0
	s_waitcnt lgkmcnt(0)
	s_barrier
	s_and_saveexec_b64 s[16:17], vcc
	s_cbranch_execz .LBB263_10
; %bb.4:
	s_load_dword s2, s[4:5], 0x4c
	v_mul_lo_u32 v2, v0, s11
	v_lshl_add_u32 v2, v2, 2, 0
	s_waitcnt lgkmcnt(0)
	s_and_b32 s22, s2, 0xffff
	s_cmp_gt_i32 s8, 1
	s_cselect_b64 s[2:3], -1, 0
	s_mul_i32 s18, s11, s22
	v_cndmask_b32_e64 v3, 0, 1, s[2:3]
	s_lshl_b32 s23, s18, 2
	s_mov_b64 s[18:19], 0
	v_cmp_ne_u32_e64 s[2:3], 1, v3
	v_mov_b32_e32 v3, v0
	s_branch .LBB263_6
.LBB263_5:                              ;   in Loop: Header=BB263_6 Depth=1
	v_lshl_add_u32 v5, v3, 2, s7
	v_add_u32_e32 v3, s22, v3
	v_cmp_lt_u32_e32 vcc, 1, v3
	s_or_b64 s[18:19], vcc, s[18:19]
	v_add_u32_e32 v2, s23, v2
	ds_write_b32 v5, v4
	s_andn2_b64 exec, exec, s[18:19]
	s_cbranch_execz .LBB263_10
.LBB263_6:                              ; =>This Loop Header: Depth=1
                                        ;     Child Loop BB263_8 Depth 2
	s_and_b64 vcc, exec, s[2:3]
	v_mov_b32_e32 v4, 0xff800000
	s_cbranch_vccnz .LBB263_5
; %bb.7:                                ;   in Loop: Header=BB263_6 Depth=1
	v_mul_lo_u32 v5, v3, s11
	v_add_u32_e32 v6, s11, v5
	s_mov_b64 s[20:21], 0
	v_mov_b32_e32 v4, 0xff800000
	v_mov_b32_e32 v7, v2
.LBB263_8:                              ;   Parent Loop BB263_6 Depth=1
                                        ; =>  This Inner Loop Header: Depth=2
	ds_read_b32 v8, v7
	v_add_u32_e32 v5, 1, v5
	v_cmp_ge_i32_e32 vcc, v5, v6
	s_or_b64 s[20:21], vcc, s[20:21]
	v_add_u32_e32 v7, 4, v7
	s_waitcnt lgkmcnt(0)
	v_cmp_gt_f32_e32 vcc, v8, v4
	v_cndmask_b32_e32 v4, v4, v8, vcc
	s_andn2_b64 exec, exec, s[20:21]
	s_cbranch_execnz .LBB263_8
; %bb.9:                                ;   in Loop: Header=BB263_6 Depth=1
	s_or_b64 exec, exec, s[20:21]
	s_branch .LBB263_5
.LBB263_10:
	s_or_b64 exec, exec, s[16:17]
	s_cmp_lt_i32 s10, 1
	s_waitcnt lgkmcnt(0)
	s_barrier
	s_cbranch_scc1 .LBB263_13
; %bb.11:
	v_mov_b32_e32 v2, s7
	s_mov_b32 s2, 0xff800000
	v_mov_b32_e32 v3, 0xff800000
.LBB263_12:                             ; =>This Inner Loop Header: Depth=1
	ds_read2_b32 v[4:5], v2 offset1:1
	s_add_i32 s10, s10, -1
	s_cmp_lg_u32 s10, 0
	s_waitcnt lgkmcnt(0)
	v_cmp_nlg_f32_e32 vcc, s2, v4
	v_cndmask_b32_e64 v6, 0, 1, vcc
	v_cmp_lg_f32_e32 vcc, s2, v4
	v_cndmask_b32_e32 v4, v3, v4, vcc
	v_lshlrev_b32_e32 v6, 1, v6
	v_cmp_ngt_f32_e32 vcc, v5, v4
	v_cndmask_b32_e32 v4, 1, v6, vcc
	v_lshlrev_b32_e32 v4, 2, v4
	v_add_u32_e32 v4, s7, v4
	ds_write_b32 v4, v3
	s_cbranch_scc1 .LBB263_12
.LBB263_13:
	s_and_saveexec_b64 s[2:3], s[0:1]
	s_cbranch_execz .LBB263_18
; %bb.14:
	s_abs_i32 s18, s11
	v_cvt_f32_u32_e32 v3, s18
	s_load_dword s16, s[4:5], 0x4c
	s_sub_i32 s17, 0, s18
	s_ashr_i32 s19, s11, 31
	v_rcp_iflag_f32_e32 v4, v3
	v_lshl_add_u32 v2, v0, 2, 0
	s_waitcnt lgkmcnt(0)
	s_and_b32 s21, s16, 0xffff
	s_mov_b64 s[10:11], 0
	v_mul_f32_e32 v4, 0x4f7ffffe, v4
	v_cvt_u32_f32_e32 v4, v4
	s_mov_b32 s20, 0xff800000
	v_mov_b32_e32 v3, 0xff800000
	s_lshl_b32 s22, s21, 2
	v_mul_lo_u32 v5, s17, v4
	v_mul_hi_u32 v5, v4, v5
	v_add_u32_e32 v4, v4, v5
	v_mov_b32_e32 v5, v0
	s_branch .LBB263_16
.LBB263_15:                             ;   in Loop: Header=BB263_16 Depth=1
	s_or_b64 exec, exec, s[16:17]
	v_add_u32_e32 v5, s21, v5
	v_cmp_le_i32_e32 vcc, s8, v5
	s_or_b64 s[10:11], vcc, s[10:11]
	v_add_u32_e32 v2, s22, v2
	s_andn2_b64 exec, exec, s[10:11]
	s_cbranch_execz .LBB263_18
.LBB263_16:                             ; =>This Inner Loop Header: Depth=1
	v_sub_u32_e32 v7, 0, v5
	v_max_i32_e32 v7, v5, v7
	v_mul_hi_u32 v8, v7, v4
	v_mul_lo_u32 v9, v8, s18
	v_sub_u32_e32 v7, v7, v9
	v_add_u32_e32 v9, 1, v8
	v_cmp_le_u32_e32 vcc, s18, v7
	v_cndmask_b32_e32 v8, v8, v9, vcc
	v_subrev_u32_e32 v9, s18, v7
	v_cndmask_b32_e32 v7, v7, v9, vcc
	v_ashrrev_i32_e32 v6, 31, v5
	v_add_u32_e32 v9, 1, v8
	v_cmp_le_u32_e32 vcc, s18, v7
	v_xor_b32_e32 v6, s19, v6
	v_cndmask_b32_e32 v7, v8, v9, vcc
	v_xor_b32_e32 v7, v7, v6
	v_sub_u32_e32 v6, v7, v6
	v_lshl_add_u32 v6, v6, 2, s7
	ds_read_b32 v6, v6
	s_waitcnt lgkmcnt(0)
	v_cmp_neq_f32_e32 vcc, s20, v6
	s_and_saveexec_b64 s[16:17], vcc
	s_cbranch_execz .LBB263_15
; %bb.17:                               ;   in Loop: Header=BB263_16 Depth=1
	ds_write_b32 v2, v3
	s_branch .LBB263_15
.LBB263_18:
	s_or_b64 exec, exec, s[2:3]
	s_cmp_lt_i32 s9, 1
	s_waitcnt lgkmcnt(0)
	s_barrier
	s_cbranch_scc1 .LBB263_25
; %bb.19:
	s_add_u32 s2, s4, 64
	s_addc_u32 s3, s5, 0
	s_mov_b32 s7, 0
	v_mov_b32_e32 v4, 0xff800000
                                        ; implicit-def: $vgpr3
                                        ; implicit-def: $vgpr2
	s_branch .LBB263_21
.LBB263_20:                             ;   in Loop: Header=BB263_21 Depth=1
	s_or_b64 exec, exec, s[10:11]
	v_mov_b32_dpp v8, v6 quad_perm:[1,0,3,2] row_mask:0xf bank_mask:0xf
	v_cmp_lt_f32_e32 vcc, v6, v8
	v_cndmask_b32_e32 v6, v6, v8, vcc
	v_mov_b32_dpp v7, v5 quad_perm:[1,0,3,2] row_mask:0xf bank_mask:0xf
	v_cndmask_b32_e32 v5, v5, v7, vcc
	v_mov_b32_dpp v8, v6 quad_perm:[2,3,0,1] row_mask:0xf bank_mask:0xf
	v_cmp_gt_f32_e32 vcc, v8, v6
	v_cndmask_b32_e32 v6, v6, v8, vcc
	v_mov_b32_dpp v7, v5 quad_perm:[2,3,0,1] row_mask:0xf bank_mask:0xf
	v_cndmask_b32_e32 v5, v5, v7, vcc
	v_mov_b32_dpp v8, v6 row_half_mirror row_mask:0xf bank_mask:0xf
	v_cmp_gt_f32_e32 vcc, v8, v6
	v_cndmask_b32_e32 v6, v6, v8, vcc
	v_mov_b32_dpp v7, v5 row_half_mirror row_mask:0xf bank_mask:0xf
	v_cndmask_b32_e32 v5, v5, v7, vcc
	v_mov_b32_dpp v8, v6 row_mirror row_mask:0xf bank_mask:0xf
	v_cmp_gt_f32_e32 vcc, v8, v6
	v_cndmask_b32_e32 v6, v6, v8, vcc
	v_mov_b32_dpp v7, v5 row_mirror row_mask:0xf bank_mask:0xf
	v_cndmask_b32_e32 v5, v5, v7, vcc
	v_mov_b32_dpp v8, v6 row_bcast:15 row_mask:0xf bank_mask:0xf
	v_cmp_gt_f32_e32 vcc, v8, v6
	v_mov_b32_dpp v7, v5 row_bcast:15 row_mask:0xf bank_mask:0xf
	v_cndmask_b32_e32 v6, v6, v8, vcc
	v_cndmask_b32_e32 v5, v5, v7, vcc
	s_nop 0
	v_mov_b32_dpp v8, v6 row_bcast:31 row_mask:0xf bank_mask:0xf
	v_mov_b32_dpp v7, v5 row_bcast:31 row_mask:0xf bank_mask:0xf
	v_cmp_gt_f32_e32 vcc, v8, v6
	v_cndmask_b32_e32 v5, v5, v7, vcc
	v_readlane_b32 s11, v5, 63
	s_lshl_b32 s16, s11, 2
	s_add_i32 s16, s16, 0
	v_cndmask_b32_e32 v6, v6, v8, vcc
	v_mov_b32_e32 v5, s16
	v_readlane_b32 s10, v6, 63
	ds_write_b32 v5, v4
	v_mov_b32_e32 v5, s11
	v_cmp_eq_u32_e32 vcc, s7, v0
	v_cndmask_b32_e32 v2, v2, v5, vcc
	v_mov_b32_e32 v5, s10
	s_add_i32 s7, s7, 1
	s_cmp_eq_u32 s7, s9
	v_cndmask_b32_e32 v3, v3, v5, vcc
	s_cbranch_scc1 .LBB263_26
.LBB263_21:                             ; =>This Loop Header: Depth=1
                                        ;     Child Loop BB263_23 Depth 2
	v_mov_b32_e32 v5, s7
	v_mov_b32_e32 v6, 0xff800000
	s_and_saveexec_b64 s[10:11], s[0:1]
	s_cbranch_execz .LBB263_20
; %bb.22:                               ;   in Loop: Header=BB263_21 Depth=1
	s_load_dword s18, s[2:3], 0xc
	s_mov_b64 s[16:17], 0
	v_mov_b32_e32 v5, s7
	v_mov_b32_e32 v6, 0xff800000
	;; [unrolled: 1-line block ×3, first 2 shown]
	s_waitcnt lgkmcnt(0)
	s_and_b32 s18, s18, 0xffff
	s_lshl_b32 s19, s18, 2
	v_mov_b32_e32 v8, v0
.LBB263_23:                             ;   Parent Loop BB263_21 Depth=1
                                        ; =>  This Inner Loop Header: Depth=2
	ds_read_b32 v9, v7
	v_add_u32_e32 v7, s19, v7
	s_waitcnt lgkmcnt(0)
	v_cmp_gt_f32_e32 vcc, v9, v6
	v_cndmask_b32_e32 v5, v5, v8, vcc
	v_add_u32_e32 v8, s18, v8
	v_cndmask_b32_e32 v6, v6, v9, vcc
	v_cmp_le_i32_e32 vcc, s8, v8
	s_or_b64 s[16:17], vcc, s[16:17]
	s_andn2_b64 exec, exec, s[16:17]
	s_cbranch_execnz .LBB263_23
; %bb.24:                               ;   in Loop: Header=BB263_21 Depth=1
	s_or_b64 exec, exec, s[16:17]
	s_branch .LBB263_20
.LBB263_25:
                                        ; implicit-def: $vgpr3
                                        ; implicit-def: $vgpr2
.LBB263_26:
	v_cmp_gt_i32_e32 vcc, s9, v0
	s_and_saveexec_b64 s[0:1], vcc
	s_cbranch_execz .LBB263_29
; %bb.27:
	s_load_dword s2, s[4:5], 0x38
	s_load_dwordx2 s[0:1], s[4:5], 0x20
	s_ashr_i32 s3, s6, 31
	s_load_dword s4, s[4:5], 0x4c
	v_mov_b32_e32 v4, s13
	s_waitcnt lgkmcnt(0)
	v_mul_f32_e32 v1, s2, v3
	s_mul_i32 s1, s6, s1
	s_mul_hi_u32 s2, s6, s0
	s_add_i32 s1, s2, s1
	s_mul_i32 s3, s3, s0
	s_add_i32 s5, s1, s3
	s_mul_i32 s2, s6, s0
	s_and_b32 s3, s4, 0xffff
	s_mov_b64 s[0:1], 0
	v_mov_b32_e32 v3, s5
	v_mov_b32_e32 v5, s15
.LBB263_28:                             ; =>This Inner Loop Header: Depth=1
	v_ashrrev_i32_e32 v7, 31, v0
	v_add_co_u32_e32 v6, vcc, s2, v0
	v_addc_co_u32_e32 v7, vcc, v3, v7, vcc
	v_add_u32_e32 v0, s3, v0
	v_cmp_le_i32_e32 vcc, s9, v0
	v_lshlrev_b64 v[6:7], 2, v[6:7]
	s_or_b64 s[0:1], vcc, s[0:1]
	v_add_co_u32_e32 v8, vcc, s12, v6
	v_addc_co_u32_e32 v9, vcc, v4, v7, vcc
	v_add_co_u32_e32 v6, vcc, s14, v6
	v_addc_co_u32_e32 v7, vcc, v5, v7, vcc
	global_store_dword v[8:9], v1, off
	global_store_dword v[6:7], v2, off
	s_andn2_b64 exec, exec, s[0:1]
	s_cbranch_execnz .LBB263_28
.LBB263_29:
	s_endpgm
	.section	.rodata,"a",@progbits
	.p2align	6, 0x0
	.amdhsa_kernel _ZN5aiter19grouped_topk_kernelIN3c104HalfEDv1_fLi2ELb0ELb0ELb0EEEvPT_PKS4_PfPimiiiif
		.amdhsa_group_segment_fixed_size 0
		.amdhsa_private_segment_fixed_size 0
		.amdhsa_kernarg_size 320
		.amdhsa_user_sgpr_count 6
		.amdhsa_user_sgpr_private_segment_buffer 1
		.amdhsa_user_sgpr_dispatch_ptr 0
		.amdhsa_user_sgpr_queue_ptr 0
		.amdhsa_user_sgpr_kernarg_segment_ptr 1
		.amdhsa_user_sgpr_dispatch_id 0
		.amdhsa_user_sgpr_flat_scratch_init 0
		.amdhsa_user_sgpr_kernarg_preload_length 0
		.amdhsa_user_sgpr_kernarg_preload_offset 0
		.amdhsa_user_sgpr_private_segment_size 0
		.amdhsa_uses_dynamic_stack 0
		.amdhsa_system_sgpr_private_segment_wavefront_offset 0
		.amdhsa_system_sgpr_workgroup_id_x 1
		.amdhsa_system_sgpr_workgroup_id_y 0
		.amdhsa_system_sgpr_workgroup_id_z 0
		.amdhsa_system_sgpr_workgroup_info 0
		.amdhsa_system_vgpr_workitem_id 0
		.amdhsa_next_free_vgpr 12
		.amdhsa_next_free_sgpr 26
		.amdhsa_accum_offset 12
		.amdhsa_reserve_vcc 1
		.amdhsa_reserve_flat_scratch 0
		.amdhsa_float_round_mode_32 0
		.amdhsa_float_round_mode_16_64 0
		.amdhsa_float_denorm_mode_32 3
		.amdhsa_float_denorm_mode_16_64 3
		.amdhsa_dx10_clamp 1
		.amdhsa_ieee_mode 1
		.amdhsa_fp16_overflow 0
		.amdhsa_tg_split 0
		.amdhsa_exception_fp_ieee_invalid_op 0
		.amdhsa_exception_fp_denorm_src 0
		.amdhsa_exception_fp_ieee_div_zero 0
		.amdhsa_exception_fp_ieee_overflow 0
		.amdhsa_exception_fp_ieee_underflow 0
		.amdhsa_exception_fp_ieee_inexact 0
		.amdhsa_exception_int_div_zero 0
	.end_amdhsa_kernel
	.section	.text._ZN5aiter19grouped_topk_kernelIN3c104HalfEDv1_fLi2ELb0ELb0ELb0EEEvPT_PKS4_PfPimiiiif,"axG",@progbits,_ZN5aiter19grouped_topk_kernelIN3c104HalfEDv1_fLi2ELb0ELb0ELb0EEEvPT_PKS4_PfPimiiiif,comdat
.Lfunc_end263:
	.size	_ZN5aiter19grouped_topk_kernelIN3c104HalfEDv1_fLi2ELb0ELb0ELb0EEEvPT_PKS4_PfPimiiiif, .Lfunc_end263-_ZN5aiter19grouped_topk_kernelIN3c104HalfEDv1_fLi2ELb0ELb0ELb0EEEvPT_PKS4_PfPimiiiif
                                        ; -- End function
	.section	.AMDGPU.csdata,"",@progbits
; Kernel info:
; codeLenInByte = 1596
; NumSgprs: 30
; NumVgprs: 12
; NumAgprs: 0
; TotalNumVgprs: 12
; ScratchSize: 0
; MemoryBound: 0
; FloatMode: 240
; IeeeMode: 1
; LDSByteSize: 0 bytes/workgroup (compile time only)
; SGPRBlocks: 3
; VGPRBlocks: 1
; NumSGPRsForWavesPerEU: 30
; NumVGPRsForWavesPerEU: 12
; AccumOffset: 12
; Occupancy: 8
; WaveLimiterHint : 0
; COMPUTE_PGM_RSRC2:SCRATCH_EN: 0
; COMPUTE_PGM_RSRC2:USER_SGPR: 6
; COMPUTE_PGM_RSRC2:TRAP_HANDLER: 0
; COMPUTE_PGM_RSRC2:TGID_X_EN: 1
; COMPUTE_PGM_RSRC2:TGID_Y_EN: 0
; COMPUTE_PGM_RSRC2:TGID_Z_EN: 0
; COMPUTE_PGM_RSRC2:TIDIG_COMP_CNT: 0
; COMPUTE_PGM_RSRC3_GFX90A:ACCUM_OFFSET: 2
; COMPUTE_PGM_RSRC3_GFX90A:TG_SPLIT: 0
	.section	.text._ZN5aiter19grouped_topk_kernelIN3c108BFloat16EDv1_fLi2ELb0ELb0ELb0EEEvPT_PKS4_PfPimiiiif,"axG",@progbits,_ZN5aiter19grouped_topk_kernelIN3c108BFloat16EDv1_fLi2ELb0ELb0ELb0EEEvPT_PKS4_PfPimiiiif,comdat
	.protected	_ZN5aiter19grouped_topk_kernelIN3c108BFloat16EDv1_fLi2ELb0ELb0ELb0EEEvPT_PKS4_PfPimiiiif ; -- Begin function _ZN5aiter19grouped_topk_kernelIN3c108BFloat16EDv1_fLi2ELb0ELb0ELb0EEEvPT_PKS4_PfPimiiiif
	.globl	_ZN5aiter19grouped_topk_kernelIN3c108BFloat16EDv1_fLi2ELb0ELb0ELb0EEEvPT_PKS4_PfPimiiiif
	.p2align	8
	.type	_ZN5aiter19grouped_topk_kernelIN3c108BFloat16EDv1_fLi2ELb0ELb0ELb0EEEvPT_PKS4_PfPimiiiif,@function
_ZN5aiter19grouped_topk_kernelIN3c108BFloat16EDv1_fLi2ELb0ELb0ELb0EEEvPT_PKS4_PfPimiiiif: ; @_ZN5aiter19grouped_topk_kernelIN3c108BFloat16EDv1_fLi2ELb0ELb0ELb0EEEvPT_PKS4_PfPimiiiif
; %bb.0:
	s_load_dwordx4 s[8:11], s[4:5], 0x28
	s_load_dwordx4 s[12:15], s[4:5], 0x10
	v_lshl_add_u32 v1, v0, 2, 0
	s_waitcnt lgkmcnt(0)
	v_cmp_gt_i32_e64 s[0:1], s8, v0
	s_and_saveexec_b64 s[2:3], s[0:1]
	s_cbranch_execz .LBB264_3
; %bb.1:
	s_load_dwordx2 s[16:17], s[4:5], 0x0
	s_load_dword s11, s[4:5], 0x4c
	s_mul_i32 s18, s6, s8
	s_ashr_i32 s19, s18, 31
	s_lshl_b64 s[18:19], s[18:19], 1
	s_waitcnt lgkmcnt(0)
	s_add_u32 s7, s16, s18
	s_addc_u32 s19, s17, s19
	s_and_b32 s11, s11, 0xffff
	v_lshl_add_u32 v4, v0, 2, 0
	s_lshl_b32 s18, s11, 2
	s_mov_b64 s[16:17], 0
	v_mov_b32_e32 v5, s19
	s_mov_b32 s19, 0xbfb8aa3b
	s_mov_b32 s20, 0x42ce8ed0
	;; [unrolled: 1-line block ×3, first 2 shown]
	v_mov_b32_e32 v6, 0x7f800000
	v_mov_b32_e32 v2, v0
.LBB264_2:                              ; =>This Inner Loop Header: Depth=1
	v_ashrrev_i32_e32 v3, 31, v2
	v_lshlrev_b64 v[8:9], 1, v[2:3]
	v_add_co_u32_e32 v8, vcc, s7, v8
	v_addc_co_u32_e32 v9, vcc, v5, v9, vcc
	global_load_ushort v3, v[8:9], off
	v_add_u32_e32 v2, s11, v2
	v_cmp_le_i32_e32 vcc, s8, v2
	s_or_b64 s[16:17], vcc, s[16:17]
	s_waitcnt vmcnt(0)
	v_cvt_f32_u32_e32 v3, v3
	v_mul_f32_e32 v7, 0xbfb8aa3b, v3
	v_fma_f32 v8, v3, s19, -v7
	v_rndne_f32_e32 v9, v7
	v_fmac_f32_e32 v8, 0xb2a5705f, v3
	v_sub_f32_e32 v7, v7, v9
	v_add_f32_e32 v7, v7, v8
	v_cvt_i32_f32_e32 v9, v9
	v_exp_f32_e32 v7, v7
	v_cmp_nlt_f32_e32 vcc, s20, v3
	v_ldexp_f32 v7, v7, v9
	v_cndmask_b32_e32 v7, 0, v7, vcc
	v_cmp_ngt_f32_e32 vcc, s21, v3
	v_cndmask_b32_e32 v3, v6, v7, vcc
	v_add_f32_e32 v3, 1.0, v3
	v_div_scale_f32 v7, s[22:23], v3, v3, 1.0
	v_rcp_f32_e32 v8, v7
	v_div_scale_f32 v9, vcc, 1.0, v3, 1.0
	v_fma_f32 v10, -v7, v8, 1.0
	v_fmac_f32_e32 v8, v10, v8
	v_mul_f32_e32 v10, v9, v8
	v_fma_f32 v11, -v7, v10, v9
	v_fmac_f32_e32 v10, v11, v8
	v_fma_f32 v7, -v7, v10, v9
	v_div_fmas_f32 v7, v7, v8, v10
	v_div_fixup_f32 v3, v7, v3, 1.0
	ds_write_b32 v4, v3
	v_add_u32_e32 v4, s18, v4
	s_andn2_b64 exec, exec, s[16:17]
	s_cbranch_execnz .LBB264_2
.LBB264_3:
	s_or_b64 exec, exec, s[2:3]
	s_lshr_b32 s2, s8, 31
	s_add_i32 s2, s8, s2
	s_ashr_i32 s11, s2, 1
	s_lshl_b32 s2, s8, 2
	s_add_i32 s7, s2, 0
	v_cmp_gt_u32_e32 vcc, 2, v0
	s_waitcnt lgkmcnt(0)
	s_barrier
	s_and_saveexec_b64 s[16:17], vcc
	s_cbranch_execz .LBB264_10
; %bb.4:
	s_load_dword s2, s[4:5], 0x4c
	v_mul_lo_u32 v2, v0, s11
	v_lshl_add_u32 v2, v2, 2, 0
	s_waitcnt lgkmcnt(0)
	s_and_b32 s22, s2, 0xffff
	s_cmp_gt_i32 s8, 1
	s_cselect_b64 s[2:3], -1, 0
	s_mul_i32 s18, s11, s22
	v_cndmask_b32_e64 v3, 0, 1, s[2:3]
	s_lshl_b32 s23, s18, 2
	s_mov_b64 s[18:19], 0
	v_cmp_ne_u32_e64 s[2:3], 1, v3
	v_mov_b32_e32 v3, v0
	s_branch .LBB264_6
.LBB264_5:                              ;   in Loop: Header=BB264_6 Depth=1
	v_lshl_add_u32 v5, v3, 2, s7
	v_add_u32_e32 v3, s22, v3
	v_cmp_lt_u32_e32 vcc, 1, v3
	s_or_b64 s[18:19], vcc, s[18:19]
	v_add_u32_e32 v2, s23, v2
	ds_write_b32 v5, v4
	s_andn2_b64 exec, exec, s[18:19]
	s_cbranch_execz .LBB264_10
.LBB264_6:                              ; =>This Loop Header: Depth=1
                                        ;     Child Loop BB264_8 Depth 2
	s_and_b64 vcc, exec, s[2:3]
	v_mov_b32_e32 v4, 0xff800000
	s_cbranch_vccnz .LBB264_5
; %bb.7:                                ;   in Loop: Header=BB264_6 Depth=1
	v_mul_lo_u32 v5, v3, s11
	v_add_u32_e32 v6, s11, v5
	s_mov_b64 s[20:21], 0
	v_mov_b32_e32 v4, 0xff800000
	v_mov_b32_e32 v7, v2
.LBB264_8:                              ;   Parent Loop BB264_6 Depth=1
                                        ; =>  This Inner Loop Header: Depth=2
	ds_read_b32 v8, v7
	v_add_u32_e32 v5, 1, v5
	v_cmp_ge_i32_e32 vcc, v5, v6
	s_or_b64 s[20:21], vcc, s[20:21]
	v_add_u32_e32 v7, 4, v7
	s_waitcnt lgkmcnt(0)
	v_cmp_gt_f32_e32 vcc, v8, v4
	v_cndmask_b32_e32 v4, v4, v8, vcc
	s_andn2_b64 exec, exec, s[20:21]
	s_cbranch_execnz .LBB264_8
; %bb.9:                                ;   in Loop: Header=BB264_6 Depth=1
	s_or_b64 exec, exec, s[20:21]
	s_branch .LBB264_5
.LBB264_10:
	s_or_b64 exec, exec, s[16:17]
	s_cmp_lt_i32 s10, 1
	s_waitcnt lgkmcnt(0)
	s_barrier
	s_cbranch_scc1 .LBB264_13
; %bb.11:
	v_mov_b32_e32 v2, s7
	s_mov_b32 s2, 0xff800000
	v_mov_b32_e32 v3, 0xff800000
.LBB264_12:                             ; =>This Inner Loop Header: Depth=1
	ds_read2_b32 v[4:5], v2 offset1:1
	s_add_i32 s10, s10, -1
	s_cmp_lg_u32 s10, 0
	s_waitcnt lgkmcnt(0)
	v_cmp_nlg_f32_e32 vcc, s2, v4
	v_cndmask_b32_e64 v6, 0, 1, vcc
	v_cmp_lg_f32_e32 vcc, s2, v4
	v_cndmask_b32_e32 v4, v3, v4, vcc
	v_lshlrev_b32_e32 v6, 1, v6
	v_cmp_ngt_f32_e32 vcc, v5, v4
	v_cndmask_b32_e32 v4, 1, v6, vcc
	v_lshlrev_b32_e32 v4, 2, v4
	v_add_u32_e32 v4, s7, v4
	ds_write_b32 v4, v3
	s_cbranch_scc1 .LBB264_12
.LBB264_13:
	s_and_saveexec_b64 s[2:3], s[0:1]
	s_cbranch_execz .LBB264_18
; %bb.14:
	s_abs_i32 s18, s11
	v_cvt_f32_u32_e32 v3, s18
	s_load_dword s16, s[4:5], 0x4c
	s_sub_i32 s17, 0, s18
	s_ashr_i32 s19, s11, 31
	v_rcp_iflag_f32_e32 v4, v3
	v_lshl_add_u32 v2, v0, 2, 0
	s_waitcnt lgkmcnt(0)
	s_and_b32 s21, s16, 0xffff
	s_mov_b64 s[10:11], 0
	v_mul_f32_e32 v4, 0x4f7ffffe, v4
	v_cvt_u32_f32_e32 v4, v4
	s_mov_b32 s20, 0xff800000
	v_mov_b32_e32 v3, 0xff800000
	s_lshl_b32 s22, s21, 2
	v_mul_lo_u32 v5, s17, v4
	v_mul_hi_u32 v5, v4, v5
	v_add_u32_e32 v4, v4, v5
	v_mov_b32_e32 v5, v0
	s_branch .LBB264_16
.LBB264_15:                             ;   in Loop: Header=BB264_16 Depth=1
	s_or_b64 exec, exec, s[16:17]
	v_add_u32_e32 v5, s21, v5
	v_cmp_le_i32_e32 vcc, s8, v5
	s_or_b64 s[10:11], vcc, s[10:11]
	v_add_u32_e32 v2, s22, v2
	s_andn2_b64 exec, exec, s[10:11]
	s_cbranch_execz .LBB264_18
.LBB264_16:                             ; =>This Inner Loop Header: Depth=1
	v_sub_u32_e32 v7, 0, v5
	v_max_i32_e32 v7, v5, v7
	v_mul_hi_u32 v8, v7, v4
	v_mul_lo_u32 v9, v8, s18
	v_sub_u32_e32 v7, v7, v9
	v_add_u32_e32 v9, 1, v8
	v_cmp_le_u32_e32 vcc, s18, v7
	v_cndmask_b32_e32 v8, v8, v9, vcc
	v_subrev_u32_e32 v9, s18, v7
	v_cndmask_b32_e32 v7, v7, v9, vcc
	v_ashrrev_i32_e32 v6, 31, v5
	v_add_u32_e32 v9, 1, v8
	v_cmp_le_u32_e32 vcc, s18, v7
	v_xor_b32_e32 v6, s19, v6
	v_cndmask_b32_e32 v7, v8, v9, vcc
	v_xor_b32_e32 v7, v7, v6
	v_sub_u32_e32 v6, v7, v6
	v_lshl_add_u32 v6, v6, 2, s7
	ds_read_b32 v6, v6
	s_waitcnt lgkmcnt(0)
	v_cmp_neq_f32_e32 vcc, s20, v6
	s_and_saveexec_b64 s[16:17], vcc
	s_cbranch_execz .LBB264_15
; %bb.17:                               ;   in Loop: Header=BB264_16 Depth=1
	ds_write_b32 v2, v3
	s_branch .LBB264_15
.LBB264_18:
	s_or_b64 exec, exec, s[2:3]
	s_cmp_lt_i32 s9, 1
	s_waitcnt lgkmcnt(0)
	s_barrier
	s_cbranch_scc1 .LBB264_25
; %bb.19:
	s_add_u32 s2, s4, 64
	s_addc_u32 s3, s5, 0
	s_mov_b32 s7, 0
	v_mov_b32_e32 v4, 0xff800000
                                        ; implicit-def: $vgpr3
                                        ; implicit-def: $vgpr2
	s_branch .LBB264_21
.LBB264_20:                             ;   in Loop: Header=BB264_21 Depth=1
	s_or_b64 exec, exec, s[10:11]
	v_mov_b32_dpp v8, v6 quad_perm:[1,0,3,2] row_mask:0xf bank_mask:0xf
	v_cmp_lt_f32_e32 vcc, v6, v8
	v_cndmask_b32_e32 v6, v6, v8, vcc
	v_mov_b32_dpp v7, v5 quad_perm:[1,0,3,2] row_mask:0xf bank_mask:0xf
	v_cndmask_b32_e32 v5, v5, v7, vcc
	v_mov_b32_dpp v8, v6 quad_perm:[2,3,0,1] row_mask:0xf bank_mask:0xf
	v_cmp_gt_f32_e32 vcc, v8, v6
	v_cndmask_b32_e32 v6, v6, v8, vcc
	v_mov_b32_dpp v7, v5 quad_perm:[2,3,0,1] row_mask:0xf bank_mask:0xf
	v_cndmask_b32_e32 v5, v5, v7, vcc
	v_mov_b32_dpp v8, v6 row_half_mirror row_mask:0xf bank_mask:0xf
	v_cmp_gt_f32_e32 vcc, v8, v6
	v_cndmask_b32_e32 v6, v6, v8, vcc
	v_mov_b32_dpp v7, v5 row_half_mirror row_mask:0xf bank_mask:0xf
	v_cndmask_b32_e32 v5, v5, v7, vcc
	v_mov_b32_dpp v8, v6 row_mirror row_mask:0xf bank_mask:0xf
	v_cmp_gt_f32_e32 vcc, v8, v6
	v_cndmask_b32_e32 v6, v6, v8, vcc
	v_mov_b32_dpp v7, v5 row_mirror row_mask:0xf bank_mask:0xf
	v_cndmask_b32_e32 v5, v5, v7, vcc
	v_mov_b32_dpp v8, v6 row_bcast:15 row_mask:0xf bank_mask:0xf
	v_cmp_gt_f32_e32 vcc, v8, v6
	v_mov_b32_dpp v7, v5 row_bcast:15 row_mask:0xf bank_mask:0xf
	v_cndmask_b32_e32 v6, v6, v8, vcc
	v_cndmask_b32_e32 v5, v5, v7, vcc
	s_nop 0
	v_mov_b32_dpp v8, v6 row_bcast:31 row_mask:0xf bank_mask:0xf
	v_mov_b32_dpp v7, v5 row_bcast:31 row_mask:0xf bank_mask:0xf
	v_cmp_gt_f32_e32 vcc, v8, v6
	v_cndmask_b32_e32 v5, v5, v7, vcc
	v_readlane_b32 s11, v5, 63
	s_lshl_b32 s16, s11, 2
	s_add_i32 s16, s16, 0
	v_cndmask_b32_e32 v6, v6, v8, vcc
	v_mov_b32_e32 v5, s16
	v_readlane_b32 s10, v6, 63
	ds_write_b32 v5, v4
	v_mov_b32_e32 v5, s11
	v_cmp_eq_u32_e32 vcc, s7, v0
	v_cndmask_b32_e32 v2, v2, v5, vcc
	v_mov_b32_e32 v5, s10
	s_add_i32 s7, s7, 1
	s_cmp_eq_u32 s7, s9
	v_cndmask_b32_e32 v3, v3, v5, vcc
	s_cbranch_scc1 .LBB264_26
.LBB264_21:                             ; =>This Loop Header: Depth=1
                                        ;     Child Loop BB264_23 Depth 2
	v_mov_b32_e32 v5, s7
	v_mov_b32_e32 v6, 0xff800000
	s_and_saveexec_b64 s[10:11], s[0:1]
	s_cbranch_execz .LBB264_20
; %bb.22:                               ;   in Loop: Header=BB264_21 Depth=1
	s_load_dword s18, s[2:3], 0xc
	s_mov_b64 s[16:17], 0
	v_mov_b32_e32 v5, s7
	v_mov_b32_e32 v6, 0xff800000
	;; [unrolled: 1-line block ×3, first 2 shown]
	s_waitcnt lgkmcnt(0)
	s_and_b32 s18, s18, 0xffff
	s_lshl_b32 s19, s18, 2
	v_mov_b32_e32 v8, v0
.LBB264_23:                             ;   Parent Loop BB264_21 Depth=1
                                        ; =>  This Inner Loop Header: Depth=2
	ds_read_b32 v9, v7
	v_add_u32_e32 v7, s19, v7
	s_waitcnt lgkmcnt(0)
	v_cmp_gt_f32_e32 vcc, v9, v6
	v_cndmask_b32_e32 v5, v5, v8, vcc
	v_add_u32_e32 v8, s18, v8
	v_cndmask_b32_e32 v6, v6, v9, vcc
	v_cmp_le_i32_e32 vcc, s8, v8
	s_or_b64 s[16:17], vcc, s[16:17]
	s_andn2_b64 exec, exec, s[16:17]
	s_cbranch_execnz .LBB264_23
; %bb.24:                               ;   in Loop: Header=BB264_21 Depth=1
	s_or_b64 exec, exec, s[16:17]
	s_branch .LBB264_20
.LBB264_25:
                                        ; implicit-def: $vgpr3
                                        ; implicit-def: $vgpr2
.LBB264_26:
	v_cmp_gt_i32_e32 vcc, s9, v0
	s_and_saveexec_b64 s[0:1], vcc
	s_cbranch_execz .LBB264_29
; %bb.27:
	s_load_dword s2, s[4:5], 0x38
	s_load_dwordx2 s[0:1], s[4:5], 0x20
	s_ashr_i32 s3, s6, 31
	s_load_dword s4, s[4:5], 0x4c
	v_mov_b32_e32 v4, s13
	s_waitcnt lgkmcnt(0)
	v_mul_f32_e32 v1, s2, v3
	s_mul_i32 s1, s6, s1
	s_mul_hi_u32 s2, s6, s0
	s_add_i32 s1, s2, s1
	s_mul_i32 s3, s3, s0
	s_add_i32 s5, s1, s3
	s_mul_i32 s2, s6, s0
	s_and_b32 s3, s4, 0xffff
	s_mov_b64 s[0:1], 0
	v_mov_b32_e32 v3, s5
	v_mov_b32_e32 v5, s15
.LBB264_28:                             ; =>This Inner Loop Header: Depth=1
	v_ashrrev_i32_e32 v7, 31, v0
	v_add_co_u32_e32 v6, vcc, s2, v0
	v_addc_co_u32_e32 v7, vcc, v3, v7, vcc
	v_add_u32_e32 v0, s3, v0
	v_cmp_le_i32_e32 vcc, s9, v0
	v_lshlrev_b64 v[6:7], 2, v[6:7]
	s_or_b64 s[0:1], vcc, s[0:1]
	v_add_co_u32_e32 v8, vcc, s12, v6
	v_addc_co_u32_e32 v9, vcc, v4, v7, vcc
	v_add_co_u32_e32 v6, vcc, s14, v6
	v_addc_co_u32_e32 v7, vcc, v5, v7, vcc
	global_store_dword v[8:9], v1, off
	global_store_dword v[6:7], v2, off
	s_andn2_b64 exec, exec, s[0:1]
	s_cbranch_execnz .LBB264_28
.LBB264_29:
	s_endpgm
	.section	.rodata,"a",@progbits
	.p2align	6, 0x0
	.amdhsa_kernel _ZN5aiter19grouped_topk_kernelIN3c108BFloat16EDv1_fLi2ELb0ELb0ELb0EEEvPT_PKS4_PfPimiiiif
		.amdhsa_group_segment_fixed_size 0
		.amdhsa_private_segment_fixed_size 0
		.amdhsa_kernarg_size 320
		.amdhsa_user_sgpr_count 6
		.amdhsa_user_sgpr_private_segment_buffer 1
		.amdhsa_user_sgpr_dispatch_ptr 0
		.amdhsa_user_sgpr_queue_ptr 0
		.amdhsa_user_sgpr_kernarg_segment_ptr 1
		.amdhsa_user_sgpr_dispatch_id 0
		.amdhsa_user_sgpr_flat_scratch_init 0
		.amdhsa_user_sgpr_kernarg_preload_length 0
		.amdhsa_user_sgpr_kernarg_preload_offset 0
		.amdhsa_user_sgpr_private_segment_size 0
		.amdhsa_uses_dynamic_stack 0
		.amdhsa_system_sgpr_private_segment_wavefront_offset 0
		.amdhsa_system_sgpr_workgroup_id_x 1
		.amdhsa_system_sgpr_workgroup_id_y 0
		.amdhsa_system_sgpr_workgroup_id_z 0
		.amdhsa_system_sgpr_workgroup_info 0
		.amdhsa_system_vgpr_workitem_id 0
		.amdhsa_next_free_vgpr 12
		.amdhsa_next_free_sgpr 24
		.amdhsa_accum_offset 12
		.amdhsa_reserve_vcc 1
		.amdhsa_reserve_flat_scratch 0
		.amdhsa_float_round_mode_32 0
		.amdhsa_float_round_mode_16_64 0
		.amdhsa_float_denorm_mode_32 3
		.amdhsa_float_denorm_mode_16_64 3
		.amdhsa_dx10_clamp 1
		.amdhsa_ieee_mode 1
		.amdhsa_fp16_overflow 0
		.amdhsa_tg_split 0
		.amdhsa_exception_fp_ieee_invalid_op 0
		.amdhsa_exception_fp_denorm_src 0
		.amdhsa_exception_fp_ieee_div_zero 0
		.amdhsa_exception_fp_ieee_overflow 0
		.amdhsa_exception_fp_ieee_underflow 0
		.amdhsa_exception_fp_ieee_inexact 0
		.amdhsa_exception_int_div_zero 0
	.end_amdhsa_kernel
	.section	.text._ZN5aiter19grouped_topk_kernelIN3c108BFloat16EDv1_fLi2ELb0ELb0ELb0EEEvPT_PKS4_PfPimiiiif,"axG",@progbits,_ZN5aiter19grouped_topk_kernelIN3c108BFloat16EDv1_fLi2ELb0ELb0ELb0EEEvPT_PKS4_PfPimiiiif,comdat
.Lfunc_end264:
	.size	_ZN5aiter19grouped_topk_kernelIN3c108BFloat16EDv1_fLi2ELb0ELb0ELb0EEEvPT_PKS4_PfPimiiiif, .Lfunc_end264-_ZN5aiter19grouped_topk_kernelIN3c108BFloat16EDv1_fLi2ELb0ELb0ELb0EEEvPT_PKS4_PfPimiiiif
                                        ; -- End function
	.section	.AMDGPU.csdata,"",@progbits
; Kernel info:
; codeLenInByte = 1584
; NumSgprs: 28
; NumVgprs: 12
; NumAgprs: 0
; TotalNumVgprs: 12
; ScratchSize: 0
; MemoryBound: 0
; FloatMode: 240
; IeeeMode: 1
; LDSByteSize: 0 bytes/workgroup (compile time only)
; SGPRBlocks: 3
; VGPRBlocks: 1
; NumSGPRsForWavesPerEU: 28
; NumVGPRsForWavesPerEU: 12
; AccumOffset: 12
; Occupancy: 8
; WaveLimiterHint : 0
; COMPUTE_PGM_RSRC2:SCRATCH_EN: 0
; COMPUTE_PGM_RSRC2:USER_SGPR: 6
; COMPUTE_PGM_RSRC2:TRAP_HANDLER: 0
; COMPUTE_PGM_RSRC2:TGID_X_EN: 1
; COMPUTE_PGM_RSRC2:TGID_Y_EN: 0
; COMPUTE_PGM_RSRC2:TGID_Z_EN: 0
; COMPUTE_PGM_RSRC2:TIDIG_COMP_CNT: 0
; COMPUTE_PGM_RSRC3_GFX90A:ACCUM_OFFSET: 2
; COMPUTE_PGM_RSRC3_GFX90A:TG_SPLIT: 0
	.section	.text._ZN5aiter28grouped_topk_opt_sort_kernelIfDv1_fLi1ELb1ELb1ELb0EEEvPT_PKS2_PfPimiiiif,"axG",@progbits,_ZN5aiter28grouped_topk_opt_sort_kernelIfDv1_fLi1ELb1ELb1ELb0EEEvPT_PKS2_PfPimiiiif,comdat
	.protected	_ZN5aiter28grouped_topk_opt_sort_kernelIfDv1_fLi1ELb1ELb1ELb0EEEvPT_PKS2_PfPimiiiif ; -- Begin function _ZN5aiter28grouped_topk_opt_sort_kernelIfDv1_fLi1ELb1ELb1ELb0EEEvPT_PKS2_PfPimiiiif
	.globl	_ZN5aiter28grouped_topk_opt_sort_kernelIfDv1_fLi1ELb1ELb1ELb0EEEvPT_PKS2_PfPimiiiif
	.p2align	8
	.type	_ZN5aiter28grouped_topk_opt_sort_kernelIfDv1_fLi1ELb1ELb1ELb0EEEvPT_PKS2_PfPimiiiif,@function
_ZN5aiter28grouped_topk_opt_sort_kernelIfDv1_fLi1ELb1ELb1ELb0EEEvPT_PKS2_PfPimiiiif: ; @_ZN5aiter28grouped_topk_opt_sort_kernelIfDv1_fLi1ELb1ELb1ELb0EEEvPT_PKS2_PfPimiiiif
; %bb.0:
	s_load_dword s1, s[4:5], 0x28
	s_load_dwordx4 s[8:11], s[4:5], 0x0
	s_load_dword s0, s[4:5], 0x30
	v_lshlrev_b32_e32 v2, 2, v0
	s_mov_b32 s4, 0xc2fc0000
	s_waitcnt lgkmcnt(0)
	s_mul_i32 s2, s6, s1
	s_ashr_i32 s3, s2, 31
	s_lshl_b64 s[2:3], s[2:3], 2
	s_add_u32 s2, s8, s2
	s_addc_u32 s3, s9, s3
	global_load_dword v0, v2, s[2:3]
	global_load_dword v3, v2, s[10:11]
	s_mov_b32 s2, 0x652b82fe
	s_mov_b32 s3, 0xbff71547
	v_mov_b32_e32 v4, 0x42800000
	v_add_u32_e32 v2, 0, v2
	s_cmp_lt_i32 s0, 1
	s_waitcnt vmcnt(1)
	v_cvt_f64_f32_e32 v[0:1], v0
	v_mul_f64 v[0:1], v[0:1], s[2:3]
	v_cvt_f32_f64_e32 v0, v[0:1]
	v_cmp_gt_f32_e32 vcc, s4, v0
	v_cndmask_b32_e32 v1, 0, v4, vcc
	v_add_f32_e32 v0, v0, v1
	v_exp_f32_e32 v0, v0
	v_mov_b32_e32 v1, 0x1f800000
	v_cndmask_b32_e32 v1, 1.0, v1, vcc
	v_fma_f32 v0, v0, v1, 1.0
	v_rcp_f32_e32 v0, v0
	v_mov_b32_e32 v1, 0xff800000
	s_waitcnt vmcnt(0)
	v_add_f32_e32 v0, v3, v0
	v_cmp_o_f32_e32 vcc, v0, v0
	v_cndmask_b32_e32 v0, v1, v0, vcc
	ds_write_b32 v2, v0
	s_cbranch_scc1 .LBB265_7
; %bb.1:
	s_lshl_b32 s1, s1, 2
	s_add_i32 s1, s1, 0
	s_cmp_lt_u32 s0, 8
	s_cbranch_scc1 .LBB265_4
; %bb.2:
	s_and_b32 s2, s0, 0x7ffffff8
	v_mov_b32_e32 v0, s1
	s_mov_b32 s3, 0xff800000
	v_mov_b32_e32 v1, 0xff800000
.LBB265_3:                              ; =>This Inner Loop Header: Depth=1
	ds_read_b32 v2, v0
	s_add_i32 s2, s2, -8
	s_cmp_lg_u32 s2, 0
	s_waitcnt lgkmcnt(0)
	v_cmp_nlg_f32_e32 vcc, s3, v2
	v_cndmask_b32_e64 v2, 0, 1, vcc
	v_lshlrev_b32_e32 v2, 2, v2
	v_add_u32_e32 v2, s1, v2
	ds_write_b32 v2, v1
	ds_read_b32 v2, v0
	s_waitcnt lgkmcnt(0)
	v_cmp_nlg_f32_e32 vcc, s3, v2
	v_cndmask_b32_e64 v2, 0, 1, vcc
	v_lshlrev_b32_e32 v2, 2, v2
	v_add_u32_e32 v2, s1, v2
	ds_write_b32 v2, v1
	ds_read_b32 v2, v0
	;; [unrolled: 7-line block ×7, first 2 shown]
	s_waitcnt lgkmcnt(0)
	v_cmp_nlg_f32_e32 vcc, s3, v2
	v_cndmask_b32_e64 v2, 0, 1, vcc
	v_lshlrev_b32_e32 v2, 2, v2
	v_add_u32_e32 v2, s1, v2
	ds_write_b32 v2, v1
	s_cbranch_scc1 .LBB265_3
.LBB265_4:
	s_and_b32 s0, s0, 7
	s_cmp_eq_u32 s0, 0
	s_cbranch_scc1 .LBB265_7
; %bb.5:
	v_mov_b32_e32 v0, s1
	s_mov_b32 s2, 0xff800000
	v_mov_b32_e32 v1, 0xff800000
.LBB265_6:                              ; =>This Inner Loop Header: Depth=1
	ds_read_b32 v2, v0
	s_add_i32 s0, s0, -1
	s_cmp_lg_u32 s0, 0
	s_waitcnt lgkmcnt(0)
	v_cmp_nlg_f32_e32 vcc, s2, v2
	v_cndmask_b32_e64 v2, 0, 1, vcc
	v_lshlrev_b32_e32 v2, 2, v2
	v_add_u32_e32 v2, s1, v2
	ds_write_b32 v2, v1
	s_cbranch_scc1 .LBB265_6
.LBB265_7:
	s_endpgm
	.section	.rodata,"a",@progbits
	.p2align	6, 0x0
	.amdhsa_kernel _ZN5aiter28grouped_topk_opt_sort_kernelIfDv1_fLi1ELb1ELb1ELb0EEEvPT_PKS2_PfPimiiiif
		.amdhsa_group_segment_fixed_size 0
		.amdhsa_private_segment_fixed_size 0
		.amdhsa_kernarg_size 60
		.amdhsa_user_sgpr_count 6
		.amdhsa_user_sgpr_private_segment_buffer 1
		.amdhsa_user_sgpr_dispatch_ptr 0
		.amdhsa_user_sgpr_queue_ptr 0
		.amdhsa_user_sgpr_kernarg_segment_ptr 1
		.amdhsa_user_sgpr_dispatch_id 0
		.amdhsa_user_sgpr_flat_scratch_init 0
		.amdhsa_user_sgpr_kernarg_preload_length 0
		.amdhsa_user_sgpr_kernarg_preload_offset 0
		.amdhsa_user_sgpr_private_segment_size 0
		.amdhsa_uses_dynamic_stack 0
		.amdhsa_system_sgpr_private_segment_wavefront_offset 0
		.amdhsa_system_sgpr_workgroup_id_x 1
		.amdhsa_system_sgpr_workgroup_id_y 0
		.amdhsa_system_sgpr_workgroup_id_z 0
		.amdhsa_system_sgpr_workgroup_info 0
		.amdhsa_system_vgpr_workitem_id 0
		.amdhsa_next_free_vgpr 5
		.amdhsa_next_free_sgpr 12
		.amdhsa_accum_offset 8
		.amdhsa_reserve_vcc 1
		.amdhsa_reserve_flat_scratch 0
		.amdhsa_float_round_mode_32 0
		.amdhsa_float_round_mode_16_64 0
		.amdhsa_float_denorm_mode_32 3
		.amdhsa_float_denorm_mode_16_64 3
		.amdhsa_dx10_clamp 1
		.amdhsa_ieee_mode 1
		.amdhsa_fp16_overflow 0
		.amdhsa_tg_split 0
		.amdhsa_exception_fp_ieee_invalid_op 0
		.amdhsa_exception_fp_denorm_src 0
		.amdhsa_exception_fp_ieee_div_zero 0
		.amdhsa_exception_fp_ieee_overflow 0
		.amdhsa_exception_fp_ieee_underflow 0
		.amdhsa_exception_fp_ieee_inexact 0
		.amdhsa_exception_int_div_zero 0
	.end_amdhsa_kernel
	.section	.text._ZN5aiter28grouped_topk_opt_sort_kernelIfDv1_fLi1ELb1ELb1ELb0EEEvPT_PKS2_PfPimiiiif,"axG",@progbits,_ZN5aiter28grouped_topk_opt_sort_kernelIfDv1_fLi1ELb1ELb1ELb0EEEvPT_PKS2_PfPimiiiif,comdat
.Lfunc_end265:
	.size	_ZN5aiter28grouped_topk_opt_sort_kernelIfDv1_fLi1ELb1ELb1ELb0EEEvPT_PKS2_PfPimiiiif, .Lfunc_end265-_ZN5aiter28grouped_topk_opt_sort_kernelIfDv1_fLi1ELb1ELb1ELb0EEEvPT_PKS2_PfPimiiiif
                                        ; -- End function
	.section	.AMDGPU.csdata,"",@progbits
; Kernel info:
; codeLenInByte = 668
; NumSgprs: 16
; NumVgprs: 5
; NumAgprs: 0
; TotalNumVgprs: 5
; ScratchSize: 0
; MemoryBound: 0
; FloatMode: 240
; IeeeMode: 1
; LDSByteSize: 0 bytes/workgroup (compile time only)
; SGPRBlocks: 1
; VGPRBlocks: 0
; NumSGPRsForWavesPerEU: 16
; NumVGPRsForWavesPerEU: 5
; AccumOffset: 8
; Occupancy: 8
; WaveLimiterHint : 0
; COMPUTE_PGM_RSRC2:SCRATCH_EN: 0
; COMPUTE_PGM_RSRC2:USER_SGPR: 6
; COMPUTE_PGM_RSRC2:TRAP_HANDLER: 0
; COMPUTE_PGM_RSRC2:TGID_X_EN: 1
; COMPUTE_PGM_RSRC2:TGID_Y_EN: 0
; COMPUTE_PGM_RSRC2:TGID_Z_EN: 0
; COMPUTE_PGM_RSRC2:TIDIG_COMP_CNT: 0
; COMPUTE_PGM_RSRC3_GFX90A:ACCUM_OFFSET: 1
; COMPUTE_PGM_RSRC3_GFX90A:TG_SPLIT: 0
	.section	.text._ZN5aiter28grouped_topk_opt_sort_kernelIN3c104HalfEDv1_fLi1ELb1ELb1ELb0EEEvPT_PKS4_PfPimiiiif,"axG",@progbits,_ZN5aiter28grouped_topk_opt_sort_kernelIN3c104HalfEDv1_fLi1ELb1ELb1ELb0EEEvPT_PKS4_PfPimiiiif,comdat
	.protected	_ZN5aiter28grouped_topk_opt_sort_kernelIN3c104HalfEDv1_fLi1ELb1ELb1ELb0EEEvPT_PKS4_PfPimiiiif ; -- Begin function _ZN5aiter28grouped_topk_opt_sort_kernelIN3c104HalfEDv1_fLi1ELb1ELb1ELb0EEEvPT_PKS4_PfPimiiiif
	.globl	_ZN5aiter28grouped_topk_opt_sort_kernelIN3c104HalfEDv1_fLi1ELb1ELb1ELb0EEEvPT_PKS4_PfPimiiiif
	.p2align	8
	.type	_ZN5aiter28grouped_topk_opt_sort_kernelIN3c104HalfEDv1_fLi1ELb1ELb1ELb0EEEvPT_PKS4_PfPimiiiif,@function
_ZN5aiter28grouped_topk_opt_sort_kernelIN3c104HalfEDv1_fLi1ELb1ELb1ELb0EEEvPT_PKS4_PfPimiiiif: ; @_ZN5aiter28grouped_topk_opt_sort_kernelIN3c104HalfEDv1_fLi1ELb1ELb1ELb0EEEvPT_PKS4_PfPimiiiif
; %bb.0:
	s_load_dword s1, s[4:5], 0x28
	s_load_dwordx4 s[8:11], s[4:5], 0x0
	s_load_dword s0, s[4:5], 0x30
	v_lshlrev_b32_e32 v1, 1, v0
	s_mov_b32 s4, 0xc2fc0000
	s_waitcnt lgkmcnt(0)
	s_mul_i32 s2, s6, s1
	s_ashr_i32 s3, s2, 31
	s_lshl_b64 s[2:3], s[2:3], 1
	s_add_u32 s2, s8, s2
	s_addc_u32 s3, s9, s3
	global_load_ushort v2, v1, s[2:3]
	global_load_ushort v4, v1, s[10:11]
	s_mov_b32 s2, 0x652b82fe
	s_mov_b32 s3, 0xbff71547
	v_mov_b32_e32 v5, 0x42800000
	v_lshl_add_u32 v0, v0, 2, 0
	s_cmp_lt_i32 s0, 1
	s_waitcnt vmcnt(1)
	v_cvt_f32_f16_e32 v1, v2
	v_cvt_f64_f32_e32 v[2:3], v1
	v_mul_f64 v[2:3], v[2:3], s[2:3]
	v_cvt_f32_f64_e32 v1, v[2:3]
	v_cmp_gt_f32_e32 vcc, s4, v1
	v_cndmask_b32_e32 v2, 0, v5, vcc
	v_add_f32_e32 v1, v1, v2
	v_exp_f32_e32 v1, v1
	v_mov_b32_e32 v2, 0x1f800000
	v_cndmask_b32_e32 v2, 1.0, v2, vcc
	s_waitcnt vmcnt(0)
	v_cvt_f32_f16_e32 v3, v4
	v_fma_f32 v1, v1, v2, 1.0
	v_rcp_f32_e32 v1, v1
	v_mov_b32_e32 v2, 0xff800000
	v_add_f32_e32 v1, v1, v3
	v_cmp_o_f32_e32 vcc, v1, v1
	v_cndmask_b32_e32 v1, v2, v1, vcc
	ds_write_b32 v0, v1
	s_cbranch_scc1 .LBB266_7
; %bb.1:
	s_lshl_b32 s1, s1, 2
	s_add_i32 s1, s1, 0
	s_cmp_lt_u32 s0, 8
	s_cbranch_scc1 .LBB266_4
; %bb.2:
	s_and_b32 s2, s0, 0x7ffffff8
	v_mov_b32_e32 v0, s1
	s_mov_b32 s3, 0xff800000
	v_mov_b32_e32 v1, 0xff800000
.LBB266_3:                              ; =>This Inner Loop Header: Depth=1
	ds_read_b32 v2, v0
	s_add_i32 s2, s2, -8
	s_cmp_lg_u32 s2, 0
	s_waitcnt lgkmcnt(0)
	v_cmp_nlg_f32_e32 vcc, s3, v2
	v_cndmask_b32_e64 v2, 0, 1, vcc
	v_lshlrev_b32_e32 v2, 2, v2
	v_add_u32_e32 v2, s1, v2
	ds_write_b32 v2, v1
	ds_read_b32 v2, v0
	s_waitcnt lgkmcnt(0)
	v_cmp_nlg_f32_e32 vcc, s3, v2
	v_cndmask_b32_e64 v2, 0, 1, vcc
	v_lshlrev_b32_e32 v2, 2, v2
	v_add_u32_e32 v2, s1, v2
	ds_write_b32 v2, v1
	ds_read_b32 v2, v0
	;; [unrolled: 7-line block ×7, first 2 shown]
	s_waitcnt lgkmcnt(0)
	v_cmp_nlg_f32_e32 vcc, s3, v2
	v_cndmask_b32_e64 v2, 0, 1, vcc
	v_lshlrev_b32_e32 v2, 2, v2
	v_add_u32_e32 v2, s1, v2
	ds_write_b32 v2, v1
	s_cbranch_scc1 .LBB266_3
.LBB266_4:
	s_and_b32 s0, s0, 7
	s_cmp_eq_u32 s0, 0
	s_cbranch_scc1 .LBB266_7
; %bb.5:
	v_mov_b32_e32 v0, s1
	s_mov_b32 s2, 0xff800000
	v_mov_b32_e32 v1, 0xff800000
.LBB266_6:                              ; =>This Inner Loop Header: Depth=1
	ds_read_b32 v2, v0
	s_add_i32 s0, s0, -1
	s_cmp_lg_u32 s0, 0
	s_waitcnt lgkmcnt(0)
	v_cmp_nlg_f32_e32 vcc, s2, v2
	v_cndmask_b32_e64 v2, 0, 1, vcc
	v_lshlrev_b32_e32 v2, 2, v2
	v_add_u32_e32 v2, s1, v2
	ds_write_b32 v2, v1
	s_cbranch_scc1 .LBB266_6
.LBB266_7:
	s_endpgm
	.section	.rodata,"a",@progbits
	.p2align	6, 0x0
	.amdhsa_kernel _ZN5aiter28grouped_topk_opt_sort_kernelIN3c104HalfEDv1_fLi1ELb1ELb1ELb0EEEvPT_PKS4_PfPimiiiif
		.amdhsa_group_segment_fixed_size 0
		.amdhsa_private_segment_fixed_size 0
		.amdhsa_kernarg_size 60
		.amdhsa_user_sgpr_count 6
		.amdhsa_user_sgpr_private_segment_buffer 1
		.amdhsa_user_sgpr_dispatch_ptr 0
		.amdhsa_user_sgpr_queue_ptr 0
		.amdhsa_user_sgpr_kernarg_segment_ptr 1
		.amdhsa_user_sgpr_dispatch_id 0
		.amdhsa_user_sgpr_flat_scratch_init 0
		.amdhsa_user_sgpr_kernarg_preload_length 0
		.amdhsa_user_sgpr_kernarg_preload_offset 0
		.amdhsa_user_sgpr_private_segment_size 0
		.amdhsa_uses_dynamic_stack 0
		.amdhsa_system_sgpr_private_segment_wavefront_offset 0
		.amdhsa_system_sgpr_workgroup_id_x 1
		.amdhsa_system_sgpr_workgroup_id_y 0
		.amdhsa_system_sgpr_workgroup_id_z 0
		.amdhsa_system_sgpr_workgroup_info 0
		.amdhsa_system_vgpr_workitem_id 0
		.amdhsa_next_free_vgpr 6
		.amdhsa_next_free_sgpr 12
		.amdhsa_accum_offset 8
		.amdhsa_reserve_vcc 1
		.amdhsa_reserve_flat_scratch 0
		.amdhsa_float_round_mode_32 0
		.amdhsa_float_round_mode_16_64 0
		.amdhsa_float_denorm_mode_32 3
		.amdhsa_float_denorm_mode_16_64 3
		.amdhsa_dx10_clamp 1
		.amdhsa_ieee_mode 1
		.amdhsa_fp16_overflow 0
		.amdhsa_tg_split 0
		.amdhsa_exception_fp_ieee_invalid_op 0
		.amdhsa_exception_fp_denorm_src 0
		.amdhsa_exception_fp_ieee_div_zero 0
		.amdhsa_exception_fp_ieee_overflow 0
		.amdhsa_exception_fp_ieee_underflow 0
		.amdhsa_exception_fp_ieee_inexact 0
		.amdhsa_exception_int_div_zero 0
	.end_amdhsa_kernel
	.section	.text._ZN5aiter28grouped_topk_opt_sort_kernelIN3c104HalfEDv1_fLi1ELb1ELb1ELb0EEEvPT_PKS4_PfPimiiiif,"axG",@progbits,_ZN5aiter28grouped_topk_opt_sort_kernelIN3c104HalfEDv1_fLi1ELb1ELb1ELb0EEEvPT_PKS4_PfPimiiiif,comdat
.Lfunc_end266:
	.size	_ZN5aiter28grouped_topk_opt_sort_kernelIN3c104HalfEDv1_fLi1ELb1ELb1ELb0EEEvPT_PKS4_PfPimiiiif, .Lfunc_end266-_ZN5aiter28grouped_topk_opt_sort_kernelIN3c104HalfEDv1_fLi1ELb1ELb1ELb0EEEvPT_PKS4_PfPimiiiif
                                        ; -- End function
	.section	.AMDGPU.csdata,"",@progbits
; Kernel info:
; codeLenInByte = 680
; NumSgprs: 16
; NumVgprs: 6
; NumAgprs: 0
; TotalNumVgprs: 6
; ScratchSize: 0
; MemoryBound: 0
; FloatMode: 240
; IeeeMode: 1
; LDSByteSize: 0 bytes/workgroup (compile time only)
; SGPRBlocks: 1
; VGPRBlocks: 0
; NumSGPRsForWavesPerEU: 16
; NumVGPRsForWavesPerEU: 6
; AccumOffset: 8
; Occupancy: 8
; WaveLimiterHint : 0
; COMPUTE_PGM_RSRC2:SCRATCH_EN: 0
; COMPUTE_PGM_RSRC2:USER_SGPR: 6
; COMPUTE_PGM_RSRC2:TRAP_HANDLER: 0
; COMPUTE_PGM_RSRC2:TGID_X_EN: 1
; COMPUTE_PGM_RSRC2:TGID_Y_EN: 0
; COMPUTE_PGM_RSRC2:TGID_Z_EN: 0
; COMPUTE_PGM_RSRC2:TIDIG_COMP_CNT: 0
; COMPUTE_PGM_RSRC3_GFX90A:ACCUM_OFFSET: 1
; COMPUTE_PGM_RSRC3_GFX90A:TG_SPLIT: 0
	.section	.text._ZN5aiter28grouped_topk_opt_sort_kernelIN3c108BFloat16EDv1_fLi1ELb1ELb1ELb0EEEvPT_PKS4_PfPimiiiif,"axG",@progbits,_ZN5aiter28grouped_topk_opt_sort_kernelIN3c108BFloat16EDv1_fLi1ELb1ELb1ELb0EEEvPT_PKS4_PfPimiiiif,comdat
	.protected	_ZN5aiter28grouped_topk_opt_sort_kernelIN3c108BFloat16EDv1_fLi1ELb1ELb1ELb0EEEvPT_PKS4_PfPimiiiif ; -- Begin function _ZN5aiter28grouped_topk_opt_sort_kernelIN3c108BFloat16EDv1_fLi1ELb1ELb1ELb0EEEvPT_PKS4_PfPimiiiif
	.globl	_ZN5aiter28grouped_topk_opt_sort_kernelIN3c108BFloat16EDv1_fLi1ELb1ELb1ELb0EEEvPT_PKS4_PfPimiiiif
	.p2align	8
	.type	_ZN5aiter28grouped_topk_opt_sort_kernelIN3c108BFloat16EDv1_fLi1ELb1ELb1ELb0EEEvPT_PKS4_PfPimiiiif,@function
_ZN5aiter28grouped_topk_opt_sort_kernelIN3c108BFloat16EDv1_fLi1ELb1ELb1ELb0EEEvPT_PKS4_PfPimiiiif: ; @_ZN5aiter28grouped_topk_opt_sort_kernelIN3c108BFloat16EDv1_fLi1ELb1ELb1ELb0EEEvPT_PKS4_PfPimiiiif
; %bb.0:
	s_load_dword s1, s[4:5], 0x28
	s_load_dwordx4 s[8:11], s[4:5], 0x0
	s_load_dword s0, s[4:5], 0x30
	v_lshlrev_b32_e32 v1, 1, v0
	s_mov_b32 s4, 0xc2fc0000
	s_waitcnt lgkmcnt(0)
	s_mul_i32 s2, s6, s1
	s_ashr_i32 s3, s2, 31
	s_lshl_b64 s[2:3], s[2:3], 1
	s_add_u32 s2, s8, s2
	s_addc_u32 s3, s9, s3
	global_load_ushort v2, v1, s[2:3]
	global_load_ushort v4, v1, s[10:11]
	s_mov_b32 s2, 0x652b82fe
	s_mov_b32 s3, 0xbff71547
	v_mov_b32_e32 v1, 0x42800000
	v_lshl_add_u32 v0, v0, 2, 0
	s_cmp_lt_i32 s0, 1
	s_waitcnt vmcnt(1)
	v_cvt_f64_u32_e32 v[2:3], v2
	v_mul_f64 v[2:3], v[2:3], s[2:3]
	v_cvt_f32_f64_e32 v2, v[2:3]
	v_cmp_gt_f32_e32 vcc, s4, v2
	v_cndmask_b32_e32 v1, 0, v1, vcc
	v_add_f32_e32 v1, v2, v1
	v_exp_f32_e32 v1, v1
	v_mov_b32_e32 v2, 0x1f800000
	v_cndmask_b32_e32 v2, 1.0, v2, vcc
	s_waitcnt vmcnt(0)
	v_cvt_f32_u32_e32 v3, v4
	v_fma_f32 v1, v1, v2, 1.0
	v_rcp_f32_e32 v1, v1
	v_mov_b32_e32 v2, 0xff800000
	v_add_f32_e32 v1, v1, v3
	v_cmp_o_f32_e32 vcc, v1, v1
	v_cndmask_b32_e32 v1, v2, v1, vcc
	ds_write_b32 v0, v1
	s_cbranch_scc1 .LBB267_7
; %bb.1:
	s_lshl_b32 s1, s1, 2
	s_add_i32 s1, s1, 0
	s_cmp_lt_u32 s0, 8
	s_cbranch_scc1 .LBB267_4
; %bb.2:
	s_and_b32 s2, s0, 0x7ffffff8
	v_mov_b32_e32 v0, s1
	s_mov_b32 s3, 0xff800000
	v_mov_b32_e32 v1, 0xff800000
.LBB267_3:                              ; =>This Inner Loop Header: Depth=1
	ds_read_b32 v2, v0
	s_add_i32 s2, s2, -8
	s_cmp_lg_u32 s2, 0
	s_waitcnt lgkmcnt(0)
	v_cmp_nlg_f32_e32 vcc, s3, v2
	v_cndmask_b32_e64 v2, 0, 1, vcc
	v_lshlrev_b32_e32 v2, 2, v2
	v_add_u32_e32 v2, s1, v2
	ds_write_b32 v2, v1
	ds_read_b32 v2, v0
	s_waitcnt lgkmcnt(0)
	v_cmp_nlg_f32_e32 vcc, s3, v2
	v_cndmask_b32_e64 v2, 0, 1, vcc
	v_lshlrev_b32_e32 v2, 2, v2
	v_add_u32_e32 v2, s1, v2
	ds_write_b32 v2, v1
	ds_read_b32 v2, v0
	;; [unrolled: 7-line block ×7, first 2 shown]
	s_waitcnt lgkmcnt(0)
	v_cmp_nlg_f32_e32 vcc, s3, v2
	v_cndmask_b32_e64 v2, 0, 1, vcc
	v_lshlrev_b32_e32 v2, 2, v2
	v_add_u32_e32 v2, s1, v2
	ds_write_b32 v2, v1
	s_cbranch_scc1 .LBB267_3
.LBB267_4:
	s_and_b32 s0, s0, 7
	s_cmp_eq_u32 s0, 0
	s_cbranch_scc1 .LBB267_7
; %bb.5:
	v_mov_b32_e32 v0, s1
	s_mov_b32 s2, 0xff800000
	v_mov_b32_e32 v1, 0xff800000
.LBB267_6:                              ; =>This Inner Loop Header: Depth=1
	ds_read_b32 v2, v0
	s_add_i32 s0, s0, -1
	s_cmp_lg_u32 s0, 0
	s_waitcnt lgkmcnt(0)
	v_cmp_nlg_f32_e32 vcc, s2, v2
	v_cndmask_b32_e64 v2, 0, 1, vcc
	v_lshlrev_b32_e32 v2, 2, v2
	v_add_u32_e32 v2, s1, v2
	ds_write_b32 v2, v1
	s_cbranch_scc1 .LBB267_6
.LBB267_7:
	s_endpgm
	.section	.rodata,"a",@progbits
	.p2align	6, 0x0
	.amdhsa_kernel _ZN5aiter28grouped_topk_opt_sort_kernelIN3c108BFloat16EDv1_fLi1ELb1ELb1ELb0EEEvPT_PKS4_PfPimiiiif
		.amdhsa_group_segment_fixed_size 0
		.amdhsa_private_segment_fixed_size 0
		.amdhsa_kernarg_size 60
		.amdhsa_user_sgpr_count 6
		.amdhsa_user_sgpr_private_segment_buffer 1
		.amdhsa_user_sgpr_dispatch_ptr 0
		.amdhsa_user_sgpr_queue_ptr 0
		.amdhsa_user_sgpr_kernarg_segment_ptr 1
		.amdhsa_user_sgpr_dispatch_id 0
		.amdhsa_user_sgpr_flat_scratch_init 0
		.amdhsa_user_sgpr_kernarg_preload_length 0
		.amdhsa_user_sgpr_kernarg_preload_offset 0
		.amdhsa_user_sgpr_private_segment_size 0
		.amdhsa_uses_dynamic_stack 0
		.amdhsa_system_sgpr_private_segment_wavefront_offset 0
		.amdhsa_system_sgpr_workgroup_id_x 1
		.amdhsa_system_sgpr_workgroup_id_y 0
		.amdhsa_system_sgpr_workgroup_id_z 0
		.amdhsa_system_sgpr_workgroup_info 0
		.amdhsa_system_vgpr_workitem_id 0
		.amdhsa_next_free_vgpr 5
		.amdhsa_next_free_sgpr 12
		.amdhsa_accum_offset 8
		.amdhsa_reserve_vcc 1
		.amdhsa_reserve_flat_scratch 0
		.amdhsa_float_round_mode_32 0
		.amdhsa_float_round_mode_16_64 0
		.amdhsa_float_denorm_mode_32 3
		.amdhsa_float_denorm_mode_16_64 3
		.amdhsa_dx10_clamp 1
		.amdhsa_ieee_mode 1
		.amdhsa_fp16_overflow 0
		.amdhsa_tg_split 0
		.amdhsa_exception_fp_ieee_invalid_op 0
		.amdhsa_exception_fp_denorm_src 0
		.amdhsa_exception_fp_ieee_div_zero 0
		.amdhsa_exception_fp_ieee_overflow 0
		.amdhsa_exception_fp_ieee_underflow 0
		.amdhsa_exception_fp_ieee_inexact 0
		.amdhsa_exception_int_div_zero 0
	.end_amdhsa_kernel
	.section	.text._ZN5aiter28grouped_topk_opt_sort_kernelIN3c108BFloat16EDv1_fLi1ELb1ELb1ELb0EEEvPT_PKS4_PfPimiiiif,"axG",@progbits,_ZN5aiter28grouped_topk_opt_sort_kernelIN3c108BFloat16EDv1_fLi1ELb1ELb1ELb0EEEvPT_PKS4_PfPimiiiif,comdat
.Lfunc_end267:
	.size	_ZN5aiter28grouped_topk_opt_sort_kernelIN3c108BFloat16EDv1_fLi1ELb1ELb1ELb0EEEvPT_PKS4_PfPimiiiif, .Lfunc_end267-_ZN5aiter28grouped_topk_opt_sort_kernelIN3c108BFloat16EDv1_fLi1ELb1ELb1ELb0EEEvPT_PKS4_PfPimiiiif
                                        ; -- End function
	.section	.AMDGPU.csdata,"",@progbits
; Kernel info:
; codeLenInByte = 676
; NumSgprs: 16
; NumVgprs: 5
; NumAgprs: 0
; TotalNumVgprs: 5
; ScratchSize: 0
; MemoryBound: 0
; FloatMode: 240
; IeeeMode: 1
; LDSByteSize: 0 bytes/workgroup (compile time only)
; SGPRBlocks: 1
; VGPRBlocks: 0
; NumSGPRsForWavesPerEU: 16
; NumVGPRsForWavesPerEU: 5
; AccumOffset: 8
; Occupancy: 8
; WaveLimiterHint : 0
; COMPUTE_PGM_RSRC2:SCRATCH_EN: 0
; COMPUTE_PGM_RSRC2:USER_SGPR: 6
; COMPUTE_PGM_RSRC2:TRAP_HANDLER: 0
; COMPUTE_PGM_RSRC2:TGID_X_EN: 1
; COMPUTE_PGM_RSRC2:TGID_Y_EN: 0
; COMPUTE_PGM_RSRC2:TGID_Z_EN: 0
; COMPUTE_PGM_RSRC2:TIDIG_COMP_CNT: 0
; COMPUTE_PGM_RSRC3_GFX90A:ACCUM_OFFSET: 1
; COMPUTE_PGM_RSRC3_GFX90A:TG_SPLIT: 0
	.section	.text._ZN5aiter19grouped_topk_kernelIfDv1_fLi1ELb1ELb1ELb0EEEvPT_PKS2_PfPimiiiif,"axG",@progbits,_ZN5aiter19grouped_topk_kernelIfDv1_fLi1ELb1ELb1ELb0EEEvPT_PKS2_PfPimiiiif,comdat
	.protected	_ZN5aiter19grouped_topk_kernelIfDv1_fLi1ELb1ELb1ELb0EEEvPT_PKS2_PfPimiiiif ; -- Begin function _ZN5aiter19grouped_topk_kernelIfDv1_fLi1ELb1ELb1ELb0EEEvPT_PKS2_PfPimiiiif
	.globl	_ZN5aiter19grouped_topk_kernelIfDv1_fLi1ELb1ELb1ELb0EEEvPT_PKS2_PfPimiiiif
	.p2align	8
	.type	_ZN5aiter19grouped_topk_kernelIfDv1_fLi1ELb1ELb1ELb0EEEvPT_PKS2_PfPimiiiif,@function
_ZN5aiter19grouped_topk_kernelIfDv1_fLi1ELb1ELb1ELb0EEEvPT_PKS2_PfPimiiiif: ; @_ZN5aiter19grouped_topk_kernelIfDv1_fLi1ELb1ELb1ELb0EEEvPT_PKS2_PfPimiiiif
; %bb.0:
	s_load_dwordx2 s[2:3], s[4:5], 0x28
	s_load_dwordx4 s[8:11], s[4:5], 0x8
	s_load_dwordx2 s[12:13], s[4:5], 0x18
	v_lshl_add_u32 v1, v0, 2, 0
	s_waitcnt lgkmcnt(0)
	v_cmp_gt_i32_e64 s[0:1], s2, v0
	s_and_saveexec_b64 s[14:15], s[0:1]
	s_cbranch_execz .LBB268_3
; %bb.1:
	s_load_dwordx2 s[16:17], s[4:5], 0x0
	s_load_dword s20, s[4:5], 0x4c
	s_mul_i32 s18, s6, s2
	s_ashr_i32 s19, s18, 31
	s_lshl_b64 s[18:19], s[18:19], 2
	s_waitcnt lgkmcnt(0)
	s_add_u32 s7, s16, s18
	s_addc_u32 s21, s17, s19
	s_and_b32 s18, s20, 0xffff
	v_lshl_add_u32 v4, v0, 2, 0
	s_lshl_b32 s19, s18, 2
	s_mov_b64 s[16:17], 0
	v_mov_b32_e32 v5, s21
	v_mov_b32_e32 v6, s9
	s_mov_b32 s20, 0xbfb8aa3b
	s_mov_b32 s21, 0x42ce8ed0
	;; [unrolled: 1-line block ×3, first 2 shown]
	v_mov_b32_e32 v7, 0x7f800000
	v_mov_b32_e32 v2, v0
.LBB268_2:                              ; =>This Inner Loop Header: Depth=1
	v_ashrrev_i32_e32 v3, 31, v2
	v_lshlrev_b64 v[8:9], 2, v[2:3]
	v_add_co_u32_e32 v10, vcc, s7, v8
	v_addc_co_u32_e32 v11, vcc, v5, v9, vcc
	global_load_dword v3, v[10:11], off
	v_add_co_u32_e32 v8, vcc, s8, v8
	v_addc_co_u32_e32 v9, vcc, v6, v9, vcc
	global_load_dword v8, v[8:9], off
	v_add_u32_e32 v2, s18, v2
	v_cmp_le_i32_e32 vcc, s2, v2
	s_or_b64 s[16:17], vcc, s[16:17]
	s_waitcnt vmcnt(1)
	v_mul_f32_e32 v9, 0xbfb8aa3b, v3
	v_fma_f32 v10, v3, s20, -v9
	v_rndne_f32_e32 v11, v9
	v_fmac_f32_e32 v10, 0xb2a5705f, v3
	v_sub_f32_e32 v9, v9, v11
	v_add_f32_e32 v9, v9, v10
	v_cvt_i32_f32_e32 v11, v11
	v_exp_f32_e32 v9, v9
	v_cmp_nlt_f32_e32 vcc, s21, v3
	v_ldexp_f32 v9, v9, v11
	v_cndmask_b32_e32 v9, 0, v9, vcc
	v_cmp_ngt_f32_e32 vcc, s22, v3
	v_cndmask_b32_e32 v3, v7, v9, vcc
	v_add_f32_e32 v3, 1.0, v3
	v_div_scale_f32 v9, s[24:25], v3, v3, 1.0
	v_rcp_f32_e32 v10, v9
	v_div_scale_f32 v11, vcc, 1.0, v3, 1.0
	v_fma_f32 v12, -v9, v10, 1.0
	v_fmac_f32_e32 v10, v12, v10
	v_mul_f32_e32 v12, v11, v10
	v_fma_f32 v13, -v9, v12, v11
	v_fmac_f32_e32 v12, v13, v10
	v_fma_f32 v9, -v9, v12, v11
	v_div_fmas_f32 v9, v9, v10, v12
	v_div_fixup_f32 v3, v9, v3, 1.0
	s_waitcnt vmcnt(0)
	v_add_f32_e32 v3, v8, v3
	ds_write_b32 v4, v3
	v_add_u32_e32 v4, s19, v4
	s_andn2_b64 exec, exec, s[16:17]
	s_cbranch_execnz .LBB268_2
.LBB268_3:
	s_or_b64 exec, exec, s[14:15]
	s_cmp_lt_i32 s3, 1
	s_waitcnt lgkmcnt(0)
	s_barrier
	s_cbranch_scc1 .LBB268_10
; %bb.4:
	s_add_u32 s14, s4, 64
	s_addc_u32 s15, s5, 0
	s_mov_b32 s7, 0
	v_mov_b32_e32 v3, 0
	v_mov_b32_e32 v5, 0xff800000
                                        ; implicit-def: $vgpr4
                                        ; implicit-def: $vgpr2
	s_branch .LBB268_6
.LBB268_5:                              ;   in Loop: Header=BB268_6 Depth=1
	s_or_b64 exec, exec, s[16:17]
	v_mov_b32_dpp v9, v7 quad_perm:[1,0,3,2] row_mask:0xf bank_mask:0xf
	v_cmp_lt_f32_e32 vcc, v7, v9
	v_cndmask_b32_e32 v7, v7, v9, vcc
	v_mov_b32_dpp v8, v6 quad_perm:[1,0,3,2] row_mask:0xf bank_mask:0xf
	v_cndmask_b32_e32 v6, v6, v8, vcc
	v_mov_b32_dpp v9, v7 quad_perm:[2,3,0,1] row_mask:0xf bank_mask:0xf
	v_cmp_gt_f32_e32 vcc, v9, v7
	v_cndmask_b32_e32 v7, v7, v9, vcc
	v_mov_b32_dpp v8, v6 quad_perm:[2,3,0,1] row_mask:0xf bank_mask:0xf
	v_cndmask_b32_e32 v6, v6, v8, vcc
	v_mov_b32_dpp v9, v7 row_half_mirror row_mask:0xf bank_mask:0xf
	v_cmp_gt_f32_e32 vcc, v9, v7
	v_cndmask_b32_e32 v7, v7, v9, vcc
	v_mov_b32_dpp v8, v6 row_half_mirror row_mask:0xf bank_mask:0xf
	v_cndmask_b32_e32 v6, v6, v8, vcc
	v_mov_b32_dpp v9, v7 row_mirror row_mask:0xf bank_mask:0xf
	v_cmp_gt_f32_e32 vcc, v9, v7
	v_cndmask_b32_e32 v7, v7, v9, vcc
	v_mov_b32_dpp v8, v6 row_mirror row_mask:0xf bank_mask:0xf
	v_cndmask_b32_e32 v6, v6, v8, vcc
	v_mov_b32_dpp v9, v7 row_bcast:15 row_mask:0xf bank_mask:0xf
	v_cmp_gt_f32_e32 vcc, v9, v7
	v_mov_b32_dpp v8, v6 row_bcast:15 row_mask:0xf bank_mask:0xf
	v_cndmask_b32_e32 v7, v7, v9, vcc
	v_cndmask_b32_e32 v6, v6, v8, vcc
	s_nop 0
	v_mov_b32_dpp v9, v7 row_bcast:31 row_mask:0xf bank_mask:0xf
	v_mov_b32_dpp v8, v6 row_bcast:31 row_mask:0xf bank_mask:0xf
	v_cmp_gt_f32_e32 vcc, v9, v7
	v_cndmask_b32_e32 v6, v6, v8, vcc
	v_readlane_b32 s16, v6, 63
	s_ashr_i32 s17, s16, 31
	s_lshl_b64 s[18:19], s[16:17], 2
	s_add_u32 s18, s8, s18
	s_addc_u32 s19, s9, s19
	s_load_dword s17, s[18:19], 0x0
	v_cndmask_b32_e32 v6, v7, v9, vcc
	v_readlane_b32 s18, v6, 63
	v_cmp_eq_u32_e32 vcc, s7, v0
	s_add_i32 s7, s7, 1
	s_waitcnt lgkmcnt(0)
	v_mov_b32_e32 v6, s17
	s_lshl_b32 s17, s16, 2
	s_add_i32 s17, s17, 0
	v_mov_b32_e32 v7, s17
	v_sub_f32_e32 v6, s18, v6
	ds_write_b32 v7, v5
	v_mov_b32_e32 v7, s16
	v_cndmask_b32_e32 v2, v2, v7, vcc
	v_cndmask_b32_e32 v4, v4, v6, vcc
	s_cmp_eq_u32 s7, s3
	v_add_f32_e32 v3, v3, v6
	s_cbranch_scc1 .LBB268_11
.LBB268_6:                              ; =>This Loop Header: Depth=1
                                        ;     Child Loop BB268_8 Depth 2
	v_mov_b32_e32 v6, s7
	v_mov_b32_e32 v7, 0xff800000
	s_and_saveexec_b64 s[16:17], s[0:1]
	s_cbranch_execz .LBB268_5
; %bb.7:                                ;   in Loop: Header=BB268_6 Depth=1
	s_load_dword s20, s[14:15], 0xc
	s_mov_b64 s[18:19], 0
	v_mov_b32_e32 v6, s7
	v_mov_b32_e32 v7, 0xff800000
	v_mov_b32_e32 v8, v1
	s_waitcnt lgkmcnt(0)
	s_and_b32 s20, s20, 0xffff
	s_lshl_b32 s21, s20, 2
	v_mov_b32_e32 v9, v0
.LBB268_8:                              ;   Parent Loop BB268_6 Depth=1
                                        ; =>  This Inner Loop Header: Depth=2
	ds_read_b32 v10, v8
	v_add_u32_e32 v8, s21, v8
	s_waitcnt lgkmcnt(0)
	v_cmp_gt_f32_e32 vcc, v10, v7
	v_cndmask_b32_e32 v6, v6, v9, vcc
	v_add_u32_e32 v9, s20, v9
	v_cndmask_b32_e32 v7, v7, v10, vcc
	v_cmp_le_i32_e32 vcc, s2, v9
	s_or_b64 s[18:19], vcc, s[18:19]
	s_andn2_b64 exec, exec, s[18:19]
	s_cbranch_execnz .LBB268_8
; %bb.9:                                ;   in Loop: Header=BB268_6 Depth=1
	s_or_b64 exec, exec, s[18:19]
	s_branch .LBB268_5
.LBB268_10:
	v_mov_b32_e32 v3, 0
                                        ; implicit-def: $vgpr4
                                        ; implicit-def: $vgpr2
.LBB268_11:
	v_cmp_gt_i32_e32 vcc, s3, v0
	s_and_saveexec_b64 s[0:1], vcc
	s_cbranch_execz .LBB268_14
; %bb.12:
	s_load_dword s2, s[4:5], 0x38
	s_load_dwordx2 s[0:1], s[4:5], 0x20
	s_load_dword s7, s[4:5], 0x4c
	s_waitcnt lgkmcnt(0)
	v_div_scale_f32 v1, s[4:5], v3, v3, s2
	v_rcp_f32_e32 v5, v1
	v_div_scale_f32 v6, vcc, s2, v3, s2
	s_ashr_i32 s4, s6, 31
	v_fma_f32 v7, -v1, v5, 1.0
	v_fmac_f32_e32 v5, v7, v5
	v_mul_f32_e32 v7, v6, v5
	v_fma_f32 v8, -v1, v7, v6
	v_fmac_f32_e32 v7, v8, v5
	v_fma_f32 v1, -v1, v7, v6
	v_div_fmas_f32 v1, v1, v5, v7
	v_div_fixup_f32 v1, v1, v3, s2
	s_mul_i32 s1, s6, s1
	s_mul_hi_u32 s2, s6, s0
	s_add_i32 s1, s2, s1
	s_mul_i32 s4, s4, s0
	s_add_i32 s5, s1, s4
	v_mul_f32_e32 v1, v1, v4
	s_mul_i32 s2, s6, s0
	s_and_b32 s4, s7, 0xffff
	s_mov_b64 s[0:1], 0
	v_mov_b32_e32 v3, s5
	v_mov_b32_e32 v4, s11
	;; [unrolled: 1-line block ×3, first 2 shown]
.LBB268_13:                             ; =>This Inner Loop Header: Depth=1
	v_ashrrev_i32_e32 v7, 31, v0
	v_add_co_u32_e32 v6, vcc, s2, v0
	v_addc_co_u32_e32 v7, vcc, v3, v7, vcc
	v_add_u32_e32 v0, s4, v0
	v_cmp_le_i32_e32 vcc, s3, v0
	v_lshlrev_b64 v[6:7], 2, v[6:7]
	s_or_b64 s[0:1], vcc, s[0:1]
	v_add_co_u32_e32 v8, vcc, s10, v6
	v_addc_co_u32_e32 v9, vcc, v4, v7, vcc
	v_add_co_u32_e32 v6, vcc, s12, v6
	v_addc_co_u32_e32 v7, vcc, v5, v7, vcc
	global_store_dword v[8:9], v1, off
	global_store_dword v[6:7], v2, off
	s_andn2_b64 exec, exec, s[0:1]
	s_cbranch_execnz .LBB268_13
.LBB268_14:
	s_endpgm
	.section	.rodata,"a",@progbits
	.p2align	6, 0x0
	.amdhsa_kernel _ZN5aiter19grouped_topk_kernelIfDv1_fLi1ELb1ELb1ELb0EEEvPT_PKS2_PfPimiiiif
		.amdhsa_group_segment_fixed_size 0
		.amdhsa_private_segment_fixed_size 0
		.amdhsa_kernarg_size 320
		.amdhsa_user_sgpr_count 6
		.amdhsa_user_sgpr_private_segment_buffer 1
		.amdhsa_user_sgpr_dispatch_ptr 0
		.amdhsa_user_sgpr_queue_ptr 0
		.amdhsa_user_sgpr_kernarg_segment_ptr 1
		.amdhsa_user_sgpr_dispatch_id 0
		.amdhsa_user_sgpr_flat_scratch_init 0
		.amdhsa_user_sgpr_kernarg_preload_length 0
		.amdhsa_user_sgpr_kernarg_preload_offset 0
		.amdhsa_user_sgpr_private_segment_size 0
		.amdhsa_uses_dynamic_stack 0
		.amdhsa_system_sgpr_private_segment_wavefront_offset 0
		.amdhsa_system_sgpr_workgroup_id_x 1
		.amdhsa_system_sgpr_workgroup_id_y 0
		.amdhsa_system_sgpr_workgroup_id_z 0
		.amdhsa_system_sgpr_workgroup_info 0
		.amdhsa_system_vgpr_workitem_id 0
		.amdhsa_next_free_vgpr 14
		.amdhsa_next_free_sgpr 26
		.amdhsa_accum_offset 16
		.amdhsa_reserve_vcc 1
		.amdhsa_reserve_flat_scratch 0
		.amdhsa_float_round_mode_32 0
		.amdhsa_float_round_mode_16_64 0
		.amdhsa_float_denorm_mode_32 3
		.amdhsa_float_denorm_mode_16_64 3
		.amdhsa_dx10_clamp 1
		.amdhsa_ieee_mode 1
		.amdhsa_fp16_overflow 0
		.amdhsa_tg_split 0
		.amdhsa_exception_fp_ieee_invalid_op 0
		.amdhsa_exception_fp_denorm_src 0
		.amdhsa_exception_fp_ieee_div_zero 0
		.amdhsa_exception_fp_ieee_overflow 0
		.amdhsa_exception_fp_ieee_underflow 0
		.amdhsa_exception_fp_ieee_inexact 0
		.amdhsa_exception_int_div_zero 0
	.end_amdhsa_kernel
	.section	.text._ZN5aiter19grouped_topk_kernelIfDv1_fLi1ELb1ELb1ELb0EEEvPT_PKS2_PfPimiiiif,"axG",@progbits,_ZN5aiter19grouped_topk_kernelIfDv1_fLi1ELb1ELb1ELb0EEEvPT_PKS2_PfPimiiiif,comdat
.Lfunc_end268:
	.size	_ZN5aiter19grouped_topk_kernelIfDv1_fLi1ELb1ELb1ELb0EEEvPT_PKS2_PfPimiiiif, .Lfunc_end268-_ZN5aiter19grouped_topk_kernelIfDv1_fLi1ELb1ELb1ELb0EEEvPT_PKS2_PfPimiiiif
                                        ; -- End function
	.section	.AMDGPU.csdata,"",@progbits
; Kernel info:
; codeLenInByte = 1092
; NumSgprs: 30
; NumVgprs: 14
; NumAgprs: 0
; TotalNumVgprs: 14
; ScratchSize: 0
; MemoryBound: 0
; FloatMode: 240
; IeeeMode: 1
; LDSByteSize: 0 bytes/workgroup (compile time only)
; SGPRBlocks: 3
; VGPRBlocks: 1
; NumSGPRsForWavesPerEU: 30
; NumVGPRsForWavesPerEU: 14
; AccumOffset: 16
; Occupancy: 8
; WaveLimiterHint : 0
; COMPUTE_PGM_RSRC2:SCRATCH_EN: 0
; COMPUTE_PGM_RSRC2:USER_SGPR: 6
; COMPUTE_PGM_RSRC2:TRAP_HANDLER: 0
; COMPUTE_PGM_RSRC2:TGID_X_EN: 1
; COMPUTE_PGM_RSRC2:TGID_Y_EN: 0
; COMPUTE_PGM_RSRC2:TGID_Z_EN: 0
; COMPUTE_PGM_RSRC2:TIDIG_COMP_CNT: 0
; COMPUTE_PGM_RSRC3_GFX90A:ACCUM_OFFSET: 3
; COMPUTE_PGM_RSRC3_GFX90A:TG_SPLIT: 0
	.section	.text._ZN5aiter19grouped_topk_kernelIN3c104HalfEDv1_fLi1ELb1ELb1ELb0EEEvPT_PKS4_PfPimiiiif,"axG",@progbits,_ZN5aiter19grouped_topk_kernelIN3c104HalfEDv1_fLi1ELb1ELb1ELb0EEEvPT_PKS4_PfPimiiiif,comdat
	.protected	_ZN5aiter19grouped_topk_kernelIN3c104HalfEDv1_fLi1ELb1ELb1ELb0EEEvPT_PKS4_PfPimiiiif ; -- Begin function _ZN5aiter19grouped_topk_kernelIN3c104HalfEDv1_fLi1ELb1ELb1ELb0EEEvPT_PKS4_PfPimiiiif
	.globl	_ZN5aiter19grouped_topk_kernelIN3c104HalfEDv1_fLi1ELb1ELb1ELb0EEEvPT_PKS4_PfPimiiiif
	.p2align	8
	.type	_ZN5aiter19grouped_topk_kernelIN3c104HalfEDv1_fLi1ELb1ELb1ELb0EEEvPT_PKS4_PfPimiiiif,@function
_ZN5aiter19grouped_topk_kernelIN3c104HalfEDv1_fLi1ELb1ELb1ELb0EEEvPT_PKS4_PfPimiiiif: ; @_ZN5aiter19grouped_topk_kernelIN3c104HalfEDv1_fLi1ELb1ELb1ELb0EEEvPT_PKS4_PfPimiiiif
; %bb.0:
	s_load_dwordx2 s[2:3], s[4:5], 0x28
	s_load_dwordx4 s[8:11], s[4:5], 0x8
	s_load_dwordx2 s[12:13], s[4:5], 0x18
	v_lshl_add_u32 v1, v0, 2, 0
	s_waitcnt lgkmcnt(0)
	v_cmp_gt_i32_e64 s[0:1], s2, v0
	s_and_saveexec_b64 s[14:15], s[0:1]
	s_cbranch_execz .LBB269_3
; %bb.1:
	s_load_dwordx2 s[16:17], s[4:5], 0x0
	s_load_dword s20, s[4:5], 0x4c
	s_mul_i32 s18, s6, s2
	s_ashr_i32 s19, s18, 31
	s_lshl_b64 s[18:19], s[18:19], 1
	s_waitcnt lgkmcnt(0)
	s_add_u32 s7, s16, s18
	s_addc_u32 s21, s17, s19
	s_and_b32 s18, s20, 0xffff
	v_lshl_add_u32 v4, v0, 2, 0
	s_lshl_b32 s19, s18, 2
	s_mov_b64 s[16:17], 0
	v_mov_b32_e32 v5, s21
	v_mov_b32_e32 v6, s9
	s_mov_b32 s20, 0x3fb8aa3b
	s_mov_b32 s21, 0x32a5705f
	;; [unrolled: 1-line block ×4, first 2 shown]
	v_mov_b32_e32 v7, 0x7f800000
	v_mov_b32_e32 v2, v0
.LBB269_2:                              ; =>This Inner Loop Header: Depth=1
	v_ashrrev_i32_e32 v3, 31, v2
	v_lshlrev_b64 v[8:9], 1, v[2:3]
	v_add_co_u32_e32 v10, vcc, s7, v8
	v_addc_co_u32_e32 v11, vcc, v5, v9, vcc
	v_add_co_u32_e32 v8, vcc, s8, v8
	v_addc_co_u32_e32 v9, vcc, v6, v9, vcc
	global_load_ushort v3, v[10:11], off
	global_load_ushort v12, v[8:9], off
	v_add_u32_e32 v2, s18, v2
	v_cmp_le_i32_e32 vcc, s2, v2
	s_or_b64 s[16:17], vcc, s[16:17]
	s_waitcnt vmcnt(1)
	v_cvt_f32_f16_e64 v8, -v3
	s_waitcnt vmcnt(0)
	v_cvt_f32_f16_e32 v9, v12
	v_mul_f32_e32 v10, 0x3fb8aa3b, v8
	v_fma_mix_f32 v11, -v3, s20, -v10 op_sel_hi:[1,0,0]
	v_rndne_f32_e32 v12, v10
	v_fma_mix_f32 v3, -v3, s21, v11 op_sel_hi:[1,0,0]
	v_sub_f32_e32 v10, v10, v12
	v_add_f32_e32 v3, v10, v3
	v_cvt_i32_f32_e32 v11, v12
	v_exp_f32_e32 v3, v3
	v_cmp_ngt_f32_e32 vcc, s22, v8
	v_ldexp_f32 v3, v3, v11
	v_cndmask_b32_e32 v3, 0, v3, vcc
	v_cmp_nlt_f32_e32 vcc, s23, v8
	v_cndmask_b32_e32 v3, v7, v3, vcc
	v_add_f32_e32 v3, 1.0, v3
	v_div_scale_f32 v8, s[24:25], v3, v3, 1.0
	v_rcp_f32_e32 v10, v8
	v_div_scale_f32 v11, vcc, 1.0, v3, 1.0
	v_fma_f32 v12, -v8, v10, 1.0
	v_fmac_f32_e32 v10, v12, v10
	v_mul_f32_e32 v12, v11, v10
	v_fma_f32 v13, -v8, v12, v11
	v_fmac_f32_e32 v12, v13, v10
	v_fma_f32 v8, -v8, v12, v11
	v_div_fmas_f32 v8, v8, v10, v12
	v_div_fixup_f32 v3, v8, v3, 1.0
	v_add_f32_e32 v3, v3, v9
	ds_write_b32 v4, v3
	v_add_u32_e32 v4, s19, v4
	s_andn2_b64 exec, exec, s[16:17]
	s_cbranch_execnz .LBB269_2
.LBB269_3:
	s_or_b64 exec, exec, s[14:15]
	s_cmp_lt_i32 s3, 1
	s_waitcnt lgkmcnt(0)
	s_barrier
	s_cbranch_scc1 .LBB269_10
; %bb.4:
	s_add_u32 s14, s4, 64
	s_addc_u32 s15, s5, 0
	s_mov_b32 s7, 0
	v_mov_b32_e32 v5, 0
	v_mov_b32_e32 v6, 0xff800000
	;; [unrolled: 1-line block ×3, first 2 shown]
                                        ; implicit-def: $vgpr3
                                        ; implicit-def: $vgpr2
	s_branch .LBB269_6
.LBB269_5:                              ;   in Loop: Header=BB269_6 Depth=1
	s_or_b64 exec, exec, s[16:17]
	v_mov_b32_dpp v10, v8 quad_perm:[1,0,3,2] row_mask:0xf bank_mask:0xf
	v_cmp_lt_f32_e32 vcc, v8, v10
	v_cndmask_b32_e32 v8, v8, v10, vcc
	v_mov_b32_dpp v9, v7 quad_perm:[1,0,3,2] row_mask:0xf bank_mask:0xf
	v_cndmask_b32_e32 v7, v7, v9, vcc
	v_mov_b32_dpp v10, v8 quad_perm:[2,3,0,1] row_mask:0xf bank_mask:0xf
	v_cmp_gt_f32_e32 vcc, v10, v8
	v_cndmask_b32_e32 v8, v8, v10, vcc
	v_mov_b32_dpp v9, v7 quad_perm:[2,3,0,1] row_mask:0xf bank_mask:0xf
	v_cndmask_b32_e32 v7, v7, v9, vcc
	v_mov_b32_dpp v10, v8 row_half_mirror row_mask:0xf bank_mask:0xf
	v_cmp_gt_f32_e32 vcc, v10, v8
	v_cndmask_b32_e32 v8, v8, v10, vcc
	v_mov_b32_dpp v9, v7 row_half_mirror row_mask:0xf bank_mask:0xf
	v_cndmask_b32_e32 v7, v7, v9, vcc
	v_mov_b32_dpp v10, v8 row_mirror row_mask:0xf bank_mask:0xf
	v_cmp_gt_f32_e32 vcc, v10, v8
	v_cndmask_b32_e32 v8, v8, v10, vcc
	v_mov_b32_dpp v9, v7 row_mirror row_mask:0xf bank_mask:0xf
	v_cndmask_b32_e32 v7, v7, v9, vcc
	v_mov_b32_dpp v10, v8 row_bcast:15 row_mask:0xf bank_mask:0xf
	v_cmp_gt_f32_e32 vcc, v10, v8
	v_mov_b32_dpp v9, v7 row_bcast:15 row_mask:0xf bank_mask:0xf
	v_cndmask_b32_e32 v8, v8, v10, vcc
	v_cndmask_b32_e32 v7, v7, v9, vcc
	s_nop 0
	v_mov_b32_dpp v10, v8 row_bcast:31 row_mask:0xf bank_mask:0xf
	v_mov_b32_dpp v9, v7 row_bcast:31 row_mask:0xf bank_mask:0xf
	v_cmp_gt_f32_e32 vcc, v10, v8
	v_cndmask_b32_e32 v7, v7, v9, vcc
	v_readlane_b32 s16, v7, 63
	s_ashr_i32 s17, s16, 31
	s_lshl_b64 s[18:19], s[16:17], 1
	s_add_u32 s18, s8, s18
	s_addc_u32 s19, s9, s19
	global_load_ushort v7, v5, s[18:19]
	v_cndmask_b32_e32 v8, v8, v10, vcc
	v_readlane_b32 s17, v8, 63
	v_mov_b32_e32 v8, s16
	s_lshl_b32 s16, s16, 2
	v_cmp_eq_u32_e32 vcc, s7, v0
	s_add_i32 s7, s7, 1
	s_add_i32 s16, s16, 0
	v_cndmask_b32_e32 v2, v2, v8, vcc
	v_mov_b32_e32 v8, s16
	s_cmp_eq_u32 s7, s3
	ds_write_b32 v8, v6
	s_waitcnt vmcnt(0)
	v_cvt_f32_f16_e32 v7, v7
	v_sub_f32_e32 v7, s17, v7
	v_cndmask_b32_e32 v3, v3, v7, vcc
	v_add_f32_e32 v4, v4, v7
	s_cbranch_scc1 .LBB269_11
.LBB269_6:                              ; =>This Loop Header: Depth=1
                                        ;     Child Loop BB269_8 Depth 2
	v_mov_b32_e32 v7, s7
	v_mov_b32_e32 v8, 0xff800000
	s_and_saveexec_b64 s[16:17], s[0:1]
	s_cbranch_execz .LBB269_5
; %bb.7:                                ;   in Loop: Header=BB269_6 Depth=1
	s_load_dword s20, s[14:15], 0xc
	s_mov_b64 s[18:19], 0
	v_mov_b32_e32 v7, s7
	v_mov_b32_e32 v8, 0xff800000
	;; [unrolled: 1-line block ×3, first 2 shown]
	s_waitcnt lgkmcnt(0)
	s_and_b32 s20, s20, 0xffff
	s_lshl_b32 s21, s20, 2
	v_mov_b32_e32 v10, v0
.LBB269_8:                              ;   Parent Loop BB269_6 Depth=1
                                        ; =>  This Inner Loop Header: Depth=2
	ds_read_b32 v11, v9
	v_add_u32_e32 v9, s21, v9
	s_waitcnt lgkmcnt(0)
	v_cmp_gt_f32_e32 vcc, v11, v8
	v_cndmask_b32_e32 v7, v7, v10, vcc
	v_add_u32_e32 v10, s20, v10
	v_cndmask_b32_e32 v8, v8, v11, vcc
	v_cmp_le_i32_e32 vcc, s2, v10
	s_or_b64 s[18:19], vcc, s[18:19]
	s_andn2_b64 exec, exec, s[18:19]
	s_cbranch_execnz .LBB269_8
; %bb.9:                                ;   in Loop: Header=BB269_6 Depth=1
	s_or_b64 exec, exec, s[18:19]
	s_branch .LBB269_5
.LBB269_10:
	v_mov_b32_e32 v4, 0
                                        ; implicit-def: $vgpr3
                                        ; implicit-def: $vgpr2
.LBB269_11:
	v_cmp_gt_i32_e32 vcc, s3, v0
	s_and_saveexec_b64 s[0:1], vcc
	s_cbranch_execz .LBB269_14
; %bb.12:
	s_load_dword s2, s[4:5], 0x38
	s_load_dwordx2 s[0:1], s[4:5], 0x20
	s_load_dword s7, s[4:5], 0x4c
	s_waitcnt lgkmcnt(0)
	v_div_scale_f32 v1, s[4:5], v4, v4, s2
	v_rcp_f32_e32 v5, v1
	v_div_scale_f32 v6, vcc, s2, v4, s2
	s_ashr_i32 s4, s6, 31
	v_fma_f32 v7, -v1, v5, 1.0
	v_fmac_f32_e32 v5, v7, v5
	v_mul_f32_e32 v7, v6, v5
	v_fma_f32 v8, -v1, v7, v6
	v_fmac_f32_e32 v7, v8, v5
	v_fma_f32 v1, -v1, v7, v6
	v_div_fmas_f32 v1, v1, v5, v7
	v_div_fixup_f32 v1, v1, v4, s2
	s_mul_i32 s1, s6, s1
	s_mul_hi_u32 s2, s6, s0
	s_add_i32 s1, s2, s1
	s_mul_i32 s4, s4, s0
	s_add_i32 s5, s1, s4
	v_mul_f32_e32 v1, v1, v3
	s_mul_i32 s2, s6, s0
	s_and_b32 s4, s7, 0xffff
	s_mov_b64 s[0:1], 0
	v_mov_b32_e32 v3, s5
	v_mov_b32_e32 v4, s11
	;; [unrolled: 1-line block ×3, first 2 shown]
.LBB269_13:                             ; =>This Inner Loop Header: Depth=1
	v_ashrrev_i32_e32 v7, 31, v0
	v_add_co_u32_e32 v6, vcc, s2, v0
	v_addc_co_u32_e32 v7, vcc, v3, v7, vcc
	v_add_u32_e32 v0, s4, v0
	v_cmp_le_i32_e32 vcc, s3, v0
	v_lshlrev_b64 v[6:7], 2, v[6:7]
	s_or_b64 s[0:1], vcc, s[0:1]
	v_add_co_u32_e32 v8, vcc, s10, v6
	v_addc_co_u32_e32 v9, vcc, v4, v7, vcc
	v_add_co_u32_e32 v6, vcc, s12, v6
	v_addc_co_u32_e32 v7, vcc, v5, v7, vcc
	global_store_dword v[8:9], v1, off
	global_store_dword v[6:7], v2, off
	s_andn2_b64 exec, exec, s[0:1]
	s_cbranch_execnz .LBB269_13
.LBB269_14:
	s_endpgm
	.section	.rodata,"a",@progbits
	.p2align	6, 0x0
	.amdhsa_kernel _ZN5aiter19grouped_topk_kernelIN3c104HalfEDv1_fLi1ELb1ELb1ELb0EEEvPT_PKS4_PfPimiiiif
		.amdhsa_group_segment_fixed_size 0
		.amdhsa_private_segment_fixed_size 0
		.amdhsa_kernarg_size 320
		.amdhsa_user_sgpr_count 6
		.amdhsa_user_sgpr_private_segment_buffer 1
		.amdhsa_user_sgpr_dispatch_ptr 0
		.amdhsa_user_sgpr_queue_ptr 0
		.amdhsa_user_sgpr_kernarg_segment_ptr 1
		.amdhsa_user_sgpr_dispatch_id 0
		.amdhsa_user_sgpr_flat_scratch_init 0
		.amdhsa_user_sgpr_kernarg_preload_length 0
		.amdhsa_user_sgpr_kernarg_preload_offset 0
		.amdhsa_user_sgpr_private_segment_size 0
		.amdhsa_uses_dynamic_stack 0
		.amdhsa_system_sgpr_private_segment_wavefront_offset 0
		.amdhsa_system_sgpr_workgroup_id_x 1
		.amdhsa_system_sgpr_workgroup_id_y 0
		.amdhsa_system_sgpr_workgroup_id_z 0
		.amdhsa_system_sgpr_workgroup_info 0
		.amdhsa_system_vgpr_workitem_id 0
		.amdhsa_next_free_vgpr 14
		.amdhsa_next_free_sgpr 26
		.amdhsa_accum_offset 16
		.amdhsa_reserve_vcc 1
		.amdhsa_reserve_flat_scratch 0
		.amdhsa_float_round_mode_32 0
		.amdhsa_float_round_mode_16_64 0
		.amdhsa_float_denorm_mode_32 3
		.amdhsa_float_denorm_mode_16_64 3
		.amdhsa_dx10_clamp 1
		.amdhsa_ieee_mode 1
		.amdhsa_fp16_overflow 0
		.amdhsa_tg_split 0
		.amdhsa_exception_fp_ieee_invalid_op 0
		.amdhsa_exception_fp_denorm_src 0
		.amdhsa_exception_fp_ieee_div_zero 0
		.amdhsa_exception_fp_ieee_overflow 0
		.amdhsa_exception_fp_ieee_underflow 0
		.amdhsa_exception_fp_ieee_inexact 0
		.amdhsa_exception_int_div_zero 0
	.end_amdhsa_kernel
	.section	.text._ZN5aiter19grouped_topk_kernelIN3c104HalfEDv1_fLi1ELb1ELb1ELb0EEEvPT_PKS4_PfPimiiiif,"axG",@progbits,_ZN5aiter19grouped_topk_kernelIN3c104HalfEDv1_fLi1ELb1ELb1ELb0EEEvPT_PKS4_PfPimiiiif,comdat
.Lfunc_end269:
	.size	_ZN5aiter19grouped_topk_kernelIN3c104HalfEDv1_fLi1ELb1ELb1ELb0EEEvPT_PKS4_PfPimiiiif, .Lfunc_end269-_ZN5aiter19grouped_topk_kernelIN3c104HalfEDv1_fLi1ELb1ELb1ELb0EEEvPT_PKS4_PfPimiiiif
                                        ; -- End function
	.section	.AMDGPU.csdata,"",@progbits
; Kernel info:
; codeLenInByte = 1116
; NumSgprs: 30
; NumVgprs: 14
; NumAgprs: 0
; TotalNumVgprs: 14
; ScratchSize: 0
; MemoryBound: 0
; FloatMode: 240
; IeeeMode: 1
; LDSByteSize: 0 bytes/workgroup (compile time only)
; SGPRBlocks: 3
; VGPRBlocks: 1
; NumSGPRsForWavesPerEU: 30
; NumVGPRsForWavesPerEU: 14
; AccumOffset: 16
; Occupancy: 8
; WaveLimiterHint : 0
; COMPUTE_PGM_RSRC2:SCRATCH_EN: 0
; COMPUTE_PGM_RSRC2:USER_SGPR: 6
; COMPUTE_PGM_RSRC2:TRAP_HANDLER: 0
; COMPUTE_PGM_RSRC2:TGID_X_EN: 1
; COMPUTE_PGM_RSRC2:TGID_Y_EN: 0
; COMPUTE_PGM_RSRC2:TGID_Z_EN: 0
; COMPUTE_PGM_RSRC2:TIDIG_COMP_CNT: 0
; COMPUTE_PGM_RSRC3_GFX90A:ACCUM_OFFSET: 3
; COMPUTE_PGM_RSRC3_GFX90A:TG_SPLIT: 0
	.section	.text._ZN5aiter19grouped_topk_kernelIN3c108BFloat16EDv1_fLi1ELb1ELb1ELb0EEEvPT_PKS4_PfPimiiiif,"axG",@progbits,_ZN5aiter19grouped_topk_kernelIN3c108BFloat16EDv1_fLi1ELb1ELb1ELb0EEEvPT_PKS4_PfPimiiiif,comdat
	.protected	_ZN5aiter19grouped_topk_kernelIN3c108BFloat16EDv1_fLi1ELb1ELb1ELb0EEEvPT_PKS4_PfPimiiiif ; -- Begin function _ZN5aiter19grouped_topk_kernelIN3c108BFloat16EDv1_fLi1ELb1ELb1ELb0EEEvPT_PKS4_PfPimiiiif
	.globl	_ZN5aiter19grouped_topk_kernelIN3c108BFloat16EDv1_fLi1ELb1ELb1ELb0EEEvPT_PKS4_PfPimiiiif
	.p2align	8
	.type	_ZN5aiter19grouped_topk_kernelIN3c108BFloat16EDv1_fLi1ELb1ELb1ELb0EEEvPT_PKS4_PfPimiiiif,@function
_ZN5aiter19grouped_topk_kernelIN3c108BFloat16EDv1_fLi1ELb1ELb1ELb0EEEvPT_PKS4_PfPimiiiif: ; @_ZN5aiter19grouped_topk_kernelIN3c108BFloat16EDv1_fLi1ELb1ELb1ELb0EEEvPT_PKS4_PfPimiiiif
; %bb.0:
	s_load_dwordx2 s[2:3], s[4:5], 0x28
	s_load_dwordx4 s[8:11], s[4:5], 0x8
	s_load_dwordx2 s[12:13], s[4:5], 0x18
	v_lshl_add_u32 v1, v0, 2, 0
	s_waitcnt lgkmcnt(0)
	v_cmp_gt_i32_e64 s[0:1], s2, v0
	s_and_saveexec_b64 s[14:15], s[0:1]
	s_cbranch_execz .LBB270_3
; %bb.1:
	s_load_dwordx2 s[16:17], s[4:5], 0x0
	s_load_dword s20, s[4:5], 0x4c
	s_mul_i32 s18, s6, s2
	s_ashr_i32 s19, s18, 31
	s_lshl_b64 s[18:19], s[18:19], 1
	s_waitcnt lgkmcnt(0)
	s_add_u32 s7, s16, s18
	s_addc_u32 s21, s17, s19
	s_and_b32 s18, s20, 0xffff
	v_lshl_add_u32 v4, v0, 2, 0
	s_lshl_b32 s19, s18, 2
	s_mov_b64 s[16:17], 0
	v_mov_b32_e32 v5, s21
	v_mov_b32_e32 v6, s9
	s_mov_b32 s20, 0xbfb8aa3b
	s_mov_b32 s21, 0x42ce8ed0
	;; [unrolled: 1-line block ×3, first 2 shown]
	v_mov_b32_e32 v7, 0x7f800000
	v_mov_b32_e32 v2, v0
.LBB270_2:                              ; =>This Inner Loop Header: Depth=1
	v_ashrrev_i32_e32 v3, 31, v2
	v_lshlrev_b64 v[8:9], 1, v[2:3]
	v_add_co_u32_e32 v10, vcc, s7, v8
	v_addc_co_u32_e32 v11, vcc, v5, v9, vcc
	v_add_co_u32_e32 v8, vcc, s8, v8
	v_addc_co_u32_e32 v9, vcc, v6, v9, vcc
	global_load_ushort v3, v[10:11], off
	global_load_ushort v12, v[8:9], off
	v_add_u32_e32 v2, s18, v2
	v_cmp_le_i32_e32 vcc, s2, v2
	s_or_b64 s[16:17], vcc, s[16:17]
	s_waitcnt vmcnt(1)
	v_cvt_f32_u32_e32 v3, v3
	s_waitcnt vmcnt(0)
	v_cvt_f32_u32_e32 v8, v12
	v_mul_f32_e32 v9, 0xbfb8aa3b, v3
	v_fma_f32 v10, v3, s20, -v9
	v_rndne_f32_e32 v11, v9
	v_fmac_f32_e32 v10, 0xb2a5705f, v3
	v_sub_f32_e32 v9, v9, v11
	v_add_f32_e32 v9, v9, v10
	v_cvt_i32_f32_e32 v11, v11
	v_exp_f32_e32 v9, v9
	v_cmp_nlt_f32_e32 vcc, s21, v3
	v_ldexp_f32 v9, v9, v11
	v_cndmask_b32_e32 v9, 0, v9, vcc
	v_cmp_ngt_f32_e32 vcc, s22, v3
	v_cndmask_b32_e32 v3, v7, v9, vcc
	v_add_f32_e32 v3, 1.0, v3
	v_div_scale_f32 v9, s[24:25], v3, v3, 1.0
	v_rcp_f32_e32 v10, v9
	v_div_scale_f32 v11, vcc, 1.0, v3, 1.0
	v_fma_f32 v12, -v9, v10, 1.0
	v_fmac_f32_e32 v10, v12, v10
	v_mul_f32_e32 v12, v11, v10
	v_fma_f32 v13, -v9, v12, v11
	v_fmac_f32_e32 v12, v13, v10
	v_fma_f32 v9, -v9, v12, v11
	v_div_fmas_f32 v9, v9, v10, v12
	v_div_fixup_f32 v3, v9, v3, 1.0
	v_add_f32_e32 v3, v3, v8
	ds_write_b32 v4, v3
	v_add_u32_e32 v4, s19, v4
	s_andn2_b64 exec, exec, s[16:17]
	s_cbranch_execnz .LBB270_2
.LBB270_3:
	s_or_b64 exec, exec, s[14:15]
	s_cmp_lt_i32 s3, 1
	s_waitcnt lgkmcnt(0)
	s_barrier
	s_cbranch_scc1 .LBB270_10
; %bb.4:
	s_add_u32 s14, s4, 64
	s_addc_u32 s15, s5, 0
	s_mov_b32 s7, 0
	v_mov_b32_e32 v5, 0
	v_mov_b32_e32 v6, 0xff800000
	;; [unrolled: 1-line block ×3, first 2 shown]
                                        ; implicit-def: $vgpr3
                                        ; implicit-def: $vgpr2
	s_branch .LBB270_6
.LBB270_5:                              ;   in Loop: Header=BB270_6 Depth=1
	s_or_b64 exec, exec, s[16:17]
	v_mov_b32_dpp v10, v8 quad_perm:[1,0,3,2] row_mask:0xf bank_mask:0xf
	v_cmp_lt_f32_e32 vcc, v8, v10
	v_cndmask_b32_e32 v8, v8, v10, vcc
	v_mov_b32_dpp v9, v7 quad_perm:[1,0,3,2] row_mask:0xf bank_mask:0xf
	v_cndmask_b32_e32 v7, v7, v9, vcc
	v_mov_b32_dpp v10, v8 quad_perm:[2,3,0,1] row_mask:0xf bank_mask:0xf
	v_cmp_gt_f32_e32 vcc, v10, v8
	v_cndmask_b32_e32 v8, v8, v10, vcc
	v_mov_b32_dpp v9, v7 quad_perm:[2,3,0,1] row_mask:0xf bank_mask:0xf
	v_cndmask_b32_e32 v7, v7, v9, vcc
	v_mov_b32_dpp v10, v8 row_half_mirror row_mask:0xf bank_mask:0xf
	v_cmp_gt_f32_e32 vcc, v10, v8
	v_cndmask_b32_e32 v8, v8, v10, vcc
	v_mov_b32_dpp v9, v7 row_half_mirror row_mask:0xf bank_mask:0xf
	v_cndmask_b32_e32 v7, v7, v9, vcc
	v_mov_b32_dpp v10, v8 row_mirror row_mask:0xf bank_mask:0xf
	v_cmp_gt_f32_e32 vcc, v10, v8
	v_cndmask_b32_e32 v8, v8, v10, vcc
	v_mov_b32_dpp v9, v7 row_mirror row_mask:0xf bank_mask:0xf
	v_cndmask_b32_e32 v7, v7, v9, vcc
	v_mov_b32_dpp v10, v8 row_bcast:15 row_mask:0xf bank_mask:0xf
	v_cmp_gt_f32_e32 vcc, v10, v8
	v_mov_b32_dpp v9, v7 row_bcast:15 row_mask:0xf bank_mask:0xf
	v_cndmask_b32_e32 v8, v8, v10, vcc
	v_cndmask_b32_e32 v7, v7, v9, vcc
	s_nop 0
	v_mov_b32_dpp v10, v8 row_bcast:31 row_mask:0xf bank_mask:0xf
	v_mov_b32_dpp v9, v7 row_bcast:31 row_mask:0xf bank_mask:0xf
	v_cmp_gt_f32_e32 vcc, v10, v8
	v_cndmask_b32_e32 v7, v7, v9, vcc
	v_readlane_b32 s16, v7, 63
	s_ashr_i32 s17, s16, 31
	s_lshl_b64 s[18:19], s[16:17], 1
	s_add_u32 s18, s8, s18
	s_addc_u32 s19, s9, s19
	global_load_ushort v7, v5, s[18:19]
	v_cndmask_b32_e32 v8, v8, v10, vcc
	v_readlane_b32 s17, v8, 63
	v_mov_b32_e32 v8, s16
	s_lshl_b32 s16, s16, 2
	v_cmp_eq_u32_e32 vcc, s7, v0
	s_add_i32 s16, s16, 0
	v_cndmask_b32_e32 v2, v2, v8, vcc
	v_mov_b32_e32 v8, s16
	ds_write_b32 v8, v6
	s_add_i32 s7, s7, 1
	s_cmp_eq_u32 s7, s3
	s_waitcnt vmcnt(0)
	v_and_b32_e32 v8, 0xff, v7
	v_lshlrev_b32_e32 v7, 16, v7
	v_lshlrev_b32_e32 v8, 16, v8
	v_and_b32_e32 v7, 0xff000000, v7
	v_or_b32_e32 v7, v8, v7
	v_sub_f32_e32 v7, s17, v7
	v_cndmask_b32_e32 v3, v3, v7, vcc
	v_add_f32_e32 v4, v4, v7
	s_cbranch_scc1 .LBB270_11
.LBB270_6:                              ; =>This Loop Header: Depth=1
                                        ;     Child Loop BB270_8 Depth 2
	v_mov_b32_e32 v7, s7
	v_mov_b32_e32 v8, 0xff800000
	s_and_saveexec_b64 s[16:17], s[0:1]
	s_cbranch_execz .LBB270_5
; %bb.7:                                ;   in Loop: Header=BB270_6 Depth=1
	s_load_dword s20, s[14:15], 0xc
	s_mov_b64 s[18:19], 0
	v_mov_b32_e32 v7, s7
	v_mov_b32_e32 v8, 0xff800000
	;; [unrolled: 1-line block ×3, first 2 shown]
	s_waitcnt lgkmcnt(0)
	s_and_b32 s20, s20, 0xffff
	s_lshl_b32 s21, s20, 2
	v_mov_b32_e32 v10, v0
.LBB270_8:                              ;   Parent Loop BB270_6 Depth=1
                                        ; =>  This Inner Loop Header: Depth=2
	ds_read_b32 v11, v9
	v_add_u32_e32 v9, s21, v9
	s_waitcnt lgkmcnt(0)
	v_cmp_gt_f32_e32 vcc, v11, v8
	v_cndmask_b32_e32 v7, v7, v10, vcc
	v_add_u32_e32 v10, s20, v10
	v_cndmask_b32_e32 v8, v8, v11, vcc
	v_cmp_le_i32_e32 vcc, s2, v10
	s_or_b64 s[18:19], vcc, s[18:19]
	s_andn2_b64 exec, exec, s[18:19]
	s_cbranch_execnz .LBB270_8
; %bb.9:                                ;   in Loop: Header=BB270_6 Depth=1
	s_or_b64 exec, exec, s[18:19]
	s_branch .LBB270_5
.LBB270_10:
	v_mov_b32_e32 v4, 0
                                        ; implicit-def: $vgpr3
                                        ; implicit-def: $vgpr2
.LBB270_11:
	v_cmp_gt_i32_e32 vcc, s3, v0
	s_and_saveexec_b64 s[0:1], vcc
	s_cbranch_execz .LBB270_14
; %bb.12:
	s_load_dword s2, s[4:5], 0x38
	s_load_dwordx2 s[0:1], s[4:5], 0x20
	s_load_dword s7, s[4:5], 0x4c
	s_waitcnt lgkmcnt(0)
	v_div_scale_f32 v1, s[4:5], v4, v4, s2
	v_rcp_f32_e32 v5, v1
	v_div_scale_f32 v6, vcc, s2, v4, s2
	s_ashr_i32 s4, s6, 31
	v_fma_f32 v7, -v1, v5, 1.0
	v_fmac_f32_e32 v5, v7, v5
	v_mul_f32_e32 v7, v6, v5
	v_fma_f32 v8, -v1, v7, v6
	v_fmac_f32_e32 v7, v8, v5
	v_fma_f32 v1, -v1, v7, v6
	v_div_fmas_f32 v1, v1, v5, v7
	v_div_fixup_f32 v1, v1, v4, s2
	s_mul_i32 s1, s6, s1
	s_mul_hi_u32 s2, s6, s0
	s_add_i32 s1, s2, s1
	s_mul_i32 s4, s4, s0
	s_add_i32 s5, s1, s4
	v_mul_f32_e32 v1, v1, v3
	s_mul_i32 s2, s6, s0
	s_and_b32 s4, s7, 0xffff
	s_mov_b64 s[0:1], 0
	v_mov_b32_e32 v3, s5
	v_mov_b32_e32 v4, s11
	;; [unrolled: 1-line block ×3, first 2 shown]
.LBB270_13:                             ; =>This Inner Loop Header: Depth=1
	v_ashrrev_i32_e32 v7, 31, v0
	v_add_co_u32_e32 v6, vcc, s2, v0
	v_addc_co_u32_e32 v7, vcc, v3, v7, vcc
	v_add_u32_e32 v0, s4, v0
	v_cmp_le_i32_e32 vcc, s3, v0
	v_lshlrev_b64 v[6:7], 2, v[6:7]
	s_or_b64 s[0:1], vcc, s[0:1]
	v_add_co_u32_e32 v8, vcc, s10, v6
	v_addc_co_u32_e32 v9, vcc, v4, v7, vcc
	v_add_co_u32_e32 v6, vcc, s12, v6
	v_addc_co_u32_e32 v7, vcc, v5, v7, vcc
	global_store_dword v[8:9], v1, off
	global_store_dword v[6:7], v2, off
	s_andn2_b64 exec, exec, s[0:1]
	s_cbranch_execnz .LBB270_13
.LBB270_14:
	s_endpgm
	.section	.rodata,"a",@progbits
	.p2align	6, 0x0
	.amdhsa_kernel _ZN5aiter19grouped_topk_kernelIN3c108BFloat16EDv1_fLi1ELb1ELb1ELb0EEEvPT_PKS4_PfPimiiiif
		.amdhsa_group_segment_fixed_size 0
		.amdhsa_private_segment_fixed_size 0
		.amdhsa_kernarg_size 320
		.amdhsa_user_sgpr_count 6
		.amdhsa_user_sgpr_private_segment_buffer 1
		.amdhsa_user_sgpr_dispatch_ptr 0
		.amdhsa_user_sgpr_queue_ptr 0
		.amdhsa_user_sgpr_kernarg_segment_ptr 1
		.amdhsa_user_sgpr_dispatch_id 0
		.amdhsa_user_sgpr_flat_scratch_init 0
		.amdhsa_user_sgpr_kernarg_preload_length 0
		.amdhsa_user_sgpr_kernarg_preload_offset 0
		.amdhsa_user_sgpr_private_segment_size 0
		.amdhsa_uses_dynamic_stack 0
		.amdhsa_system_sgpr_private_segment_wavefront_offset 0
		.amdhsa_system_sgpr_workgroup_id_x 1
		.amdhsa_system_sgpr_workgroup_id_y 0
		.amdhsa_system_sgpr_workgroup_id_z 0
		.amdhsa_system_sgpr_workgroup_info 0
		.amdhsa_system_vgpr_workitem_id 0
		.amdhsa_next_free_vgpr 14
		.amdhsa_next_free_sgpr 26
		.amdhsa_accum_offset 16
		.amdhsa_reserve_vcc 1
		.amdhsa_reserve_flat_scratch 0
		.amdhsa_float_round_mode_32 0
		.amdhsa_float_round_mode_16_64 0
		.amdhsa_float_denorm_mode_32 3
		.amdhsa_float_denorm_mode_16_64 3
		.amdhsa_dx10_clamp 1
		.amdhsa_ieee_mode 1
		.amdhsa_fp16_overflow 0
		.amdhsa_tg_split 0
		.amdhsa_exception_fp_ieee_invalid_op 0
		.amdhsa_exception_fp_denorm_src 0
		.amdhsa_exception_fp_ieee_div_zero 0
		.amdhsa_exception_fp_ieee_overflow 0
		.amdhsa_exception_fp_ieee_underflow 0
		.amdhsa_exception_fp_ieee_inexact 0
		.amdhsa_exception_int_div_zero 0
	.end_amdhsa_kernel
	.section	.text._ZN5aiter19grouped_topk_kernelIN3c108BFloat16EDv1_fLi1ELb1ELb1ELb0EEEvPT_PKS4_PfPimiiiif,"axG",@progbits,_ZN5aiter19grouped_topk_kernelIN3c108BFloat16EDv1_fLi1ELb1ELb1ELb0EEEvPT_PKS4_PfPimiiiif,comdat
.Lfunc_end270:
	.size	_ZN5aiter19grouped_topk_kernelIN3c108BFloat16EDv1_fLi1ELb1ELb1ELb0EEEvPT_PKS4_PfPimiiiif, .Lfunc_end270-_ZN5aiter19grouped_topk_kernelIN3c108BFloat16EDv1_fLi1ELb1ELb1ELb0EEEvPT_PKS4_PfPimiiiif
                                        ; -- End function
	.section	.AMDGPU.csdata,"",@progbits
; Kernel info:
; codeLenInByte = 1128
; NumSgprs: 30
; NumVgprs: 14
; NumAgprs: 0
; TotalNumVgprs: 14
; ScratchSize: 0
; MemoryBound: 0
; FloatMode: 240
; IeeeMode: 1
; LDSByteSize: 0 bytes/workgroup (compile time only)
; SGPRBlocks: 3
; VGPRBlocks: 1
; NumSGPRsForWavesPerEU: 30
; NumVGPRsForWavesPerEU: 14
; AccumOffset: 16
; Occupancy: 8
; WaveLimiterHint : 0
; COMPUTE_PGM_RSRC2:SCRATCH_EN: 0
; COMPUTE_PGM_RSRC2:USER_SGPR: 6
; COMPUTE_PGM_RSRC2:TRAP_HANDLER: 0
; COMPUTE_PGM_RSRC2:TGID_X_EN: 1
; COMPUTE_PGM_RSRC2:TGID_Y_EN: 0
; COMPUTE_PGM_RSRC2:TGID_Z_EN: 0
; COMPUTE_PGM_RSRC2:TIDIG_COMP_CNT: 0
; COMPUTE_PGM_RSRC3_GFX90A:ACCUM_OFFSET: 3
; COMPUTE_PGM_RSRC3_GFX90A:TG_SPLIT: 0
	.section	.text._ZN5aiter19grouped_topk_kernelIfDv1_fLi1ELb1ELb0ELb1EEEvPT_PKS2_PfPimiiiif,"axG",@progbits,_ZN5aiter19grouped_topk_kernelIfDv1_fLi1ELb1ELb0ELb1EEEvPT_PKS2_PfPimiiiif,comdat
	.protected	_ZN5aiter19grouped_topk_kernelIfDv1_fLi1ELb1ELb0ELb1EEEvPT_PKS2_PfPimiiiif ; -- Begin function _ZN5aiter19grouped_topk_kernelIfDv1_fLi1ELb1ELb0ELb1EEEvPT_PKS2_PfPimiiiif
	.globl	_ZN5aiter19grouped_topk_kernelIfDv1_fLi1ELb1ELb0ELb1EEEvPT_PKS2_PfPimiiiif
	.p2align	8
	.type	_ZN5aiter19grouped_topk_kernelIfDv1_fLi1ELb1ELb0ELb1EEEvPT_PKS2_PfPimiiiif,@function
_ZN5aiter19grouped_topk_kernelIfDv1_fLi1ELb1ELb0ELb1EEEvPT_PKS2_PfPimiiiif: ; @_ZN5aiter19grouped_topk_kernelIfDv1_fLi1ELb1ELb0ELb1EEEvPT_PKS2_PfPimiiiif
; %bb.0:
	s_load_dwordx2 s[2:3], s[4:5], 0x28
	s_load_dwordx4 s[8:11], s[4:5], 0x10
	v_mov_b32_e32 v2, 0xff800000
	v_lshl_add_u32 v1, v0, 2, 0
	s_waitcnt lgkmcnt(0)
	v_cmp_gt_i32_e64 s[0:1], s2, v0
	s_and_saveexec_b64 s[12:13], s[0:1]
	s_cbranch_execz .LBB271_4
; %bb.1:
	s_load_dword s18, s[4:5], 0x4c
	s_load_dwordx2 s[14:15], s[4:5], 0x0
	s_mul_i32 s7, s6, s2
	v_lshl_add_u32 v3, v0, 2, 0
	s_mov_b64 s[16:17], 0
	s_waitcnt lgkmcnt(0)
	s_and_b32 s18, s18, 0xffff
	s_lshl_b32 s19, s18, 2
	v_mov_b32_e32 v2, 0xff800000
	v_mov_b32_e32 v4, s15
	;; [unrolled: 1-line block ×3, first 2 shown]
.LBB271_2:                              ; =>This Inner Loop Header: Depth=1
	v_add_u32_e32 v6, s7, v5
	v_ashrrev_i32_e32 v7, 31, v6
	v_lshlrev_b64 v[6:7], 2, v[6:7]
	v_add_co_u32_e32 v6, vcc, s14, v6
	v_addc_co_u32_e32 v7, vcc, v4, v7, vcc
	global_load_dword v6, v[6:7], off
	v_add_u32_e32 v5, s18, v5
	v_cmp_le_i32_e32 vcc, s2, v5
	s_or_b64 s[16:17], vcc, s[16:17]
	s_waitcnt vmcnt(0)
	v_cmp_gt_f32_e32 vcc, v6, v2
	ds_write_b32 v3, v6
	v_cndmask_b32_e32 v2, v2, v6, vcc
	v_add_u32_e32 v3, s19, v3
	s_andn2_b64 exec, exec, s[16:17]
	s_cbranch_execnz .LBB271_2
; %bb.3:
	s_or_b64 exec, exec, s[16:17]
.LBB271_4:
	s_or_b64 exec, exec, s[12:13]
	v_mov_b32_dpp v3, v2 quad_perm:[1,0,3,2] row_mask:0xf bank_mask:0xf
	v_cmp_lt_f32_e32 vcc, v2, v3
	v_cndmask_b32_e32 v2, v2, v3, vcc
	v_bfrev_b32_e32 v4, 0.5
	s_waitcnt lgkmcnt(0)
	v_mov_b32_dpp v3, v2 quad_perm:[2,3,0,1] row_mask:0xf bank_mask:0xf
	v_cmp_lt_f32_e32 vcc, v2, v3
	v_cndmask_b32_e32 v2, v2, v3, vcc
	s_barrier
	s_nop 0
	v_mov_b32_dpp v3, v2 row_half_mirror row_mask:0xf bank_mask:0xf
	v_cmp_lt_f32_e32 vcc, v2, v3
	v_cndmask_b32_e32 v2, v2, v3, vcc
	s_nop 1
	v_mov_b32_dpp v3, v2 row_mirror row_mask:0xf bank_mask:0xf
	v_cmp_lt_f32_e32 vcc, v2, v3
	v_cndmask_b32_e32 v2, v2, v3, vcc
	s_nop 1
	v_mov_b32_dpp v3, v2 row_bcast:15 row_mask:0xf bank_mask:0xf
	v_cmp_lt_f32_e32 vcc, v2, v3
	v_cndmask_b32_e32 v2, v2, v3, vcc
	s_nop 1
	v_mov_b32_dpp v3, v2 row_bcast:31 row_mask:0xf bank_mask:0xf
	v_cmp_lt_f32_e32 vcc, v2, v3
	v_cndmask_b32_e32 v3, v2, v3, vcc
	v_mbcnt_lo_u32_b32 v2, -1, 0
	v_mbcnt_hi_u32_b32 v2, -1, v2
	v_lshl_or_b32 v2, v2, 2, v4
	ds_bpermute_b32 v4, v2, v3
	v_mov_b32_e32 v3, 0
	s_and_saveexec_b64 s[12:13], s[0:1]
	s_cbranch_execz .LBB271_8
; %bb.5:
	s_load_dword s16, s[4:5], 0x4c
	v_lshl_add_u32 v5, v0, 2, 0
	s_mov_b64 s[14:15], 0
	v_mov_b32_e32 v3, 0
	s_mov_b32 s7, 0x3fb8aa3b
	s_waitcnt lgkmcnt(0)
	s_and_b32 s16, s16, 0xffff
	s_lshl_b32 s17, s16, 2
	s_mov_b32 s18, 0xc2ce8ed0
	s_mov_b32 s19, 0x42b17218
	v_mov_b32_e32 v6, 0x7f800000
	v_mov_b32_e32 v7, v0
.LBB271_6:                              ; =>This Inner Loop Header: Depth=1
	ds_read_b32 v8, v5
	v_add_u32_e32 v7, s16, v7
	s_waitcnt lgkmcnt(0)
	v_sub_f32_e32 v8, v8, v4
	v_mul_f32_e32 v9, 0x3fb8aa3b, v8
	v_fma_f32 v10, v8, s7, -v9
	v_rndne_f32_e32 v11, v9
	v_fmac_f32_e32 v10, 0x32a5705f, v8
	v_sub_f32_e32 v9, v9, v11
	v_add_f32_e32 v9, v9, v10
	v_cvt_i32_f32_e32 v11, v11
	v_exp_f32_e32 v9, v9
	v_cmp_ngt_f32_e32 vcc, s18, v8
	v_ldexp_f32 v9, v9, v11
	v_cndmask_b32_e32 v9, 0, v9, vcc
	v_cmp_nlt_f32_e32 vcc, s19, v8
	v_cndmask_b32_e32 v8, v6, v9, vcc
	v_cmp_le_i32_e32 vcc, s2, v7
	ds_write_b32 v5, v8
	v_add_f32_e32 v3, v3, v8
	s_or_b64 s[14:15], vcc, s[14:15]
	v_add_u32_e32 v5, s17, v5
	s_andn2_b64 exec, exec, s[14:15]
	s_cbranch_execnz .LBB271_6
; %bb.7:
	s_or_b64 exec, exec, s[14:15]
.LBB271_8:
	s_or_b64 exec, exec, s[12:13]
	s_waitcnt lgkmcnt(0)
	v_mov_b32_dpp v4, v3 quad_perm:[1,0,3,2] row_mask:0xf bank_mask:0xf
	v_add_f32_e32 v3, v3, v4
	s_barrier
	s_nop 0
	v_mov_b32_dpp v4, v3 quad_perm:[2,3,0,1] row_mask:0xf bank_mask:0xf
	v_add_f32_e32 v3, v3, v4
	s_nop 1
	v_mov_b32_dpp v4, v3 row_half_mirror row_mask:0xf bank_mask:0xf
	v_add_f32_e32 v3, v3, v4
	s_nop 1
	v_mov_b32_dpp v4, v3 row_mirror row_mask:0xf bank_mask:0xf
	v_add_f32_e32 v3, v3, v4
	s_nop 1
	v_mov_b32_dpp v4, v3 row_bcast:15 row_mask:0xf bank_mask:0xf
	v_add_f32_e32 v3, v3, v4
	s_nop 1
	v_mov_b32_dpp v4, v3 row_bcast:31 row_mask:0xf bank_mask:0xf
	v_add_f32_e32 v3, v3, v4
	ds_bpermute_b32 v2, v2, v3
	s_and_saveexec_b64 s[12:13], s[0:1]
	s_cbranch_execz .LBB271_11
; %bb.9:
	s_load_dword s7, s[4:5], 0x4c
	v_lshl_add_u32 v3, v0, 2, 0
	s_mov_b64 s[14:15], 0
	v_mov_b32_e32 v4, v0
	s_waitcnt lgkmcnt(0)
	s_and_b32 s7, s7, 0xffff
	s_lshl_b32 s16, s7, 2
.LBB271_10:                             ; =>This Inner Loop Header: Depth=1
	ds_read_b32 v5, v3
	v_add_u32_e32 v4, s7, v4
	v_cmp_le_i32_e32 vcc, s2, v4
	s_or_b64 s[14:15], vcc, s[14:15]
	s_waitcnt lgkmcnt(0)
	v_div_scale_f32 v6, s[18:19], v2, v2, v5
	v_rcp_f32_e32 v7, v6
	v_div_scale_f32 v8, vcc, v5, v2, v5
	v_fma_f32 v9, -v6, v7, 1.0
	v_fmac_f32_e32 v7, v9, v7
	v_mul_f32_e32 v9, v8, v7
	v_fma_f32 v10, -v6, v9, v8
	v_fmac_f32_e32 v9, v10, v7
	v_fma_f32 v6, -v6, v9, v8
	v_div_fmas_f32 v6, v6, v7, v9
	v_div_fixup_f32 v5, v6, v2, v5
	ds_write_b32 v3, v5
	v_add_u32_e32 v3, s16, v3
	s_andn2_b64 exec, exec, s[14:15]
	s_cbranch_execnz .LBB271_10
.LBB271_11:
	s_or_b64 exec, exec, s[12:13]
	s_cmp_lt_i32 s3, 1
	s_waitcnt lgkmcnt(0)
	s_barrier
	s_cbranch_scc1 .LBB271_18
; %bb.12:
	s_add_u32 s12, s4, 64
	s_addc_u32 s13, s5, 0
	s_mov_b32 s7, 0
	v_mov_b32_e32 v3, 0
	v_mov_b32_e32 v5, 0xff800000
                                        ; implicit-def: $vgpr4
                                        ; implicit-def: $vgpr2
	s_branch .LBB271_14
.LBB271_13:                             ;   in Loop: Header=BB271_14 Depth=1
	s_or_b64 exec, exec, s[14:15]
	v_mov_b32_dpp v9, v7 quad_perm:[1,0,3,2] row_mask:0xf bank_mask:0xf
	v_cmp_lt_f32_e32 vcc, v7, v9
	v_cndmask_b32_e32 v7, v7, v9, vcc
	v_mov_b32_dpp v8, v6 quad_perm:[1,0,3,2] row_mask:0xf bank_mask:0xf
	v_cndmask_b32_e32 v6, v6, v8, vcc
	v_mov_b32_dpp v9, v7 quad_perm:[2,3,0,1] row_mask:0xf bank_mask:0xf
	v_cmp_gt_f32_e32 vcc, v9, v7
	v_cndmask_b32_e32 v7, v7, v9, vcc
	v_mov_b32_dpp v8, v6 quad_perm:[2,3,0,1] row_mask:0xf bank_mask:0xf
	v_cndmask_b32_e32 v6, v6, v8, vcc
	v_mov_b32_dpp v9, v7 row_half_mirror row_mask:0xf bank_mask:0xf
	v_cmp_gt_f32_e32 vcc, v9, v7
	v_cndmask_b32_e32 v7, v7, v9, vcc
	v_mov_b32_dpp v8, v6 row_half_mirror row_mask:0xf bank_mask:0xf
	v_cndmask_b32_e32 v6, v6, v8, vcc
	v_mov_b32_dpp v9, v7 row_mirror row_mask:0xf bank_mask:0xf
	v_cmp_gt_f32_e32 vcc, v9, v7
	v_cndmask_b32_e32 v7, v7, v9, vcc
	v_mov_b32_dpp v8, v6 row_mirror row_mask:0xf bank_mask:0xf
	v_cndmask_b32_e32 v6, v6, v8, vcc
	v_mov_b32_dpp v9, v7 row_bcast:15 row_mask:0xf bank_mask:0xf
	v_cmp_gt_f32_e32 vcc, v9, v7
	v_mov_b32_dpp v8, v6 row_bcast:15 row_mask:0xf bank_mask:0xf
	v_cndmask_b32_e32 v7, v7, v9, vcc
	v_cndmask_b32_e32 v6, v6, v8, vcc
	s_nop 0
	v_mov_b32_dpp v9, v7 row_bcast:31 row_mask:0xf bank_mask:0xf
	v_mov_b32_dpp v8, v6 row_bcast:31 row_mask:0xf bank_mask:0xf
	v_cmp_gt_f32_e32 vcc, v9, v7
	v_cndmask_b32_e32 v6, v6, v8, vcc
	v_readlane_b32 s15, v6, 63
	s_lshl_b32 s16, s15, 2
	s_add_i32 s16, s16, 0
	v_cndmask_b32_e32 v7, v7, v9, vcc
	v_mov_b32_e32 v6, s16
	v_readlane_b32 s14, v7, 63
	ds_write_b32 v6, v5
	v_mov_b32_e32 v6, s15
	v_cmp_eq_u32_e32 vcc, s7, v0
	v_cndmask_b32_e32 v2, v2, v6, vcc
	v_mov_b32_e32 v6, s14
	s_add_i32 s7, s7, 1
	v_cndmask_b32_e32 v4, v4, v6, vcc
	s_cmp_eq_u32 s7, s3
	v_add_f32_e32 v3, s14, v3
	s_cbranch_scc1 .LBB271_19
.LBB271_14:                             ; =>This Loop Header: Depth=1
                                        ;     Child Loop BB271_16 Depth 2
	v_mov_b32_e32 v6, s7
	v_mov_b32_e32 v7, 0xff800000
	s_and_saveexec_b64 s[14:15], s[0:1]
	s_cbranch_execz .LBB271_13
; %bb.15:                               ;   in Loop: Header=BB271_14 Depth=1
	s_load_dword s18, s[12:13], 0xc
	s_mov_b64 s[16:17], 0
	v_mov_b32_e32 v6, s7
	v_mov_b32_e32 v7, 0xff800000
	v_mov_b32_e32 v8, v1
	s_waitcnt lgkmcnt(0)
	s_and_b32 s18, s18, 0xffff
	s_lshl_b32 s19, s18, 2
	v_mov_b32_e32 v9, v0
.LBB271_16:                             ;   Parent Loop BB271_14 Depth=1
                                        ; =>  This Inner Loop Header: Depth=2
	ds_read_b32 v10, v8
	v_add_u32_e32 v8, s19, v8
	s_waitcnt lgkmcnt(0)
	v_cmp_gt_f32_e32 vcc, v10, v7
	v_cndmask_b32_e32 v6, v6, v9, vcc
	v_add_u32_e32 v9, s18, v9
	v_cndmask_b32_e32 v7, v7, v10, vcc
	v_cmp_le_i32_e32 vcc, s2, v9
	s_or_b64 s[16:17], vcc, s[16:17]
	s_andn2_b64 exec, exec, s[16:17]
	s_cbranch_execnz .LBB271_16
; %bb.17:                               ;   in Loop: Header=BB271_14 Depth=1
	s_or_b64 exec, exec, s[16:17]
	s_branch .LBB271_13
.LBB271_18:
	v_mov_b32_e32 v3, 0
                                        ; implicit-def: $vgpr4
                                        ; implicit-def: $vgpr2
.LBB271_19:
	v_cmp_gt_i32_e32 vcc, s3, v0
	s_and_saveexec_b64 s[0:1], vcc
	s_cbranch_execz .LBB271_22
; %bb.20:
	s_load_dword s2, s[4:5], 0x38
	s_load_dwordx2 s[0:1], s[4:5], 0x20
	s_load_dword s7, s[4:5], 0x4c
	s_waitcnt lgkmcnt(0)
	v_div_scale_f32 v1, s[4:5], v3, v3, s2
	v_rcp_f32_e32 v5, v1
	v_div_scale_f32 v6, vcc, s2, v3, s2
	s_ashr_i32 s4, s6, 31
	v_fma_f32 v7, -v1, v5, 1.0
	v_fmac_f32_e32 v5, v7, v5
	v_mul_f32_e32 v7, v6, v5
	v_fma_f32 v8, -v1, v7, v6
	v_fmac_f32_e32 v7, v8, v5
	v_fma_f32 v1, -v1, v7, v6
	v_div_fmas_f32 v1, v1, v5, v7
	v_div_fixup_f32 v1, v1, v3, s2
	s_mul_i32 s1, s6, s1
	s_mul_hi_u32 s2, s6, s0
	s_add_i32 s1, s2, s1
	s_mul_i32 s4, s4, s0
	s_add_i32 s5, s1, s4
	v_mul_f32_e32 v1, v1, v4
	s_mul_i32 s2, s6, s0
	s_and_b32 s4, s7, 0xffff
	s_mov_b64 s[0:1], 0
	v_mov_b32_e32 v3, s5
	v_mov_b32_e32 v4, s9
	v_mov_b32_e32 v5, s11
.LBB271_21:                             ; =>This Inner Loop Header: Depth=1
	v_ashrrev_i32_e32 v7, 31, v0
	v_add_co_u32_e32 v6, vcc, s2, v0
	v_addc_co_u32_e32 v7, vcc, v3, v7, vcc
	v_add_u32_e32 v0, s4, v0
	v_cmp_le_i32_e32 vcc, s3, v0
	v_lshlrev_b64 v[6:7], 2, v[6:7]
	s_or_b64 s[0:1], vcc, s[0:1]
	v_add_co_u32_e32 v8, vcc, s8, v6
	v_addc_co_u32_e32 v9, vcc, v4, v7, vcc
	v_add_co_u32_e32 v6, vcc, s10, v6
	v_addc_co_u32_e32 v7, vcc, v5, v7, vcc
	global_store_dword v[8:9], v1, off
	global_store_dword v[6:7], v2, off
	s_andn2_b64 exec, exec, s[0:1]
	s_cbranch_execnz .LBB271_21
.LBB271_22:
	s_endpgm
	.section	.rodata,"a",@progbits
	.p2align	6, 0x0
	.amdhsa_kernel _ZN5aiter19grouped_topk_kernelIfDv1_fLi1ELb1ELb0ELb1EEEvPT_PKS2_PfPimiiiif
		.amdhsa_group_segment_fixed_size 0
		.amdhsa_private_segment_fixed_size 0
		.amdhsa_kernarg_size 320
		.amdhsa_user_sgpr_count 6
		.amdhsa_user_sgpr_private_segment_buffer 1
		.amdhsa_user_sgpr_dispatch_ptr 0
		.amdhsa_user_sgpr_queue_ptr 0
		.amdhsa_user_sgpr_kernarg_segment_ptr 1
		.amdhsa_user_sgpr_dispatch_id 0
		.amdhsa_user_sgpr_flat_scratch_init 0
		.amdhsa_user_sgpr_kernarg_preload_length 0
		.amdhsa_user_sgpr_kernarg_preload_offset 0
		.amdhsa_user_sgpr_private_segment_size 0
		.amdhsa_uses_dynamic_stack 0
		.amdhsa_system_sgpr_private_segment_wavefront_offset 0
		.amdhsa_system_sgpr_workgroup_id_x 1
		.amdhsa_system_sgpr_workgroup_id_y 0
		.amdhsa_system_sgpr_workgroup_id_z 0
		.amdhsa_system_sgpr_workgroup_info 0
		.amdhsa_system_vgpr_workitem_id 0
		.amdhsa_next_free_vgpr 12
		.amdhsa_next_free_sgpr 20
		.amdhsa_accum_offset 12
		.amdhsa_reserve_vcc 1
		.amdhsa_reserve_flat_scratch 0
		.amdhsa_float_round_mode_32 0
		.amdhsa_float_round_mode_16_64 0
		.amdhsa_float_denorm_mode_32 3
		.amdhsa_float_denorm_mode_16_64 3
		.amdhsa_dx10_clamp 1
		.amdhsa_ieee_mode 1
		.amdhsa_fp16_overflow 0
		.amdhsa_tg_split 0
		.amdhsa_exception_fp_ieee_invalid_op 0
		.amdhsa_exception_fp_denorm_src 0
		.amdhsa_exception_fp_ieee_div_zero 0
		.amdhsa_exception_fp_ieee_overflow 0
		.amdhsa_exception_fp_ieee_underflow 0
		.amdhsa_exception_fp_ieee_inexact 0
		.amdhsa_exception_int_div_zero 0
	.end_amdhsa_kernel
	.section	.text._ZN5aiter19grouped_topk_kernelIfDv1_fLi1ELb1ELb0ELb1EEEvPT_PKS2_PfPimiiiif,"axG",@progbits,_ZN5aiter19grouped_topk_kernelIfDv1_fLi1ELb1ELb0ELb1EEEvPT_PKS2_PfPimiiiif,comdat
.Lfunc_end271:
	.size	_ZN5aiter19grouped_topk_kernelIfDv1_fLi1ELb1ELb0ELb1EEEvPT_PKS2_PfPimiiiif, .Lfunc_end271-_ZN5aiter19grouped_topk_kernelIfDv1_fLi1ELb1ELb0ELb1EEEvPT_PKS2_PfPimiiiif
                                        ; -- End function
	.section	.AMDGPU.csdata,"",@progbits
; Kernel info:
; codeLenInByte = 1512
; NumSgprs: 24
; NumVgprs: 12
; NumAgprs: 0
; TotalNumVgprs: 12
; ScratchSize: 0
; MemoryBound: 0
; FloatMode: 240
; IeeeMode: 1
; LDSByteSize: 0 bytes/workgroup (compile time only)
; SGPRBlocks: 2
; VGPRBlocks: 1
; NumSGPRsForWavesPerEU: 24
; NumVGPRsForWavesPerEU: 12
; AccumOffset: 12
; Occupancy: 8
; WaveLimiterHint : 0
; COMPUTE_PGM_RSRC2:SCRATCH_EN: 0
; COMPUTE_PGM_RSRC2:USER_SGPR: 6
; COMPUTE_PGM_RSRC2:TRAP_HANDLER: 0
; COMPUTE_PGM_RSRC2:TGID_X_EN: 1
; COMPUTE_PGM_RSRC2:TGID_Y_EN: 0
; COMPUTE_PGM_RSRC2:TGID_Z_EN: 0
; COMPUTE_PGM_RSRC2:TIDIG_COMP_CNT: 0
; COMPUTE_PGM_RSRC3_GFX90A:ACCUM_OFFSET: 2
; COMPUTE_PGM_RSRC3_GFX90A:TG_SPLIT: 0
	.section	.text._ZN5aiter19grouped_topk_kernelIN3c104HalfEDv1_fLi1ELb1ELb0ELb1EEEvPT_PKS4_PfPimiiiif,"axG",@progbits,_ZN5aiter19grouped_topk_kernelIN3c104HalfEDv1_fLi1ELb1ELb0ELb1EEEvPT_PKS4_PfPimiiiif,comdat
	.protected	_ZN5aiter19grouped_topk_kernelIN3c104HalfEDv1_fLi1ELb1ELb0ELb1EEEvPT_PKS4_PfPimiiiif ; -- Begin function _ZN5aiter19grouped_topk_kernelIN3c104HalfEDv1_fLi1ELb1ELb0ELb1EEEvPT_PKS4_PfPimiiiif
	.globl	_ZN5aiter19grouped_topk_kernelIN3c104HalfEDv1_fLi1ELb1ELb0ELb1EEEvPT_PKS4_PfPimiiiif
	.p2align	8
	.type	_ZN5aiter19grouped_topk_kernelIN3c104HalfEDv1_fLi1ELb1ELb0ELb1EEEvPT_PKS4_PfPimiiiif,@function
_ZN5aiter19grouped_topk_kernelIN3c104HalfEDv1_fLi1ELb1ELb0ELb1EEEvPT_PKS4_PfPimiiiif: ; @_ZN5aiter19grouped_topk_kernelIN3c104HalfEDv1_fLi1ELb1ELb0ELb1EEEvPT_PKS4_PfPimiiiif
; %bb.0:
	s_load_dwordx2 s[2:3], s[4:5], 0x28
	s_load_dwordx4 s[8:11], s[4:5], 0x10
	v_mov_b32_e32 v2, 0xff800000
	v_lshl_add_u32 v1, v0, 2, 0
	s_waitcnt lgkmcnt(0)
	v_cmp_gt_i32_e64 s[0:1], s2, v0
	s_and_saveexec_b64 s[12:13], s[0:1]
	s_cbranch_execz .LBB272_4
; %bb.1:
	s_load_dword s18, s[4:5], 0x4c
	s_load_dwordx2 s[14:15], s[4:5], 0x0
	s_mul_i32 s7, s6, s2
	v_lshl_add_u32 v3, v0, 2, 0
	s_mov_b64 s[16:17], 0
	s_waitcnt lgkmcnt(0)
	s_and_b32 s18, s18, 0xffff
	s_lshl_b32 s19, s18, 2
	v_mov_b32_e32 v2, 0xff800000
	v_mov_b32_e32 v4, s15
	;; [unrolled: 1-line block ×3, first 2 shown]
.LBB272_2:                              ; =>This Inner Loop Header: Depth=1
	v_add_u32_e32 v6, s7, v5
	v_ashrrev_i32_e32 v7, 31, v6
	v_lshlrev_b64 v[6:7], 1, v[6:7]
	v_add_co_u32_e32 v6, vcc, s14, v6
	v_addc_co_u32_e32 v7, vcc, v4, v7, vcc
	global_load_ushort v6, v[6:7], off
	v_add_u32_e32 v5, s18, v5
	v_cmp_le_i32_e32 vcc, s2, v5
	s_or_b64 s[16:17], vcc, s[16:17]
	s_waitcnt vmcnt(0)
	v_cvt_f32_f16_e32 v6, v6
	v_cmp_lt_f32_e32 vcc, v2, v6
	ds_write_b32 v3, v6
	v_cndmask_b32_e32 v2, v2, v6, vcc
	v_add_u32_e32 v3, s19, v3
	s_andn2_b64 exec, exec, s[16:17]
	s_cbranch_execnz .LBB272_2
; %bb.3:
	s_or_b64 exec, exec, s[16:17]
.LBB272_4:
	s_or_b64 exec, exec, s[12:13]
	v_mov_b32_dpp v3, v2 quad_perm:[1,0,3,2] row_mask:0xf bank_mask:0xf
	v_cmp_lt_f32_e32 vcc, v2, v3
	v_cndmask_b32_e32 v2, v2, v3, vcc
	v_bfrev_b32_e32 v4, 0.5
	s_waitcnt lgkmcnt(0)
	v_mov_b32_dpp v3, v2 quad_perm:[2,3,0,1] row_mask:0xf bank_mask:0xf
	v_cmp_lt_f32_e32 vcc, v2, v3
	v_cndmask_b32_e32 v2, v2, v3, vcc
	s_barrier
	s_nop 0
	v_mov_b32_dpp v3, v2 row_half_mirror row_mask:0xf bank_mask:0xf
	v_cmp_lt_f32_e32 vcc, v2, v3
	v_cndmask_b32_e32 v2, v2, v3, vcc
	s_nop 1
	v_mov_b32_dpp v3, v2 row_mirror row_mask:0xf bank_mask:0xf
	v_cmp_lt_f32_e32 vcc, v2, v3
	v_cndmask_b32_e32 v2, v2, v3, vcc
	s_nop 1
	v_mov_b32_dpp v3, v2 row_bcast:15 row_mask:0xf bank_mask:0xf
	v_cmp_lt_f32_e32 vcc, v2, v3
	v_cndmask_b32_e32 v2, v2, v3, vcc
	s_nop 1
	v_mov_b32_dpp v3, v2 row_bcast:31 row_mask:0xf bank_mask:0xf
	v_cmp_lt_f32_e32 vcc, v2, v3
	v_cndmask_b32_e32 v3, v2, v3, vcc
	v_mbcnt_lo_u32_b32 v2, -1, 0
	v_mbcnt_hi_u32_b32 v2, -1, v2
	v_lshl_or_b32 v2, v2, 2, v4
	ds_bpermute_b32 v4, v2, v3
	v_mov_b32_e32 v3, 0
	s_and_saveexec_b64 s[12:13], s[0:1]
	s_cbranch_execz .LBB272_8
; %bb.5:
	s_load_dword s16, s[4:5], 0x4c
	v_lshl_add_u32 v5, v0, 2, 0
	s_mov_b64 s[14:15], 0
	v_mov_b32_e32 v3, 0
	s_mov_b32 s7, 0x3fb8aa3b
	s_waitcnt lgkmcnt(0)
	s_and_b32 s16, s16, 0xffff
	s_lshl_b32 s17, s16, 2
	s_mov_b32 s18, 0xc2ce8ed0
	s_mov_b32 s19, 0x42b17218
	v_mov_b32_e32 v6, 0x7f800000
	v_mov_b32_e32 v7, v0
.LBB272_6:                              ; =>This Inner Loop Header: Depth=1
	ds_read_b32 v8, v5
	v_add_u32_e32 v7, s16, v7
	s_waitcnt lgkmcnt(0)
	v_sub_f32_e32 v8, v8, v4
	v_mul_f32_e32 v9, 0x3fb8aa3b, v8
	v_fma_f32 v10, v8, s7, -v9
	v_rndne_f32_e32 v11, v9
	v_fmac_f32_e32 v10, 0x32a5705f, v8
	v_sub_f32_e32 v9, v9, v11
	v_add_f32_e32 v9, v9, v10
	v_cvt_i32_f32_e32 v11, v11
	v_exp_f32_e32 v9, v9
	v_cmp_ngt_f32_e32 vcc, s18, v8
	v_ldexp_f32 v9, v9, v11
	v_cndmask_b32_e32 v9, 0, v9, vcc
	v_cmp_nlt_f32_e32 vcc, s19, v8
	v_cndmask_b32_e32 v8, v6, v9, vcc
	v_cmp_le_i32_e32 vcc, s2, v7
	ds_write_b32 v5, v8
	v_add_f32_e32 v3, v3, v8
	s_or_b64 s[14:15], vcc, s[14:15]
	v_add_u32_e32 v5, s17, v5
	s_andn2_b64 exec, exec, s[14:15]
	s_cbranch_execnz .LBB272_6
; %bb.7:
	s_or_b64 exec, exec, s[14:15]
.LBB272_8:
	s_or_b64 exec, exec, s[12:13]
	s_waitcnt lgkmcnt(0)
	v_mov_b32_dpp v4, v3 quad_perm:[1,0,3,2] row_mask:0xf bank_mask:0xf
	v_add_f32_e32 v3, v3, v4
	s_barrier
	s_nop 0
	v_mov_b32_dpp v4, v3 quad_perm:[2,3,0,1] row_mask:0xf bank_mask:0xf
	v_add_f32_e32 v3, v3, v4
	s_nop 1
	v_mov_b32_dpp v4, v3 row_half_mirror row_mask:0xf bank_mask:0xf
	v_add_f32_e32 v3, v3, v4
	s_nop 1
	v_mov_b32_dpp v4, v3 row_mirror row_mask:0xf bank_mask:0xf
	v_add_f32_e32 v3, v3, v4
	s_nop 1
	v_mov_b32_dpp v4, v3 row_bcast:15 row_mask:0xf bank_mask:0xf
	v_add_f32_e32 v3, v3, v4
	s_nop 1
	v_mov_b32_dpp v4, v3 row_bcast:31 row_mask:0xf bank_mask:0xf
	v_add_f32_e32 v3, v3, v4
	ds_bpermute_b32 v2, v2, v3
	s_and_saveexec_b64 s[12:13], s[0:1]
	s_cbranch_execz .LBB272_11
; %bb.9:
	s_load_dword s7, s[4:5], 0x4c
	v_lshl_add_u32 v3, v0, 2, 0
	s_mov_b64 s[14:15], 0
	v_mov_b32_e32 v4, v0
	s_waitcnt lgkmcnt(0)
	s_and_b32 s7, s7, 0xffff
	s_lshl_b32 s16, s7, 2
.LBB272_10:                             ; =>This Inner Loop Header: Depth=1
	ds_read_b32 v5, v3
	v_add_u32_e32 v4, s7, v4
	v_cmp_le_i32_e32 vcc, s2, v4
	s_or_b64 s[14:15], vcc, s[14:15]
	s_waitcnt lgkmcnt(0)
	v_div_scale_f32 v6, s[18:19], v2, v2, v5
	v_rcp_f32_e32 v7, v6
	v_div_scale_f32 v8, vcc, v5, v2, v5
	v_fma_f32 v9, -v6, v7, 1.0
	v_fmac_f32_e32 v7, v9, v7
	v_mul_f32_e32 v9, v8, v7
	v_fma_f32 v10, -v6, v9, v8
	v_fmac_f32_e32 v9, v10, v7
	v_fma_f32 v6, -v6, v9, v8
	v_div_fmas_f32 v6, v6, v7, v9
	v_div_fixup_f32 v5, v6, v2, v5
	ds_write_b32 v3, v5
	v_add_u32_e32 v3, s16, v3
	s_andn2_b64 exec, exec, s[14:15]
	s_cbranch_execnz .LBB272_10
.LBB272_11:
	s_or_b64 exec, exec, s[12:13]
	s_cmp_lt_i32 s3, 1
	s_waitcnt lgkmcnt(0)
	s_barrier
	s_cbranch_scc1 .LBB272_18
; %bb.12:
	s_add_u32 s12, s4, 64
	s_addc_u32 s13, s5, 0
	s_mov_b32 s7, 0
	v_mov_b32_e32 v3, 0
	v_mov_b32_e32 v5, 0xff800000
                                        ; implicit-def: $vgpr4
                                        ; implicit-def: $vgpr2
	s_branch .LBB272_14
.LBB272_13:                             ;   in Loop: Header=BB272_14 Depth=1
	s_or_b64 exec, exec, s[14:15]
	v_mov_b32_dpp v9, v7 quad_perm:[1,0,3,2] row_mask:0xf bank_mask:0xf
	v_cmp_lt_f32_e32 vcc, v7, v9
	v_cndmask_b32_e32 v7, v7, v9, vcc
	v_mov_b32_dpp v8, v6 quad_perm:[1,0,3,2] row_mask:0xf bank_mask:0xf
	v_cndmask_b32_e32 v6, v6, v8, vcc
	v_mov_b32_dpp v9, v7 quad_perm:[2,3,0,1] row_mask:0xf bank_mask:0xf
	v_cmp_gt_f32_e32 vcc, v9, v7
	v_cndmask_b32_e32 v7, v7, v9, vcc
	v_mov_b32_dpp v8, v6 quad_perm:[2,3,0,1] row_mask:0xf bank_mask:0xf
	v_cndmask_b32_e32 v6, v6, v8, vcc
	v_mov_b32_dpp v9, v7 row_half_mirror row_mask:0xf bank_mask:0xf
	v_cmp_gt_f32_e32 vcc, v9, v7
	v_cndmask_b32_e32 v7, v7, v9, vcc
	v_mov_b32_dpp v8, v6 row_half_mirror row_mask:0xf bank_mask:0xf
	v_cndmask_b32_e32 v6, v6, v8, vcc
	v_mov_b32_dpp v9, v7 row_mirror row_mask:0xf bank_mask:0xf
	v_cmp_gt_f32_e32 vcc, v9, v7
	v_cndmask_b32_e32 v7, v7, v9, vcc
	v_mov_b32_dpp v8, v6 row_mirror row_mask:0xf bank_mask:0xf
	v_cndmask_b32_e32 v6, v6, v8, vcc
	v_mov_b32_dpp v9, v7 row_bcast:15 row_mask:0xf bank_mask:0xf
	v_cmp_gt_f32_e32 vcc, v9, v7
	v_mov_b32_dpp v8, v6 row_bcast:15 row_mask:0xf bank_mask:0xf
	v_cndmask_b32_e32 v7, v7, v9, vcc
	v_cndmask_b32_e32 v6, v6, v8, vcc
	s_nop 0
	v_mov_b32_dpp v9, v7 row_bcast:31 row_mask:0xf bank_mask:0xf
	v_mov_b32_dpp v8, v6 row_bcast:31 row_mask:0xf bank_mask:0xf
	v_cmp_gt_f32_e32 vcc, v9, v7
	v_cndmask_b32_e32 v6, v6, v8, vcc
	v_readlane_b32 s15, v6, 63
	s_lshl_b32 s16, s15, 2
	s_add_i32 s16, s16, 0
	v_cndmask_b32_e32 v7, v7, v9, vcc
	v_mov_b32_e32 v6, s16
	v_readlane_b32 s14, v7, 63
	ds_write_b32 v6, v5
	v_mov_b32_e32 v6, s15
	v_cmp_eq_u32_e32 vcc, s7, v0
	v_cndmask_b32_e32 v2, v2, v6, vcc
	v_mov_b32_e32 v6, s14
	s_add_i32 s7, s7, 1
	v_cndmask_b32_e32 v4, v4, v6, vcc
	s_cmp_eq_u32 s7, s3
	v_add_f32_e32 v3, s14, v3
	s_cbranch_scc1 .LBB272_19
.LBB272_14:                             ; =>This Loop Header: Depth=1
                                        ;     Child Loop BB272_16 Depth 2
	v_mov_b32_e32 v6, s7
	v_mov_b32_e32 v7, 0xff800000
	s_and_saveexec_b64 s[14:15], s[0:1]
	s_cbranch_execz .LBB272_13
; %bb.15:                               ;   in Loop: Header=BB272_14 Depth=1
	s_load_dword s18, s[12:13], 0xc
	s_mov_b64 s[16:17], 0
	v_mov_b32_e32 v6, s7
	v_mov_b32_e32 v7, 0xff800000
	;; [unrolled: 1-line block ×3, first 2 shown]
	s_waitcnt lgkmcnt(0)
	s_and_b32 s18, s18, 0xffff
	s_lshl_b32 s19, s18, 2
	v_mov_b32_e32 v9, v0
.LBB272_16:                             ;   Parent Loop BB272_14 Depth=1
                                        ; =>  This Inner Loop Header: Depth=2
	ds_read_b32 v10, v8
	v_add_u32_e32 v8, s19, v8
	s_waitcnt lgkmcnt(0)
	v_cmp_gt_f32_e32 vcc, v10, v7
	v_cndmask_b32_e32 v6, v6, v9, vcc
	v_add_u32_e32 v9, s18, v9
	v_cndmask_b32_e32 v7, v7, v10, vcc
	v_cmp_le_i32_e32 vcc, s2, v9
	s_or_b64 s[16:17], vcc, s[16:17]
	s_andn2_b64 exec, exec, s[16:17]
	s_cbranch_execnz .LBB272_16
; %bb.17:                               ;   in Loop: Header=BB272_14 Depth=1
	s_or_b64 exec, exec, s[16:17]
	s_branch .LBB272_13
.LBB272_18:
	v_mov_b32_e32 v3, 0
                                        ; implicit-def: $vgpr4
                                        ; implicit-def: $vgpr2
.LBB272_19:
	v_cmp_gt_i32_e32 vcc, s3, v0
	s_and_saveexec_b64 s[0:1], vcc
	s_cbranch_execz .LBB272_22
; %bb.20:
	s_load_dword s2, s[4:5], 0x38
	s_load_dwordx2 s[0:1], s[4:5], 0x20
	s_load_dword s7, s[4:5], 0x4c
	s_waitcnt lgkmcnt(0)
	v_div_scale_f32 v1, s[4:5], v3, v3, s2
	v_rcp_f32_e32 v5, v1
	v_div_scale_f32 v6, vcc, s2, v3, s2
	s_ashr_i32 s4, s6, 31
	v_fma_f32 v7, -v1, v5, 1.0
	v_fmac_f32_e32 v5, v7, v5
	v_mul_f32_e32 v7, v6, v5
	v_fma_f32 v8, -v1, v7, v6
	v_fmac_f32_e32 v7, v8, v5
	v_fma_f32 v1, -v1, v7, v6
	v_div_fmas_f32 v1, v1, v5, v7
	v_div_fixup_f32 v1, v1, v3, s2
	s_mul_i32 s1, s6, s1
	s_mul_hi_u32 s2, s6, s0
	s_add_i32 s1, s2, s1
	s_mul_i32 s4, s4, s0
	s_add_i32 s5, s1, s4
	v_mul_f32_e32 v1, v1, v4
	s_mul_i32 s2, s6, s0
	s_and_b32 s4, s7, 0xffff
	s_mov_b64 s[0:1], 0
	v_mov_b32_e32 v3, s5
	v_mov_b32_e32 v4, s9
	;; [unrolled: 1-line block ×3, first 2 shown]
.LBB272_21:                             ; =>This Inner Loop Header: Depth=1
	v_ashrrev_i32_e32 v7, 31, v0
	v_add_co_u32_e32 v6, vcc, s2, v0
	v_addc_co_u32_e32 v7, vcc, v3, v7, vcc
	v_add_u32_e32 v0, s4, v0
	v_cmp_le_i32_e32 vcc, s3, v0
	v_lshlrev_b64 v[6:7], 2, v[6:7]
	s_or_b64 s[0:1], vcc, s[0:1]
	v_add_co_u32_e32 v8, vcc, s8, v6
	v_addc_co_u32_e32 v9, vcc, v4, v7, vcc
	v_add_co_u32_e32 v6, vcc, s10, v6
	v_addc_co_u32_e32 v7, vcc, v5, v7, vcc
	global_store_dword v[8:9], v1, off
	global_store_dword v[6:7], v2, off
	s_andn2_b64 exec, exec, s[0:1]
	s_cbranch_execnz .LBB272_21
.LBB272_22:
	s_endpgm
	.section	.rodata,"a",@progbits
	.p2align	6, 0x0
	.amdhsa_kernel _ZN5aiter19grouped_topk_kernelIN3c104HalfEDv1_fLi1ELb1ELb0ELb1EEEvPT_PKS4_PfPimiiiif
		.amdhsa_group_segment_fixed_size 0
		.amdhsa_private_segment_fixed_size 0
		.amdhsa_kernarg_size 320
		.amdhsa_user_sgpr_count 6
		.amdhsa_user_sgpr_private_segment_buffer 1
		.amdhsa_user_sgpr_dispatch_ptr 0
		.amdhsa_user_sgpr_queue_ptr 0
		.amdhsa_user_sgpr_kernarg_segment_ptr 1
		.amdhsa_user_sgpr_dispatch_id 0
		.amdhsa_user_sgpr_flat_scratch_init 0
		.amdhsa_user_sgpr_kernarg_preload_length 0
		.amdhsa_user_sgpr_kernarg_preload_offset 0
		.amdhsa_user_sgpr_private_segment_size 0
		.amdhsa_uses_dynamic_stack 0
		.amdhsa_system_sgpr_private_segment_wavefront_offset 0
		.amdhsa_system_sgpr_workgroup_id_x 1
		.amdhsa_system_sgpr_workgroup_id_y 0
		.amdhsa_system_sgpr_workgroup_id_z 0
		.amdhsa_system_sgpr_workgroup_info 0
		.amdhsa_system_vgpr_workitem_id 0
		.amdhsa_next_free_vgpr 12
		.amdhsa_next_free_sgpr 20
		.amdhsa_accum_offset 12
		.amdhsa_reserve_vcc 1
		.amdhsa_reserve_flat_scratch 0
		.amdhsa_float_round_mode_32 0
		.amdhsa_float_round_mode_16_64 0
		.amdhsa_float_denorm_mode_32 3
		.amdhsa_float_denorm_mode_16_64 3
		.amdhsa_dx10_clamp 1
		.amdhsa_ieee_mode 1
		.amdhsa_fp16_overflow 0
		.amdhsa_tg_split 0
		.amdhsa_exception_fp_ieee_invalid_op 0
		.amdhsa_exception_fp_denorm_src 0
		.amdhsa_exception_fp_ieee_div_zero 0
		.amdhsa_exception_fp_ieee_overflow 0
		.amdhsa_exception_fp_ieee_underflow 0
		.amdhsa_exception_fp_ieee_inexact 0
		.amdhsa_exception_int_div_zero 0
	.end_amdhsa_kernel
	.section	.text._ZN5aiter19grouped_topk_kernelIN3c104HalfEDv1_fLi1ELb1ELb0ELb1EEEvPT_PKS4_PfPimiiiif,"axG",@progbits,_ZN5aiter19grouped_topk_kernelIN3c104HalfEDv1_fLi1ELb1ELb0ELb1EEEvPT_PKS4_PfPimiiiif,comdat
.Lfunc_end272:
	.size	_ZN5aiter19grouped_topk_kernelIN3c104HalfEDv1_fLi1ELb1ELb0ELb1EEEvPT_PKS4_PfPimiiiif, .Lfunc_end272-_ZN5aiter19grouped_topk_kernelIN3c104HalfEDv1_fLi1ELb1ELb0ELb1EEEvPT_PKS4_PfPimiiiif
                                        ; -- End function
	.section	.AMDGPU.csdata,"",@progbits
; Kernel info:
; codeLenInByte = 1516
; NumSgprs: 24
; NumVgprs: 12
; NumAgprs: 0
; TotalNumVgprs: 12
; ScratchSize: 0
; MemoryBound: 0
; FloatMode: 240
; IeeeMode: 1
; LDSByteSize: 0 bytes/workgroup (compile time only)
; SGPRBlocks: 2
; VGPRBlocks: 1
; NumSGPRsForWavesPerEU: 24
; NumVGPRsForWavesPerEU: 12
; AccumOffset: 12
; Occupancy: 8
; WaveLimiterHint : 0
; COMPUTE_PGM_RSRC2:SCRATCH_EN: 0
; COMPUTE_PGM_RSRC2:USER_SGPR: 6
; COMPUTE_PGM_RSRC2:TRAP_HANDLER: 0
; COMPUTE_PGM_RSRC2:TGID_X_EN: 1
; COMPUTE_PGM_RSRC2:TGID_Y_EN: 0
; COMPUTE_PGM_RSRC2:TGID_Z_EN: 0
; COMPUTE_PGM_RSRC2:TIDIG_COMP_CNT: 0
; COMPUTE_PGM_RSRC3_GFX90A:ACCUM_OFFSET: 2
; COMPUTE_PGM_RSRC3_GFX90A:TG_SPLIT: 0
	.section	.text._ZN5aiter19grouped_topk_kernelIN3c108BFloat16EDv1_fLi1ELb1ELb0ELb1EEEvPT_PKS4_PfPimiiiif,"axG",@progbits,_ZN5aiter19grouped_topk_kernelIN3c108BFloat16EDv1_fLi1ELb1ELb0ELb1EEEvPT_PKS4_PfPimiiiif,comdat
	.protected	_ZN5aiter19grouped_topk_kernelIN3c108BFloat16EDv1_fLi1ELb1ELb0ELb1EEEvPT_PKS4_PfPimiiiif ; -- Begin function _ZN5aiter19grouped_topk_kernelIN3c108BFloat16EDv1_fLi1ELb1ELb0ELb1EEEvPT_PKS4_PfPimiiiif
	.globl	_ZN5aiter19grouped_topk_kernelIN3c108BFloat16EDv1_fLi1ELb1ELb0ELb1EEEvPT_PKS4_PfPimiiiif
	.p2align	8
	.type	_ZN5aiter19grouped_topk_kernelIN3c108BFloat16EDv1_fLi1ELb1ELb0ELb1EEEvPT_PKS4_PfPimiiiif,@function
_ZN5aiter19grouped_topk_kernelIN3c108BFloat16EDv1_fLi1ELb1ELb0ELb1EEEvPT_PKS4_PfPimiiiif: ; @_ZN5aiter19grouped_topk_kernelIN3c108BFloat16EDv1_fLi1ELb1ELb0ELb1EEEvPT_PKS4_PfPimiiiif
; %bb.0:
	s_load_dwordx2 s[2:3], s[4:5], 0x28
	s_load_dwordx4 s[8:11], s[4:5], 0x10
	v_mov_b32_e32 v2, 0xff800000
	v_lshl_add_u32 v1, v0, 2, 0
	s_waitcnt lgkmcnt(0)
	v_cmp_gt_i32_e64 s[0:1], s2, v0
	s_and_saveexec_b64 s[12:13], s[0:1]
	s_cbranch_execz .LBB273_4
; %bb.1:
	s_load_dword s18, s[4:5], 0x4c
	s_load_dwordx2 s[14:15], s[4:5], 0x0
	s_mul_i32 s7, s6, s2
	v_lshl_add_u32 v3, v0, 2, 0
	s_mov_b64 s[16:17], 0
	s_waitcnt lgkmcnt(0)
	s_and_b32 s18, s18, 0xffff
	s_lshl_b32 s19, s18, 2
	v_mov_b32_e32 v2, 0xff800000
	v_mov_b32_e32 v4, s15
	;; [unrolled: 1-line block ×3, first 2 shown]
.LBB273_2:                              ; =>This Inner Loop Header: Depth=1
	v_add_u32_e32 v6, s7, v5
	v_ashrrev_i32_e32 v7, 31, v6
	v_lshlrev_b64 v[6:7], 1, v[6:7]
	v_add_co_u32_e32 v6, vcc, s14, v6
	v_addc_co_u32_e32 v7, vcc, v4, v7, vcc
	global_load_ushort v6, v[6:7], off
	v_add_u32_e32 v5, s18, v5
	v_cmp_le_i32_e32 vcc, s2, v5
	s_or_b64 s[16:17], vcc, s[16:17]
	s_waitcnt vmcnt(0)
	v_lshrrev_b16_e32 v7, 8, v6
	v_and_b32_e32 v6, 0xff, v6
	v_lshlrev_b32_e32 v6, 16, v6
	v_lshl_or_b32 v6, v7, 24, v6
	v_cmp_lt_f32_e32 vcc, v2, v6
	ds_write_b32 v3, v6
	v_cndmask_b32_e32 v2, v2, v6, vcc
	v_add_u32_e32 v3, s19, v3
	s_andn2_b64 exec, exec, s[16:17]
	s_cbranch_execnz .LBB273_2
; %bb.3:
	s_or_b64 exec, exec, s[16:17]
.LBB273_4:
	s_or_b64 exec, exec, s[12:13]
	v_mov_b32_dpp v3, v2 quad_perm:[1,0,3,2] row_mask:0xf bank_mask:0xf
	v_cmp_lt_f32_e32 vcc, v2, v3
	v_cndmask_b32_e32 v2, v2, v3, vcc
	v_bfrev_b32_e32 v4, 0.5
	s_waitcnt lgkmcnt(0)
	v_mov_b32_dpp v3, v2 quad_perm:[2,3,0,1] row_mask:0xf bank_mask:0xf
	v_cmp_lt_f32_e32 vcc, v2, v3
	v_cndmask_b32_e32 v2, v2, v3, vcc
	s_barrier
	s_nop 0
	v_mov_b32_dpp v3, v2 row_half_mirror row_mask:0xf bank_mask:0xf
	v_cmp_lt_f32_e32 vcc, v2, v3
	v_cndmask_b32_e32 v2, v2, v3, vcc
	s_nop 1
	v_mov_b32_dpp v3, v2 row_mirror row_mask:0xf bank_mask:0xf
	v_cmp_lt_f32_e32 vcc, v2, v3
	v_cndmask_b32_e32 v2, v2, v3, vcc
	s_nop 1
	v_mov_b32_dpp v3, v2 row_bcast:15 row_mask:0xf bank_mask:0xf
	v_cmp_lt_f32_e32 vcc, v2, v3
	v_cndmask_b32_e32 v2, v2, v3, vcc
	s_nop 1
	v_mov_b32_dpp v3, v2 row_bcast:31 row_mask:0xf bank_mask:0xf
	v_cmp_lt_f32_e32 vcc, v2, v3
	v_cndmask_b32_e32 v3, v2, v3, vcc
	v_mbcnt_lo_u32_b32 v2, -1, 0
	v_mbcnt_hi_u32_b32 v2, -1, v2
	v_lshl_or_b32 v2, v2, 2, v4
	ds_bpermute_b32 v4, v2, v3
	v_mov_b32_e32 v3, 0
	s_and_saveexec_b64 s[12:13], s[0:1]
	s_cbranch_execz .LBB273_8
; %bb.5:
	s_load_dword s16, s[4:5], 0x4c
	v_lshl_add_u32 v5, v0, 2, 0
	s_mov_b64 s[14:15], 0
	v_mov_b32_e32 v3, 0
	s_mov_b32 s7, 0x3fb8aa3b
	s_waitcnt lgkmcnt(0)
	s_and_b32 s16, s16, 0xffff
	s_lshl_b32 s17, s16, 2
	s_mov_b32 s18, 0xc2ce8ed0
	s_mov_b32 s19, 0x42b17218
	v_mov_b32_e32 v6, 0x7f800000
	v_mov_b32_e32 v7, v0
.LBB273_6:                              ; =>This Inner Loop Header: Depth=1
	ds_read_b32 v8, v5
	v_add_u32_e32 v7, s16, v7
	s_waitcnt lgkmcnt(0)
	v_sub_f32_e32 v8, v8, v4
	v_mul_f32_e32 v9, 0x3fb8aa3b, v8
	v_fma_f32 v10, v8, s7, -v9
	v_rndne_f32_e32 v11, v9
	v_fmac_f32_e32 v10, 0x32a5705f, v8
	v_sub_f32_e32 v9, v9, v11
	v_add_f32_e32 v9, v9, v10
	v_cvt_i32_f32_e32 v11, v11
	v_exp_f32_e32 v9, v9
	v_cmp_ngt_f32_e32 vcc, s18, v8
	v_ldexp_f32 v9, v9, v11
	v_cndmask_b32_e32 v9, 0, v9, vcc
	v_cmp_nlt_f32_e32 vcc, s19, v8
	v_cndmask_b32_e32 v8, v6, v9, vcc
	v_cmp_le_i32_e32 vcc, s2, v7
	ds_write_b32 v5, v8
	v_add_f32_e32 v3, v3, v8
	s_or_b64 s[14:15], vcc, s[14:15]
	v_add_u32_e32 v5, s17, v5
	s_andn2_b64 exec, exec, s[14:15]
	s_cbranch_execnz .LBB273_6
; %bb.7:
	s_or_b64 exec, exec, s[14:15]
.LBB273_8:
	s_or_b64 exec, exec, s[12:13]
	s_waitcnt lgkmcnt(0)
	v_mov_b32_dpp v4, v3 quad_perm:[1,0,3,2] row_mask:0xf bank_mask:0xf
	v_add_f32_e32 v3, v3, v4
	s_barrier
	s_nop 0
	v_mov_b32_dpp v4, v3 quad_perm:[2,3,0,1] row_mask:0xf bank_mask:0xf
	v_add_f32_e32 v3, v3, v4
	s_nop 1
	v_mov_b32_dpp v4, v3 row_half_mirror row_mask:0xf bank_mask:0xf
	v_add_f32_e32 v3, v3, v4
	s_nop 1
	v_mov_b32_dpp v4, v3 row_mirror row_mask:0xf bank_mask:0xf
	v_add_f32_e32 v3, v3, v4
	s_nop 1
	v_mov_b32_dpp v4, v3 row_bcast:15 row_mask:0xf bank_mask:0xf
	v_add_f32_e32 v3, v3, v4
	s_nop 1
	v_mov_b32_dpp v4, v3 row_bcast:31 row_mask:0xf bank_mask:0xf
	v_add_f32_e32 v3, v3, v4
	ds_bpermute_b32 v2, v2, v3
	s_and_saveexec_b64 s[12:13], s[0:1]
	s_cbranch_execz .LBB273_11
; %bb.9:
	s_load_dword s7, s[4:5], 0x4c
	v_lshl_add_u32 v3, v0, 2, 0
	s_mov_b64 s[14:15], 0
	v_mov_b32_e32 v4, v0
	s_waitcnt lgkmcnt(0)
	s_and_b32 s7, s7, 0xffff
	s_lshl_b32 s16, s7, 2
.LBB273_10:                             ; =>This Inner Loop Header: Depth=1
	ds_read_b32 v5, v3
	v_add_u32_e32 v4, s7, v4
	v_cmp_le_i32_e32 vcc, s2, v4
	s_or_b64 s[14:15], vcc, s[14:15]
	s_waitcnt lgkmcnt(0)
	v_div_scale_f32 v6, s[18:19], v2, v2, v5
	v_rcp_f32_e32 v7, v6
	v_div_scale_f32 v8, vcc, v5, v2, v5
	v_fma_f32 v9, -v6, v7, 1.0
	v_fmac_f32_e32 v7, v9, v7
	v_mul_f32_e32 v9, v8, v7
	v_fma_f32 v10, -v6, v9, v8
	v_fmac_f32_e32 v9, v10, v7
	v_fma_f32 v6, -v6, v9, v8
	v_div_fmas_f32 v6, v6, v7, v9
	v_div_fixup_f32 v5, v6, v2, v5
	ds_write_b32 v3, v5
	v_add_u32_e32 v3, s16, v3
	s_andn2_b64 exec, exec, s[14:15]
	s_cbranch_execnz .LBB273_10
.LBB273_11:
	s_or_b64 exec, exec, s[12:13]
	s_cmp_lt_i32 s3, 1
	s_waitcnt lgkmcnt(0)
	s_barrier
	s_cbranch_scc1 .LBB273_18
; %bb.12:
	s_add_u32 s12, s4, 64
	s_addc_u32 s13, s5, 0
	s_mov_b32 s7, 0
	v_mov_b32_e32 v3, 0
	v_mov_b32_e32 v5, 0xff800000
                                        ; implicit-def: $vgpr4
                                        ; implicit-def: $vgpr2
	s_branch .LBB273_14
.LBB273_13:                             ;   in Loop: Header=BB273_14 Depth=1
	s_or_b64 exec, exec, s[14:15]
	v_mov_b32_dpp v9, v7 quad_perm:[1,0,3,2] row_mask:0xf bank_mask:0xf
	v_cmp_lt_f32_e32 vcc, v7, v9
	v_cndmask_b32_e32 v7, v7, v9, vcc
	v_mov_b32_dpp v8, v6 quad_perm:[1,0,3,2] row_mask:0xf bank_mask:0xf
	v_cndmask_b32_e32 v6, v6, v8, vcc
	v_mov_b32_dpp v9, v7 quad_perm:[2,3,0,1] row_mask:0xf bank_mask:0xf
	v_cmp_gt_f32_e32 vcc, v9, v7
	v_cndmask_b32_e32 v7, v7, v9, vcc
	v_mov_b32_dpp v8, v6 quad_perm:[2,3,0,1] row_mask:0xf bank_mask:0xf
	v_cndmask_b32_e32 v6, v6, v8, vcc
	v_mov_b32_dpp v9, v7 row_half_mirror row_mask:0xf bank_mask:0xf
	v_cmp_gt_f32_e32 vcc, v9, v7
	v_cndmask_b32_e32 v7, v7, v9, vcc
	v_mov_b32_dpp v8, v6 row_half_mirror row_mask:0xf bank_mask:0xf
	v_cndmask_b32_e32 v6, v6, v8, vcc
	v_mov_b32_dpp v9, v7 row_mirror row_mask:0xf bank_mask:0xf
	v_cmp_gt_f32_e32 vcc, v9, v7
	v_cndmask_b32_e32 v7, v7, v9, vcc
	v_mov_b32_dpp v8, v6 row_mirror row_mask:0xf bank_mask:0xf
	v_cndmask_b32_e32 v6, v6, v8, vcc
	v_mov_b32_dpp v9, v7 row_bcast:15 row_mask:0xf bank_mask:0xf
	v_cmp_gt_f32_e32 vcc, v9, v7
	v_mov_b32_dpp v8, v6 row_bcast:15 row_mask:0xf bank_mask:0xf
	v_cndmask_b32_e32 v7, v7, v9, vcc
	v_cndmask_b32_e32 v6, v6, v8, vcc
	s_nop 0
	v_mov_b32_dpp v9, v7 row_bcast:31 row_mask:0xf bank_mask:0xf
	v_mov_b32_dpp v8, v6 row_bcast:31 row_mask:0xf bank_mask:0xf
	v_cmp_gt_f32_e32 vcc, v9, v7
	v_cndmask_b32_e32 v6, v6, v8, vcc
	v_readlane_b32 s15, v6, 63
	s_lshl_b32 s16, s15, 2
	s_add_i32 s16, s16, 0
	v_cndmask_b32_e32 v7, v7, v9, vcc
	v_mov_b32_e32 v6, s16
	v_readlane_b32 s14, v7, 63
	ds_write_b32 v6, v5
	v_mov_b32_e32 v6, s15
	v_cmp_eq_u32_e32 vcc, s7, v0
	v_cndmask_b32_e32 v2, v2, v6, vcc
	v_mov_b32_e32 v6, s14
	s_add_i32 s7, s7, 1
	v_cndmask_b32_e32 v4, v4, v6, vcc
	s_cmp_eq_u32 s7, s3
	v_add_f32_e32 v3, s14, v3
	s_cbranch_scc1 .LBB273_19
.LBB273_14:                             ; =>This Loop Header: Depth=1
                                        ;     Child Loop BB273_16 Depth 2
	v_mov_b32_e32 v6, s7
	v_mov_b32_e32 v7, 0xff800000
	s_and_saveexec_b64 s[14:15], s[0:1]
	s_cbranch_execz .LBB273_13
; %bb.15:                               ;   in Loop: Header=BB273_14 Depth=1
	s_load_dword s18, s[12:13], 0xc
	s_mov_b64 s[16:17], 0
	v_mov_b32_e32 v6, s7
	v_mov_b32_e32 v7, 0xff800000
	;; [unrolled: 1-line block ×3, first 2 shown]
	s_waitcnt lgkmcnt(0)
	s_and_b32 s18, s18, 0xffff
	s_lshl_b32 s19, s18, 2
	v_mov_b32_e32 v9, v0
.LBB273_16:                             ;   Parent Loop BB273_14 Depth=1
                                        ; =>  This Inner Loop Header: Depth=2
	ds_read_b32 v10, v8
	v_add_u32_e32 v8, s19, v8
	s_waitcnt lgkmcnt(0)
	v_cmp_gt_f32_e32 vcc, v10, v7
	v_cndmask_b32_e32 v6, v6, v9, vcc
	v_add_u32_e32 v9, s18, v9
	v_cndmask_b32_e32 v7, v7, v10, vcc
	v_cmp_le_i32_e32 vcc, s2, v9
	s_or_b64 s[16:17], vcc, s[16:17]
	s_andn2_b64 exec, exec, s[16:17]
	s_cbranch_execnz .LBB273_16
; %bb.17:                               ;   in Loop: Header=BB273_14 Depth=1
	s_or_b64 exec, exec, s[16:17]
	s_branch .LBB273_13
.LBB273_18:
	v_mov_b32_e32 v3, 0
                                        ; implicit-def: $vgpr4
                                        ; implicit-def: $vgpr2
.LBB273_19:
	v_cmp_gt_i32_e32 vcc, s3, v0
	s_and_saveexec_b64 s[0:1], vcc
	s_cbranch_execz .LBB273_22
; %bb.20:
	s_load_dword s2, s[4:5], 0x38
	s_load_dwordx2 s[0:1], s[4:5], 0x20
	s_load_dword s7, s[4:5], 0x4c
	s_waitcnt lgkmcnt(0)
	v_div_scale_f32 v1, s[4:5], v3, v3, s2
	v_rcp_f32_e32 v5, v1
	v_div_scale_f32 v6, vcc, s2, v3, s2
	s_ashr_i32 s4, s6, 31
	v_fma_f32 v7, -v1, v5, 1.0
	v_fmac_f32_e32 v5, v7, v5
	v_mul_f32_e32 v7, v6, v5
	v_fma_f32 v8, -v1, v7, v6
	v_fmac_f32_e32 v7, v8, v5
	v_fma_f32 v1, -v1, v7, v6
	v_div_fmas_f32 v1, v1, v5, v7
	v_div_fixup_f32 v1, v1, v3, s2
	s_mul_i32 s1, s6, s1
	s_mul_hi_u32 s2, s6, s0
	s_add_i32 s1, s2, s1
	s_mul_i32 s4, s4, s0
	s_add_i32 s5, s1, s4
	v_mul_f32_e32 v1, v1, v4
	s_mul_i32 s2, s6, s0
	s_and_b32 s4, s7, 0xffff
	s_mov_b64 s[0:1], 0
	v_mov_b32_e32 v3, s5
	v_mov_b32_e32 v4, s9
	;; [unrolled: 1-line block ×3, first 2 shown]
.LBB273_21:                             ; =>This Inner Loop Header: Depth=1
	v_ashrrev_i32_e32 v7, 31, v0
	v_add_co_u32_e32 v6, vcc, s2, v0
	v_addc_co_u32_e32 v7, vcc, v3, v7, vcc
	v_add_u32_e32 v0, s4, v0
	v_cmp_le_i32_e32 vcc, s3, v0
	v_lshlrev_b64 v[6:7], 2, v[6:7]
	s_or_b64 s[0:1], vcc, s[0:1]
	v_add_co_u32_e32 v8, vcc, s8, v6
	v_addc_co_u32_e32 v9, vcc, v4, v7, vcc
	v_add_co_u32_e32 v6, vcc, s10, v6
	v_addc_co_u32_e32 v7, vcc, v5, v7, vcc
	global_store_dword v[8:9], v1, off
	global_store_dword v[6:7], v2, off
	s_andn2_b64 exec, exec, s[0:1]
	s_cbranch_execnz .LBB273_21
.LBB273_22:
	s_endpgm
	.section	.rodata,"a",@progbits
	.p2align	6, 0x0
	.amdhsa_kernel _ZN5aiter19grouped_topk_kernelIN3c108BFloat16EDv1_fLi1ELb1ELb0ELb1EEEvPT_PKS4_PfPimiiiif
		.amdhsa_group_segment_fixed_size 0
		.amdhsa_private_segment_fixed_size 0
		.amdhsa_kernarg_size 320
		.amdhsa_user_sgpr_count 6
		.amdhsa_user_sgpr_private_segment_buffer 1
		.amdhsa_user_sgpr_dispatch_ptr 0
		.amdhsa_user_sgpr_queue_ptr 0
		.amdhsa_user_sgpr_kernarg_segment_ptr 1
		.amdhsa_user_sgpr_dispatch_id 0
		.amdhsa_user_sgpr_flat_scratch_init 0
		.amdhsa_user_sgpr_kernarg_preload_length 0
		.amdhsa_user_sgpr_kernarg_preload_offset 0
		.amdhsa_user_sgpr_private_segment_size 0
		.amdhsa_uses_dynamic_stack 0
		.amdhsa_system_sgpr_private_segment_wavefront_offset 0
		.amdhsa_system_sgpr_workgroup_id_x 1
		.amdhsa_system_sgpr_workgroup_id_y 0
		.amdhsa_system_sgpr_workgroup_id_z 0
		.amdhsa_system_sgpr_workgroup_info 0
		.amdhsa_system_vgpr_workitem_id 0
		.amdhsa_next_free_vgpr 12
		.amdhsa_next_free_sgpr 20
		.amdhsa_accum_offset 12
		.amdhsa_reserve_vcc 1
		.amdhsa_reserve_flat_scratch 0
		.amdhsa_float_round_mode_32 0
		.amdhsa_float_round_mode_16_64 0
		.amdhsa_float_denorm_mode_32 3
		.amdhsa_float_denorm_mode_16_64 3
		.amdhsa_dx10_clamp 1
		.amdhsa_ieee_mode 1
		.amdhsa_fp16_overflow 0
		.amdhsa_tg_split 0
		.amdhsa_exception_fp_ieee_invalid_op 0
		.amdhsa_exception_fp_denorm_src 0
		.amdhsa_exception_fp_ieee_div_zero 0
		.amdhsa_exception_fp_ieee_overflow 0
		.amdhsa_exception_fp_ieee_underflow 0
		.amdhsa_exception_fp_ieee_inexact 0
		.amdhsa_exception_int_div_zero 0
	.end_amdhsa_kernel
	.section	.text._ZN5aiter19grouped_topk_kernelIN3c108BFloat16EDv1_fLi1ELb1ELb0ELb1EEEvPT_PKS4_PfPimiiiif,"axG",@progbits,_ZN5aiter19grouped_topk_kernelIN3c108BFloat16EDv1_fLi1ELb1ELb0ELb1EEEvPT_PKS4_PfPimiiiif,comdat
.Lfunc_end273:
	.size	_ZN5aiter19grouped_topk_kernelIN3c108BFloat16EDv1_fLi1ELb1ELb0ELb1EEEvPT_PKS4_PfPimiiiif, .Lfunc_end273-_ZN5aiter19grouped_topk_kernelIN3c108BFloat16EDv1_fLi1ELb1ELb0ELb1EEEvPT_PKS4_PfPimiiiif
                                        ; -- End function
	.section	.AMDGPU.csdata,"",@progbits
; Kernel info:
; codeLenInByte = 1536
; NumSgprs: 24
; NumVgprs: 12
; NumAgprs: 0
; TotalNumVgprs: 12
; ScratchSize: 0
; MemoryBound: 0
; FloatMode: 240
; IeeeMode: 1
; LDSByteSize: 0 bytes/workgroup (compile time only)
; SGPRBlocks: 2
; VGPRBlocks: 1
; NumSGPRsForWavesPerEU: 24
; NumVGPRsForWavesPerEU: 12
; AccumOffset: 12
; Occupancy: 8
; WaveLimiterHint : 0
; COMPUTE_PGM_RSRC2:SCRATCH_EN: 0
; COMPUTE_PGM_RSRC2:USER_SGPR: 6
; COMPUTE_PGM_RSRC2:TRAP_HANDLER: 0
; COMPUTE_PGM_RSRC2:TGID_X_EN: 1
; COMPUTE_PGM_RSRC2:TGID_Y_EN: 0
; COMPUTE_PGM_RSRC2:TGID_Z_EN: 0
; COMPUTE_PGM_RSRC2:TIDIG_COMP_CNT: 0
; COMPUTE_PGM_RSRC3_GFX90A:ACCUM_OFFSET: 2
; COMPUTE_PGM_RSRC3_GFX90A:TG_SPLIT: 0
	.section	.text._ZN5aiter19grouped_topk_kernelIfDv1_fLi1ELb1ELb0ELb0EEEvPT_PKS2_PfPimiiiif,"axG",@progbits,_ZN5aiter19grouped_topk_kernelIfDv1_fLi1ELb1ELb0ELb0EEEvPT_PKS2_PfPimiiiif,comdat
	.protected	_ZN5aiter19grouped_topk_kernelIfDv1_fLi1ELb1ELb0ELb0EEEvPT_PKS2_PfPimiiiif ; -- Begin function _ZN5aiter19grouped_topk_kernelIfDv1_fLi1ELb1ELb0ELb0EEEvPT_PKS2_PfPimiiiif
	.globl	_ZN5aiter19grouped_topk_kernelIfDv1_fLi1ELb1ELb0ELb0EEEvPT_PKS2_PfPimiiiif
	.p2align	8
	.type	_ZN5aiter19grouped_topk_kernelIfDv1_fLi1ELb1ELb0ELb0EEEvPT_PKS2_PfPimiiiif,@function
_ZN5aiter19grouped_topk_kernelIfDv1_fLi1ELb1ELb0ELb0EEEvPT_PKS2_PfPimiiiif: ; @_ZN5aiter19grouped_topk_kernelIfDv1_fLi1ELb1ELb0ELb0EEEvPT_PKS2_PfPimiiiif
; %bb.0:
	s_load_dwordx2 s[2:3], s[4:5], 0x28
	s_load_dwordx4 s[8:11], s[4:5], 0x10
	v_lshl_add_u32 v1, v0, 2, 0
	s_waitcnt lgkmcnt(0)
	v_cmp_gt_i32_e64 s[0:1], s2, v0
	s_and_saveexec_b64 s[12:13], s[0:1]
	s_cbranch_execz .LBB274_3
; %bb.1:
	s_load_dwordx2 s[14:15], s[4:5], 0x0
	s_load_dword s18, s[4:5], 0x4c
	s_mul_i32 s16, s6, s2
	s_ashr_i32 s17, s16, 31
	s_lshl_b64 s[16:17], s[16:17], 2
	s_waitcnt lgkmcnt(0)
	s_add_u32 s7, s14, s16
	s_addc_u32 s19, s15, s17
	s_and_b32 s16, s18, 0xffff
	v_lshl_add_u32 v4, v0, 2, 0
	s_lshl_b32 s17, s16, 2
	s_mov_b64 s[14:15], 0
	v_mov_b32_e32 v5, s19
	s_mov_b32 s18, 0xbfb8aa3b
	s_mov_b32 s19, 0x42ce8ed0
	;; [unrolled: 1-line block ×3, first 2 shown]
	v_mov_b32_e32 v6, 0x7f800000
	v_mov_b32_e32 v2, v0
.LBB274_2:                              ; =>This Inner Loop Header: Depth=1
	v_ashrrev_i32_e32 v3, 31, v2
	v_lshlrev_b64 v[8:9], 2, v[2:3]
	v_add_co_u32_e32 v8, vcc, s7, v8
	v_addc_co_u32_e32 v9, vcc, v5, v9, vcc
	global_load_dword v3, v[8:9], off
	v_add_u32_e32 v2, s16, v2
	v_cmp_le_i32_e32 vcc, s2, v2
	s_or_b64 s[14:15], vcc, s[14:15]
	s_waitcnt vmcnt(0)
	v_mul_f32_e32 v7, 0xbfb8aa3b, v3
	v_fma_f32 v8, v3, s18, -v7
	v_rndne_f32_e32 v9, v7
	v_fmac_f32_e32 v8, 0xb2a5705f, v3
	v_sub_f32_e32 v7, v7, v9
	v_add_f32_e32 v7, v7, v8
	v_cvt_i32_f32_e32 v9, v9
	v_exp_f32_e32 v7, v7
	v_cmp_nlt_f32_e32 vcc, s19, v3
	v_ldexp_f32 v7, v7, v9
	v_cndmask_b32_e32 v7, 0, v7, vcc
	v_cmp_ngt_f32_e32 vcc, s20, v3
	v_cndmask_b32_e32 v3, v6, v7, vcc
	v_add_f32_e32 v3, 1.0, v3
	v_div_scale_f32 v7, s[22:23], v3, v3, 1.0
	v_rcp_f32_e32 v8, v7
	v_div_scale_f32 v9, vcc, 1.0, v3, 1.0
	v_fma_f32 v10, -v7, v8, 1.0
	v_fmac_f32_e32 v8, v10, v8
	v_mul_f32_e32 v10, v9, v8
	v_fma_f32 v11, -v7, v10, v9
	v_fmac_f32_e32 v10, v11, v8
	v_fma_f32 v7, -v7, v10, v9
	v_div_fmas_f32 v7, v7, v8, v10
	v_div_fixup_f32 v3, v7, v3, 1.0
	ds_write_b32 v4, v3
	v_add_u32_e32 v4, s17, v4
	s_andn2_b64 exec, exec, s[14:15]
	s_cbranch_execnz .LBB274_2
.LBB274_3:
	s_or_b64 exec, exec, s[12:13]
	s_cmp_lt_i32 s3, 1
	s_waitcnt lgkmcnt(0)
	s_barrier
	s_cbranch_scc1 .LBB274_10
; %bb.4:
	s_add_u32 s12, s4, 64
	s_addc_u32 s13, s5, 0
	s_mov_b32 s7, 0
	v_mov_b32_e32 v3, 0
	v_mov_b32_e32 v5, 0xff800000
                                        ; implicit-def: $vgpr4
                                        ; implicit-def: $vgpr2
	s_branch .LBB274_6
.LBB274_5:                              ;   in Loop: Header=BB274_6 Depth=1
	s_or_b64 exec, exec, s[14:15]
	v_mov_b32_dpp v9, v7 quad_perm:[1,0,3,2] row_mask:0xf bank_mask:0xf
	v_cmp_lt_f32_e32 vcc, v7, v9
	v_cndmask_b32_e32 v7, v7, v9, vcc
	v_mov_b32_dpp v8, v6 quad_perm:[1,0,3,2] row_mask:0xf bank_mask:0xf
	v_cndmask_b32_e32 v6, v6, v8, vcc
	v_mov_b32_dpp v9, v7 quad_perm:[2,3,0,1] row_mask:0xf bank_mask:0xf
	v_cmp_gt_f32_e32 vcc, v9, v7
	v_cndmask_b32_e32 v7, v7, v9, vcc
	v_mov_b32_dpp v8, v6 quad_perm:[2,3,0,1] row_mask:0xf bank_mask:0xf
	v_cndmask_b32_e32 v6, v6, v8, vcc
	v_mov_b32_dpp v9, v7 row_half_mirror row_mask:0xf bank_mask:0xf
	v_cmp_gt_f32_e32 vcc, v9, v7
	v_cndmask_b32_e32 v7, v7, v9, vcc
	v_mov_b32_dpp v8, v6 row_half_mirror row_mask:0xf bank_mask:0xf
	v_cndmask_b32_e32 v6, v6, v8, vcc
	v_mov_b32_dpp v9, v7 row_mirror row_mask:0xf bank_mask:0xf
	v_cmp_gt_f32_e32 vcc, v9, v7
	v_cndmask_b32_e32 v7, v7, v9, vcc
	v_mov_b32_dpp v8, v6 row_mirror row_mask:0xf bank_mask:0xf
	v_cndmask_b32_e32 v6, v6, v8, vcc
	v_mov_b32_dpp v9, v7 row_bcast:15 row_mask:0xf bank_mask:0xf
	v_cmp_gt_f32_e32 vcc, v9, v7
	v_mov_b32_dpp v8, v6 row_bcast:15 row_mask:0xf bank_mask:0xf
	v_cndmask_b32_e32 v7, v7, v9, vcc
	v_cndmask_b32_e32 v6, v6, v8, vcc
	s_nop 0
	v_mov_b32_dpp v9, v7 row_bcast:31 row_mask:0xf bank_mask:0xf
	v_mov_b32_dpp v8, v6 row_bcast:31 row_mask:0xf bank_mask:0xf
	v_cmp_gt_f32_e32 vcc, v9, v7
	v_cndmask_b32_e32 v6, v6, v8, vcc
	v_readlane_b32 s15, v6, 63
	s_lshl_b32 s16, s15, 2
	s_add_i32 s16, s16, 0
	v_cndmask_b32_e32 v7, v7, v9, vcc
	v_mov_b32_e32 v6, s16
	v_readlane_b32 s14, v7, 63
	ds_write_b32 v6, v5
	v_mov_b32_e32 v6, s15
	v_cmp_eq_u32_e32 vcc, s7, v0
	v_cndmask_b32_e32 v2, v2, v6, vcc
	v_mov_b32_e32 v6, s14
	s_add_i32 s7, s7, 1
	v_cndmask_b32_e32 v4, v4, v6, vcc
	s_cmp_eq_u32 s7, s3
	v_add_f32_e32 v3, s14, v3
	s_cbranch_scc1 .LBB274_11
.LBB274_6:                              ; =>This Loop Header: Depth=1
                                        ;     Child Loop BB274_8 Depth 2
	v_mov_b32_e32 v6, s7
	v_mov_b32_e32 v7, 0xff800000
	s_and_saveexec_b64 s[14:15], s[0:1]
	s_cbranch_execz .LBB274_5
; %bb.7:                                ;   in Loop: Header=BB274_6 Depth=1
	s_load_dword s18, s[12:13], 0xc
	s_mov_b64 s[16:17], 0
	v_mov_b32_e32 v6, s7
	v_mov_b32_e32 v7, 0xff800000
	;; [unrolled: 1-line block ×3, first 2 shown]
	s_waitcnt lgkmcnt(0)
	s_and_b32 s18, s18, 0xffff
	s_lshl_b32 s19, s18, 2
	v_mov_b32_e32 v9, v0
.LBB274_8:                              ;   Parent Loop BB274_6 Depth=1
                                        ; =>  This Inner Loop Header: Depth=2
	ds_read_b32 v10, v8
	v_add_u32_e32 v8, s19, v8
	s_waitcnt lgkmcnt(0)
	v_cmp_gt_f32_e32 vcc, v10, v7
	v_cndmask_b32_e32 v6, v6, v9, vcc
	v_add_u32_e32 v9, s18, v9
	v_cndmask_b32_e32 v7, v7, v10, vcc
	v_cmp_le_i32_e32 vcc, s2, v9
	s_or_b64 s[16:17], vcc, s[16:17]
	s_andn2_b64 exec, exec, s[16:17]
	s_cbranch_execnz .LBB274_8
; %bb.9:                                ;   in Loop: Header=BB274_6 Depth=1
	s_or_b64 exec, exec, s[16:17]
	s_branch .LBB274_5
.LBB274_10:
	v_mov_b32_e32 v3, 0
                                        ; implicit-def: $vgpr4
                                        ; implicit-def: $vgpr2
.LBB274_11:
	v_cmp_gt_i32_e32 vcc, s3, v0
	s_and_saveexec_b64 s[0:1], vcc
	s_cbranch_execz .LBB274_14
; %bb.12:
	s_load_dword s2, s[4:5], 0x38
	s_load_dwordx2 s[0:1], s[4:5], 0x20
	s_load_dword s7, s[4:5], 0x4c
	s_waitcnt lgkmcnt(0)
	v_div_scale_f32 v1, s[4:5], v3, v3, s2
	v_rcp_f32_e32 v5, v1
	v_div_scale_f32 v6, vcc, s2, v3, s2
	s_ashr_i32 s4, s6, 31
	v_fma_f32 v7, -v1, v5, 1.0
	v_fmac_f32_e32 v5, v7, v5
	v_mul_f32_e32 v7, v6, v5
	v_fma_f32 v8, -v1, v7, v6
	v_fmac_f32_e32 v7, v8, v5
	v_fma_f32 v1, -v1, v7, v6
	v_div_fmas_f32 v1, v1, v5, v7
	v_div_fixup_f32 v1, v1, v3, s2
	s_mul_i32 s1, s6, s1
	s_mul_hi_u32 s2, s6, s0
	s_add_i32 s1, s2, s1
	s_mul_i32 s4, s4, s0
	s_add_i32 s5, s1, s4
	v_mul_f32_e32 v1, v1, v4
	s_mul_i32 s2, s6, s0
	s_and_b32 s4, s7, 0xffff
	s_mov_b64 s[0:1], 0
	v_mov_b32_e32 v3, s5
	v_mov_b32_e32 v4, s9
	;; [unrolled: 1-line block ×3, first 2 shown]
.LBB274_13:                             ; =>This Inner Loop Header: Depth=1
	v_ashrrev_i32_e32 v7, 31, v0
	v_add_co_u32_e32 v6, vcc, s2, v0
	v_addc_co_u32_e32 v7, vcc, v3, v7, vcc
	v_add_u32_e32 v0, s4, v0
	v_cmp_le_i32_e32 vcc, s3, v0
	v_lshlrev_b64 v[6:7], 2, v[6:7]
	s_or_b64 s[0:1], vcc, s[0:1]
	v_add_co_u32_e32 v8, vcc, s8, v6
	v_addc_co_u32_e32 v9, vcc, v4, v7, vcc
	v_add_co_u32_e32 v6, vcc, s10, v6
	v_addc_co_u32_e32 v7, vcc, v5, v7, vcc
	global_store_dword v[8:9], v1, off
	global_store_dword v[6:7], v2, off
	s_andn2_b64 exec, exec, s[0:1]
	s_cbranch_execnz .LBB274_13
.LBB274_14:
	s_endpgm
	.section	.rodata,"a",@progbits
	.p2align	6, 0x0
	.amdhsa_kernel _ZN5aiter19grouped_topk_kernelIfDv1_fLi1ELb1ELb0ELb0EEEvPT_PKS2_PfPimiiiif
		.amdhsa_group_segment_fixed_size 0
		.amdhsa_private_segment_fixed_size 0
		.amdhsa_kernarg_size 320
		.amdhsa_user_sgpr_count 6
		.amdhsa_user_sgpr_private_segment_buffer 1
		.amdhsa_user_sgpr_dispatch_ptr 0
		.amdhsa_user_sgpr_queue_ptr 0
		.amdhsa_user_sgpr_kernarg_segment_ptr 1
		.amdhsa_user_sgpr_dispatch_id 0
		.amdhsa_user_sgpr_flat_scratch_init 0
		.amdhsa_user_sgpr_kernarg_preload_length 0
		.amdhsa_user_sgpr_kernarg_preload_offset 0
		.amdhsa_user_sgpr_private_segment_size 0
		.amdhsa_uses_dynamic_stack 0
		.amdhsa_system_sgpr_private_segment_wavefront_offset 0
		.amdhsa_system_sgpr_workgroup_id_x 1
		.amdhsa_system_sgpr_workgroup_id_y 0
		.amdhsa_system_sgpr_workgroup_id_z 0
		.amdhsa_system_sgpr_workgroup_info 0
		.amdhsa_system_vgpr_workitem_id 0
		.amdhsa_next_free_vgpr 12
		.amdhsa_next_free_sgpr 24
		.amdhsa_accum_offset 12
		.amdhsa_reserve_vcc 1
		.amdhsa_reserve_flat_scratch 0
		.amdhsa_float_round_mode_32 0
		.amdhsa_float_round_mode_16_64 0
		.amdhsa_float_denorm_mode_32 3
		.amdhsa_float_denorm_mode_16_64 3
		.amdhsa_dx10_clamp 1
		.amdhsa_ieee_mode 1
		.amdhsa_fp16_overflow 0
		.amdhsa_tg_split 0
		.amdhsa_exception_fp_ieee_invalid_op 0
		.amdhsa_exception_fp_denorm_src 0
		.amdhsa_exception_fp_ieee_div_zero 0
		.amdhsa_exception_fp_ieee_overflow 0
		.amdhsa_exception_fp_ieee_underflow 0
		.amdhsa_exception_fp_ieee_inexact 0
		.amdhsa_exception_int_div_zero 0
	.end_amdhsa_kernel
	.section	.text._ZN5aiter19grouped_topk_kernelIfDv1_fLi1ELb1ELb0ELb0EEEvPT_PKS2_PfPimiiiif,"axG",@progbits,_ZN5aiter19grouped_topk_kernelIfDv1_fLi1ELb1ELb0ELb0EEEvPT_PKS2_PfPimiiiif,comdat
.Lfunc_end274:
	.size	_ZN5aiter19grouped_topk_kernelIfDv1_fLi1ELb1ELb0ELb0EEEvPT_PKS2_PfPimiiiif, .Lfunc_end274-_ZN5aiter19grouped_topk_kernelIfDv1_fLi1ELb1ELb0ELb0EEEvPT_PKS2_PfPimiiiif
                                        ; -- End function
	.section	.AMDGPU.csdata,"",@progbits
; Kernel info:
; codeLenInByte = 1024
; NumSgprs: 28
; NumVgprs: 12
; NumAgprs: 0
; TotalNumVgprs: 12
; ScratchSize: 0
; MemoryBound: 0
; FloatMode: 240
; IeeeMode: 1
; LDSByteSize: 0 bytes/workgroup (compile time only)
; SGPRBlocks: 3
; VGPRBlocks: 1
; NumSGPRsForWavesPerEU: 28
; NumVGPRsForWavesPerEU: 12
; AccumOffset: 12
; Occupancy: 8
; WaveLimiterHint : 0
; COMPUTE_PGM_RSRC2:SCRATCH_EN: 0
; COMPUTE_PGM_RSRC2:USER_SGPR: 6
; COMPUTE_PGM_RSRC2:TRAP_HANDLER: 0
; COMPUTE_PGM_RSRC2:TGID_X_EN: 1
; COMPUTE_PGM_RSRC2:TGID_Y_EN: 0
; COMPUTE_PGM_RSRC2:TGID_Z_EN: 0
; COMPUTE_PGM_RSRC2:TIDIG_COMP_CNT: 0
; COMPUTE_PGM_RSRC3_GFX90A:ACCUM_OFFSET: 2
; COMPUTE_PGM_RSRC3_GFX90A:TG_SPLIT: 0
	.section	.text._ZN5aiter19grouped_topk_kernelIN3c104HalfEDv1_fLi1ELb1ELb0ELb0EEEvPT_PKS4_PfPimiiiif,"axG",@progbits,_ZN5aiter19grouped_topk_kernelIN3c104HalfEDv1_fLi1ELb1ELb0ELb0EEEvPT_PKS4_PfPimiiiif,comdat
	.protected	_ZN5aiter19grouped_topk_kernelIN3c104HalfEDv1_fLi1ELb1ELb0ELb0EEEvPT_PKS4_PfPimiiiif ; -- Begin function _ZN5aiter19grouped_topk_kernelIN3c104HalfEDv1_fLi1ELb1ELb0ELb0EEEvPT_PKS4_PfPimiiiif
	.globl	_ZN5aiter19grouped_topk_kernelIN3c104HalfEDv1_fLi1ELb1ELb0ELb0EEEvPT_PKS4_PfPimiiiif
	.p2align	8
	.type	_ZN5aiter19grouped_topk_kernelIN3c104HalfEDv1_fLi1ELb1ELb0ELb0EEEvPT_PKS4_PfPimiiiif,@function
_ZN5aiter19grouped_topk_kernelIN3c104HalfEDv1_fLi1ELb1ELb0ELb0EEEvPT_PKS4_PfPimiiiif: ; @_ZN5aiter19grouped_topk_kernelIN3c104HalfEDv1_fLi1ELb1ELb0ELb0EEEvPT_PKS4_PfPimiiiif
; %bb.0:
	s_load_dwordx2 s[2:3], s[4:5], 0x28
	s_load_dwordx4 s[8:11], s[4:5], 0x10
	v_lshl_add_u32 v1, v0, 2, 0
	s_waitcnt lgkmcnt(0)
	v_cmp_gt_i32_e64 s[0:1], s2, v0
	s_and_saveexec_b64 s[12:13], s[0:1]
	s_cbranch_execz .LBB275_3
; %bb.1:
	s_load_dwordx2 s[14:15], s[4:5], 0x0
	s_load_dword s18, s[4:5], 0x4c
	s_mul_i32 s16, s6, s2
	s_ashr_i32 s17, s16, 31
	s_lshl_b64 s[16:17], s[16:17], 1
	s_waitcnt lgkmcnt(0)
	s_add_u32 s7, s14, s16
	s_addc_u32 s19, s15, s17
	s_and_b32 s16, s18, 0xffff
	v_lshl_add_u32 v4, v0, 2, 0
	s_lshl_b32 s17, s16, 2
	s_mov_b64 s[14:15], 0
	v_mov_b32_e32 v5, s19
	s_mov_b32 s18, 0x3fb8aa3b
	s_mov_b32 s19, 0x32a5705f
	;; [unrolled: 1-line block ×4, first 2 shown]
	v_mov_b32_e32 v6, 0x7f800000
	v_mov_b32_e32 v2, v0
.LBB275_2:                              ; =>This Inner Loop Header: Depth=1
	v_ashrrev_i32_e32 v3, 31, v2
	v_lshlrev_b64 v[8:9], 1, v[2:3]
	v_add_co_u32_e32 v8, vcc, s7, v8
	v_addc_co_u32_e32 v9, vcc, v5, v9, vcc
	global_load_ushort v3, v[8:9], off
	v_add_u32_e32 v2, s16, v2
	v_cmp_le_i32_e32 vcc, s2, v2
	s_or_b64 s[14:15], vcc, s[14:15]
	s_waitcnt vmcnt(0)
	v_cvt_f32_f16_e64 v7, -v3
	v_mul_f32_e32 v8, 0x3fb8aa3b, v7
	v_fma_mix_f32 v9, -v3, s18, -v8 op_sel_hi:[1,0,0]
	v_rndne_f32_e32 v10, v8
	v_fma_mix_f32 v3, -v3, s19, v9 op_sel_hi:[1,0,0]
	v_sub_f32_e32 v8, v8, v10
	v_add_f32_e32 v3, v8, v3
	v_cvt_i32_f32_e32 v9, v10
	v_exp_f32_e32 v3, v3
	v_cmp_ngt_f32_e32 vcc, s20, v7
	v_ldexp_f32 v3, v3, v9
	v_cndmask_b32_e32 v3, 0, v3, vcc
	v_cmp_nlt_f32_e32 vcc, s21, v7
	v_cndmask_b32_e32 v3, v6, v3, vcc
	v_add_f32_e32 v3, 1.0, v3
	v_div_scale_f32 v7, s[22:23], v3, v3, 1.0
	v_rcp_f32_e32 v8, v7
	v_div_scale_f32 v9, vcc, 1.0, v3, 1.0
	v_fma_f32 v10, -v7, v8, 1.0
	v_fmac_f32_e32 v8, v10, v8
	v_mul_f32_e32 v10, v9, v8
	v_fma_f32 v11, -v7, v10, v9
	v_fmac_f32_e32 v10, v11, v8
	v_fma_f32 v7, -v7, v10, v9
	v_div_fmas_f32 v7, v7, v8, v10
	v_div_fixup_f32 v3, v7, v3, 1.0
	ds_write_b32 v4, v3
	v_add_u32_e32 v4, s17, v4
	s_andn2_b64 exec, exec, s[14:15]
	s_cbranch_execnz .LBB275_2
.LBB275_3:
	s_or_b64 exec, exec, s[12:13]
	s_cmp_lt_i32 s3, 1
	s_waitcnt lgkmcnt(0)
	s_barrier
	s_cbranch_scc1 .LBB275_10
; %bb.4:
	s_add_u32 s12, s4, 64
	s_addc_u32 s13, s5, 0
	s_mov_b32 s7, 0
	v_mov_b32_e32 v3, 0
	v_mov_b32_e32 v5, 0xff800000
                                        ; implicit-def: $vgpr4
                                        ; implicit-def: $vgpr2
	s_branch .LBB275_6
.LBB275_5:                              ;   in Loop: Header=BB275_6 Depth=1
	s_or_b64 exec, exec, s[14:15]
	v_mov_b32_dpp v9, v7 quad_perm:[1,0,3,2] row_mask:0xf bank_mask:0xf
	v_cmp_lt_f32_e32 vcc, v7, v9
	v_cndmask_b32_e32 v7, v7, v9, vcc
	v_mov_b32_dpp v8, v6 quad_perm:[1,0,3,2] row_mask:0xf bank_mask:0xf
	v_cndmask_b32_e32 v6, v6, v8, vcc
	v_mov_b32_dpp v9, v7 quad_perm:[2,3,0,1] row_mask:0xf bank_mask:0xf
	v_cmp_gt_f32_e32 vcc, v9, v7
	v_cndmask_b32_e32 v7, v7, v9, vcc
	v_mov_b32_dpp v8, v6 quad_perm:[2,3,0,1] row_mask:0xf bank_mask:0xf
	v_cndmask_b32_e32 v6, v6, v8, vcc
	v_mov_b32_dpp v9, v7 row_half_mirror row_mask:0xf bank_mask:0xf
	v_cmp_gt_f32_e32 vcc, v9, v7
	v_cndmask_b32_e32 v7, v7, v9, vcc
	v_mov_b32_dpp v8, v6 row_half_mirror row_mask:0xf bank_mask:0xf
	v_cndmask_b32_e32 v6, v6, v8, vcc
	v_mov_b32_dpp v9, v7 row_mirror row_mask:0xf bank_mask:0xf
	v_cmp_gt_f32_e32 vcc, v9, v7
	v_cndmask_b32_e32 v7, v7, v9, vcc
	v_mov_b32_dpp v8, v6 row_mirror row_mask:0xf bank_mask:0xf
	v_cndmask_b32_e32 v6, v6, v8, vcc
	v_mov_b32_dpp v9, v7 row_bcast:15 row_mask:0xf bank_mask:0xf
	v_cmp_gt_f32_e32 vcc, v9, v7
	v_mov_b32_dpp v8, v6 row_bcast:15 row_mask:0xf bank_mask:0xf
	v_cndmask_b32_e32 v7, v7, v9, vcc
	v_cndmask_b32_e32 v6, v6, v8, vcc
	s_nop 0
	v_mov_b32_dpp v9, v7 row_bcast:31 row_mask:0xf bank_mask:0xf
	v_mov_b32_dpp v8, v6 row_bcast:31 row_mask:0xf bank_mask:0xf
	v_cmp_gt_f32_e32 vcc, v9, v7
	v_cndmask_b32_e32 v6, v6, v8, vcc
	v_readlane_b32 s15, v6, 63
	s_lshl_b32 s16, s15, 2
	s_add_i32 s16, s16, 0
	v_cndmask_b32_e32 v7, v7, v9, vcc
	v_mov_b32_e32 v6, s16
	v_readlane_b32 s14, v7, 63
	ds_write_b32 v6, v5
	v_mov_b32_e32 v6, s15
	v_cmp_eq_u32_e32 vcc, s7, v0
	v_cndmask_b32_e32 v2, v2, v6, vcc
	v_mov_b32_e32 v6, s14
	s_add_i32 s7, s7, 1
	v_cndmask_b32_e32 v4, v4, v6, vcc
	s_cmp_eq_u32 s7, s3
	v_add_f32_e32 v3, s14, v3
	s_cbranch_scc1 .LBB275_11
.LBB275_6:                              ; =>This Loop Header: Depth=1
                                        ;     Child Loop BB275_8 Depth 2
	v_mov_b32_e32 v6, s7
	v_mov_b32_e32 v7, 0xff800000
	s_and_saveexec_b64 s[14:15], s[0:1]
	s_cbranch_execz .LBB275_5
; %bb.7:                                ;   in Loop: Header=BB275_6 Depth=1
	s_load_dword s18, s[12:13], 0xc
	s_mov_b64 s[16:17], 0
	v_mov_b32_e32 v6, s7
	v_mov_b32_e32 v7, 0xff800000
	;; [unrolled: 1-line block ×3, first 2 shown]
	s_waitcnt lgkmcnt(0)
	s_and_b32 s18, s18, 0xffff
	s_lshl_b32 s19, s18, 2
	v_mov_b32_e32 v9, v0
.LBB275_8:                              ;   Parent Loop BB275_6 Depth=1
                                        ; =>  This Inner Loop Header: Depth=2
	ds_read_b32 v10, v8
	v_add_u32_e32 v8, s19, v8
	s_waitcnt lgkmcnt(0)
	v_cmp_gt_f32_e32 vcc, v10, v7
	v_cndmask_b32_e32 v6, v6, v9, vcc
	v_add_u32_e32 v9, s18, v9
	v_cndmask_b32_e32 v7, v7, v10, vcc
	v_cmp_le_i32_e32 vcc, s2, v9
	s_or_b64 s[16:17], vcc, s[16:17]
	s_andn2_b64 exec, exec, s[16:17]
	s_cbranch_execnz .LBB275_8
; %bb.9:                                ;   in Loop: Header=BB275_6 Depth=1
	s_or_b64 exec, exec, s[16:17]
	s_branch .LBB275_5
.LBB275_10:
	v_mov_b32_e32 v3, 0
                                        ; implicit-def: $vgpr4
                                        ; implicit-def: $vgpr2
.LBB275_11:
	v_cmp_gt_i32_e32 vcc, s3, v0
	s_and_saveexec_b64 s[0:1], vcc
	s_cbranch_execz .LBB275_14
; %bb.12:
	s_load_dword s2, s[4:5], 0x38
	s_load_dwordx2 s[0:1], s[4:5], 0x20
	s_load_dword s7, s[4:5], 0x4c
	s_waitcnt lgkmcnt(0)
	v_div_scale_f32 v1, s[4:5], v3, v3, s2
	v_rcp_f32_e32 v5, v1
	v_div_scale_f32 v6, vcc, s2, v3, s2
	s_ashr_i32 s4, s6, 31
	v_fma_f32 v7, -v1, v5, 1.0
	v_fmac_f32_e32 v5, v7, v5
	v_mul_f32_e32 v7, v6, v5
	v_fma_f32 v8, -v1, v7, v6
	v_fmac_f32_e32 v7, v8, v5
	v_fma_f32 v1, -v1, v7, v6
	v_div_fmas_f32 v1, v1, v5, v7
	v_div_fixup_f32 v1, v1, v3, s2
	s_mul_i32 s1, s6, s1
	s_mul_hi_u32 s2, s6, s0
	s_add_i32 s1, s2, s1
	s_mul_i32 s4, s4, s0
	s_add_i32 s5, s1, s4
	v_mul_f32_e32 v1, v1, v4
	s_mul_i32 s2, s6, s0
	s_and_b32 s4, s7, 0xffff
	s_mov_b64 s[0:1], 0
	v_mov_b32_e32 v3, s5
	v_mov_b32_e32 v4, s9
	;; [unrolled: 1-line block ×3, first 2 shown]
.LBB275_13:                             ; =>This Inner Loop Header: Depth=1
	v_ashrrev_i32_e32 v7, 31, v0
	v_add_co_u32_e32 v6, vcc, s2, v0
	v_addc_co_u32_e32 v7, vcc, v3, v7, vcc
	v_add_u32_e32 v0, s4, v0
	v_cmp_le_i32_e32 vcc, s3, v0
	v_lshlrev_b64 v[6:7], 2, v[6:7]
	s_or_b64 s[0:1], vcc, s[0:1]
	v_add_co_u32_e32 v8, vcc, s8, v6
	v_addc_co_u32_e32 v9, vcc, v4, v7, vcc
	v_add_co_u32_e32 v6, vcc, s10, v6
	v_addc_co_u32_e32 v7, vcc, v5, v7, vcc
	global_store_dword v[8:9], v1, off
	global_store_dword v[6:7], v2, off
	s_andn2_b64 exec, exec, s[0:1]
	s_cbranch_execnz .LBB275_13
.LBB275_14:
	s_endpgm
	.section	.rodata,"a",@progbits
	.p2align	6, 0x0
	.amdhsa_kernel _ZN5aiter19grouped_topk_kernelIN3c104HalfEDv1_fLi1ELb1ELb0ELb0EEEvPT_PKS4_PfPimiiiif
		.amdhsa_group_segment_fixed_size 0
		.amdhsa_private_segment_fixed_size 0
		.amdhsa_kernarg_size 320
		.amdhsa_user_sgpr_count 6
		.amdhsa_user_sgpr_private_segment_buffer 1
		.amdhsa_user_sgpr_dispatch_ptr 0
		.amdhsa_user_sgpr_queue_ptr 0
		.amdhsa_user_sgpr_kernarg_segment_ptr 1
		.amdhsa_user_sgpr_dispatch_id 0
		.amdhsa_user_sgpr_flat_scratch_init 0
		.amdhsa_user_sgpr_kernarg_preload_length 0
		.amdhsa_user_sgpr_kernarg_preload_offset 0
		.amdhsa_user_sgpr_private_segment_size 0
		.amdhsa_uses_dynamic_stack 0
		.amdhsa_system_sgpr_private_segment_wavefront_offset 0
		.amdhsa_system_sgpr_workgroup_id_x 1
		.amdhsa_system_sgpr_workgroup_id_y 0
		.amdhsa_system_sgpr_workgroup_id_z 0
		.amdhsa_system_sgpr_workgroup_info 0
		.amdhsa_system_vgpr_workitem_id 0
		.amdhsa_next_free_vgpr 12
		.amdhsa_next_free_sgpr 24
		.amdhsa_accum_offset 12
		.amdhsa_reserve_vcc 1
		.amdhsa_reserve_flat_scratch 0
		.amdhsa_float_round_mode_32 0
		.amdhsa_float_round_mode_16_64 0
		.amdhsa_float_denorm_mode_32 3
		.amdhsa_float_denorm_mode_16_64 3
		.amdhsa_dx10_clamp 1
		.amdhsa_ieee_mode 1
		.amdhsa_fp16_overflow 0
		.amdhsa_tg_split 0
		.amdhsa_exception_fp_ieee_invalid_op 0
		.amdhsa_exception_fp_denorm_src 0
		.amdhsa_exception_fp_ieee_div_zero 0
		.amdhsa_exception_fp_ieee_overflow 0
		.amdhsa_exception_fp_ieee_underflow 0
		.amdhsa_exception_fp_ieee_inexact 0
		.amdhsa_exception_int_div_zero 0
	.end_amdhsa_kernel
	.section	.text._ZN5aiter19grouped_topk_kernelIN3c104HalfEDv1_fLi1ELb1ELb0ELb0EEEvPT_PKS4_PfPimiiiif,"axG",@progbits,_ZN5aiter19grouped_topk_kernelIN3c104HalfEDv1_fLi1ELb1ELb0ELb0EEEvPT_PKS4_PfPimiiiif,comdat
.Lfunc_end275:
	.size	_ZN5aiter19grouped_topk_kernelIN3c104HalfEDv1_fLi1ELb1ELb0ELb0EEEvPT_PKS4_PfPimiiiif, .Lfunc_end275-_ZN5aiter19grouped_topk_kernelIN3c104HalfEDv1_fLi1ELb1ELb0ELb0EEEvPT_PKS4_PfPimiiiif
                                        ; -- End function
	.section	.AMDGPU.csdata,"",@progbits
; Kernel info:
; codeLenInByte = 1040
; NumSgprs: 28
; NumVgprs: 12
; NumAgprs: 0
; TotalNumVgprs: 12
; ScratchSize: 0
; MemoryBound: 0
; FloatMode: 240
; IeeeMode: 1
; LDSByteSize: 0 bytes/workgroup (compile time only)
; SGPRBlocks: 3
; VGPRBlocks: 1
; NumSGPRsForWavesPerEU: 28
; NumVGPRsForWavesPerEU: 12
; AccumOffset: 12
; Occupancy: 8
; WaveLimiterHint : 0
; COMPUTE_PGM_RSRC2:SCRATCH_EN: 0
; COMPUTE_PGM_RSRC2:USER_SGPR: 6
; COMPUTE_PGM_RSRC2:TRAP_HANDLER: 0
; COMPUTE_PGM_RSRC2:TGID_X_EN: 1
; COMPUTE_PGM_RSRC2:TGID_Y_EN: 0
; COMPUTE_PGM_RSRC2:TGID_Z_EN: 0
; COMPUTE_PGM_RSRC2:TIDIG_COMP_CNT: 0
; COMPUTE_PGM_RSRC3_GFX90A:ACCUM_OFFSET: 2
; COMPUTE_PGM_RSRC3_GFX90A:TG_SPLIT: 0
	.section	.text._ZN5aiter19grouped_topk_kernelIN3c108BFloat16EDv1_fLi1ELb1ELb0ELb0EEEvPT_PKS4_PfPimiiiif,"axG",@progbits,_ZN5aiter19grouped_topk_kernelIN3c108BFloat16EDv1_fLi1ELb1ELb0ELb0EEEvPT_PKS4_PfPimiiiif,comdat
	.protected	_ZN5aiter19grouped_topk_kernelIN3c108BFloat16EDv1_fLi1ELb1ELb0ELb0EEEvPT_PKS4_PfPimiiiif ; -- Begin function _ZN5aiter19grouped_topk_kernelIN3c108BFloat16EDv1_fLi1ELb1ELb0ELb0EEEvPT_PKS4_PfPimiiiif
	.globl	_ZN5aiter19grouped_topk_kernelIN3c108BFloat16EDv1_fLi1ELb1ELb0ELb0EEEvPT_PKS4_PfPimiiiif
	.p2align	8
	.type	_ZN5aiter19grouped_topk_kernelIN3c108BFloat16EDv1_fLi1ELb1ELb0ELb0EEEvPT_PKS4_PfPimiiiif,@function
_ZN5aiter19grouped_topk_kernelIN3c108BFloat16EDv1_fLi1ELb1ELb0ELb0EEEvPT_PKS4_PfPimiiiif: ; @_ZN5aiter19grouped_topk_kernelIN3c108BFloat16EDv1_fLi1ELb1ELb0ELb0EEEvPT_PKS4_PfPimiiiif
; %bb.0:
	s_load_dwordx2 s[2:3], s[4:5], 0x28
	s_load_dwordx4 s[8:11], s[4:5], 0x10
	v_lshl_add_u32 v1, v0, 2, 0
	s_waitcnt lgkmcnt(0)
	v_cmp_gt_i32_e64 s[0:1], s2, v0
	s_and_saveexec_b64 s[12:13], s[0:1]
	s_cbranch_execz .LBB276_3
; %bb.1:
	s_load_dwordx2 s[14:15], s[4:5], 0x0
	s_load_dword s18, s[4:5], 0x4c
	s_mul_i32 s16, s6, s2
	s_ashr_i32 s17, s16, 31
	s_lshl_b64 s[16:17], s[16:17], 1
	s_waitcnt lgkmcnt(0)
	s_add_u32 s7, s14, s16
	s_addc_u32 s19, s15, s17
	s_and_b32 s16, s18, 0xffff
	v_lshl_add_u32 v4, v0, 2, 0
	s_lshl_b32 s17, s16, 2
	s_mov_b64 s[14:15], 0
	v_mov_b32_e32 v5, s19
	s_mov_b32 s18, 0xbfb8aa3b
	s_mov_b32 s19, 0x42ce8ed0
	;; [unrolled: 1-line block ×3, first 2 shown]
	v_mov_b32_e32 v6, 0x7f800000
	v_mov_b32_e32 v2, v0
.LBB276_2:                              ; =>This Inner Loop Header: Depth=1
	v_ashrrev_i32_e32 v3, 31, v2
	v_lshlrev_b64 v[8:9], 1, v[2:3]
	v_add_co_u32_e32 v8, vcc, s7, v8
	v_addc_co_u32_e32 v9, vcc, v5, v9, vcc
	global_load_ushort v3, v[8:9], off
	v_add_u32_e32 v2, s16, v2
	v_cmp_le_i32_e32 vcc, s2, v2
	s_or_b64 s[14:15], vcc, s[14:15]
	s_waitcnt vmcnt(0)
	v_cvt_f32_u32_e32 v3, v3
	v_mul_f32_e32 v7, 0xbfb8aa3b, v3
	v_fma_f32 v8, v3, s18, -v7
	v_rndne_f32_e32 v9, v7
	v_fmac_f32_e32 v8, 0xb2a5705f, v3
	v_sub_f32_e32 v7, v7, v9
	v_add_f32_e32 v7, v7, v8
	v_cvt_i32_f32_e32 v9, v9
	v_exp_f32_e32 v7, v7
	v_cmp_nlt_f32_e32 vcc, s19, v3
	v_ldexp_f32 v7, v7, v9
	v_cndmask_b32_e32 v7, 0, v7, vcc
	v_cmp_ngt_f32_e32 vcc, s20, v3
	v_cndmask_b32_e32 v3, v6, v7, vcc
	v_add_f32_e32 v3, 1.0, v3
	v_div_scale_f32 v7, s[22:23], v3, v3, 1.0
	v_rcp_f32_e32 v8, v7
	v_div_scale_f32 v9, vcc, 1.0, v3, 1.0
	v_fma_f32 v10, -v7, v8, 1.0
	v_fmac_f32_e32 v8, v10, v8
	v_mul_f32_e32 v10, v9, v8
	v_fma_f32 v11, -v7, v10, v9
	v_fmac_f32_e32 v10, v11, v8
	v_fma_f32 v7, -v7, v10, v9
	v_div_fmas_f32 v7, v7, v8, v10
	v_div_fixup_f32 v3, v7, v3, 1.0
	ds_write_b32 v4, v3
	v_add_u32_e32 v4, s17, v4
	s_andn2_b64 exec, exec, s[14:15]
	s_cbranch_execnz .LBB276_2
.LBB276_3:
	s_or_b64 exec, exec, s[12:13]
	s_cmp_lt_i32 s3, 1
	s_waitcnt lgkmcnt(0)
	s_barrier
	s_cbranch_scc1 .LBB276_10
; %bb.4:
	s_add_u32 s12, s4, 64
	s_addc_u32 s13, s5, 0
	s_mov_b32 s7, 0
	v_mov_b32_e32 v3, 0
	v_mov_b32_e32 v5, 0xff800000
                                        ; implicit-def: $vgpr4
                                        ; implicit-def: $vgpr2
	s_branch .LBB276_6
.LBB276_5:                              ;   in Loop: Header=BB276_6 Depth=1
	s_or_b64 exec, exec, s[14:15]
	v_mov_b32_dpp v9, v7 quad_perm:[1,0,3,2] row_mask:0xf bank_mask:0xf
	v_cmp_lt_f32_e32 vcc, v7, v9
	v_cndmask_b32_e32 v7, v7, v9, vcc
	v_mov_b32_dpp v8, v6 quad_perm:[1,0,3,2] row_mask:0xf bank_mask:0xf
	v_cndmask_b32_e32 v6, v6, v8, vcc
	v_mov_b32_dpp v9, v7 quad_perm:[2,3,0,1] row_mask:0xf bank_mask:0xf
	v_cmp_gt_f32_e32 vcc, v9, v7
	v_cndmask_b32_e32 v7, v7, v9, vcc
	v_mov_b32_dpp v8, v6 quad_perm:[2,3,0,1] row_mask:0xf bank_mask:0xf
	v_cndmask_b32_e32 v6, v6, v8, vcc
	v_mov_b32_dpp v9, v7 row_half_mirror row_mask:0xf bank_mask:0xf
	v_cmp_gt_f32_e32 vcc, v9, v7
	v_cndmask_b32_e32 v7, v7, v9, vcc
	v_mov_b32_dpp v8, v6 row_half_mirror row_mask:0xf bank_mask:0xf
	v_cndmask_b32_e32 v6, v6, v8, vcc
	v_mov_b32_dpp v9, v7 row_mirror row_mask:0xf bank_mask:0xf
	v_cmp_gt_f32_e32 vcc, v9, v7
	v_cndmask_b32_e32 v7, v7, v9, vcc
	v_mov_b32_dpp v8, v6 row_mirror row_mask:0xf bank_mask:0xf
	v_cndmask_b32_e32 v6, v6, v8, vcc
	v_mov_b32_dpp v9, v7 row_bcast:15 row_mask:0xf bank_mask:0xf
	v_cmp_gt_f32_e32 vcc, v9, v7
	v_mov_b32_dpp v8, v6 row_bcast:15 row_mask:0xf bank_mask:0xf
	v_cndmask_b32_e32 v7, v7, v9, vcc
	v_cndmask_b32_e32 v6, v6, v8, vcc
	s_nop 0
	v_mov_b32_dpp v9, v7 row_bcast:31 row_mask:0xf bank_mask:0xf
	v_mov_b32_dpp v8, v6 row_bcast:31 row_mask:0xf bank_mask:0xf
	v_cmp_gt_f32_e32 vcc, v9, v7
	v_cndmask_b32_e32 v6, v6, v8, vcc
	v_readlane_b32 s15, v6, 63
	s_lshl_b32 s16, s15, 2
	s_add_i32 s16, s16, 0
	v_cndmask_b32_e32 v7, v7, v9, vcc
	v_mov_b32_e32 v6, s16
	v_readlane_b32 s14, v7, 63
	ds_write_b32 v6, v5
	v_mov_b32_e32 v6, s15
	v_cmp_eq_u32_e32 vcc, s7, v0
	v_cndmask_b32_e32 v2, v2, v6, vcc
	v_mov_b32_e32 v6, s14
	s_add_i32 s7, s7, 1
	v_cndmask_b32_e32 v4, v4, v6, vcc
	s_cmp_eq_u32 s7, s3
	v_add_f32_e32 v3, s14, v3
	s_cbranch_scc1 .LBB276_11
.LBB276_6:                              ; =>This Loop Header: Depth=1
                                        ;     Child Loop BB276_8 Depth 2
	v_mov_b32_e32 v6, s7
	v_mov_b32_e32 v7, 0xff800000
	s_and_saveexec_b64 s[14:15], s[0:1]
	s_cbranch_execz .LBB276_5
; %bb.7:                                ;   in Loop: Header=BB276_6 Depth=1
	s_load_dword s18, s[12:13], 0xc
	s_mov_b64 s[16:17], 0
	v_mov_b32_e32 v6, s7
	v_mov_b32_e32 v7, 0xff800000
	;; [unrolled: 1-line block ×3, first 2 shown]
	s_waitcnt lgkmcnt(0)
	s_and_b32 s18, s18, 0xffff
	s_lshl_b32 s19, s18, 2
	v_mov_b32_e32 v9, v0
.LBB276_8:                              ;   Parent Loop BB276_6 Depth=1
                                        ; =>  This Inner Loop Header: Depth=2
	ds_read_b32 v10, v8
	v_add_u32_e32 v8, s19, v8
	s_waitcnt lgkmcnt(0)
	v_cmp_gt_f32_e32 vcc, v10, v7
	v_cndmask_b32_e32 v6, v6, v9, vcc
	v_add_u32_e32 v9, s18, v9
	v_cndmask_b32_e32 v7, v7, v10, vcc
	v_cmp_le_i32_e32 vcc, s2, v9
	s_or_b64 s[16:17], vcc, s[16:17]
	s_andn2_b64 exec, exec, s[16:17]
	s_cbranch_execnz .LBB276_8
; %bb.9:                                ;   in Loop: Header=BB276_6 Depth=1
	s_or_b64 exec, exec, s[16:17]
	s_branch .LBB276_5
.LBB276_10:
	v_mov_b32_e32 v3, 0
                                        ; implicit-def: $vgpr4
                                        ; implicit-def: $vgpr2
.LBB276_11:
	v_cmp_gt_i32_e32 vcc, s3, v0
	s_and_saveexec_b64 s[0:1], vcc
	s_cbranch_execz .LBB276_14
; %bb.12:
	s_load_dword s2, s[4:5], 0x38
	s_load_dwordx2 s[0:1], s[4:5], 0x20
	s_load_dword s7, s[4:5], 0x4c
	s_waitcnt lgkmcnt(0)
	v_div_scale_f32 v1, s[4:5], v3, v3, s2
	v_rcp_f32_e32 v5, v1
	v_div_scale_f32 v6, vcc, s2, v3, s2
	s_ashr_i32 s4, s6, 31
	v_fma_f32 v7, -v1, v5, 1.0
	v_fmac_f32_e32 v5, v7, v5
	v_mul_f32_e32 v7, v6, v5
	v_fma_f32 v8, -v1, v7, v6
	v_fmac_f32_e32 v7, v8, v5
	v_fma_f32 v1, -v1, v7, v6
	v_div_fmas_f32 v1, v1, v5, v7
	v_div_fixup_f32 v1, v1, v3, s2
	s_mul_i32 s1, s6, s1
	s_mul_hi_u32 s2, s6, s0
	s_add_i32 s1, s2, s1
	s_mul_i32 s4, s4, s0
	s_add_i32 s5, s1, s4
	v_mul_f32_e32 v1, v1, v4
	s_mul_i32 s2, s6, s0
	s_and_b32 s4, s7, 0xffff
	s_mov_b64 s[0:1], 0
	v_mov_b32_e32 v3, s5
	v_mov_b32_e32 v4, s9
	;; [unrolled: 1-line block ×3, first 2 shown]
.LBB276_13:                             ; =>This Inner Loop Header: Depth=1
	v_ashrrev_i32_e32 v7, 31, v0
	v_add_co_u32_e32 v6, vcc, s2, v0
	v_addc_co_u32_e32 v7, vcc, v3, v7, vcc
	v_add_u32_e32 v0, s4, v0
	v_cmp_le_i32_e32 vcc, s3, v0
	v_lshlrev_b64 v[6:7], 2, v[6:7]
	s_or_b64 s[0:1], vcc, s[0:1]
	v_add_co_u32_e32 v8, vcc, s8, v6
	v_addc_co_u32_e32 v9, vcc, v4, v7, vcc
	v_add_co_u32_e32 v6, vcc, s10, v6
	v_addc_co_u32_e32 v7, vcc, v5, v7, vcc
	global_store_dword v[8:9], v1, off
	global_store_dword v[6:7], v2, off
	s_andn2_b64 exec, exec, s[0:1]
	s_cbranch_execnz .LBB276_13
.LBB276_14:
	s_endpgm
	.section	.rodata,"a",@progbits
	.p2align	6, 0x0
	.amdhsa_kernel _ZN5aiter19grouped_topk_kernelIN3c108BFloat16EDv1_fLi1ELb1ELb0ELb0EEEvPT_PKS4_PfPimiiiif
		.amdhsa_group_segment_fixed_size 0
		.amdhsa_private_segment_fixed_size 0
		.amdhsa_kernarg_size 320
		.amdhsa_user_sgpr_count 6
		.amdhsa_user_sgpr_private_segment_buffer 1
		.amdhsa_user_sgpr_dispatch_ptr 0
		.amdhsa_user_sgpr_queue_ptr 0
		.amdhsa_user_sgpr_kernarg_segment_ptr 1
		.amdhsa_user_sgpr_dispatch_id 0
		.amdhsa_user_sgpr_flat_scratch_init 0
		.amdhsa_user_sgpr_kernarg_preload_length 0
		.amdhsa_user_sgpr_kernarg_preload_offset 0
		.amdhsa_user_sgpr_private_segment_size 0
		.amdhsa_uses_dynamic_stack 0
		.amdhsa_system_sgpr_private_segment_wavefront_offset 0
		.amdhsa_system_sgpr_workgroup_id_x 1
		.amdhsa_system_sgpr_workgroup_id_y 0
		.amdhsa_system_sgpr_workgroup_id_z 0
		.amdhsa_system_sgpr_workgroup_info 0
		.amdhsa_system_vgpr_workitem_id 0
		.amdhsa_next_free_vgpr 12
		.amdhsa_next_free_sgpr 24
		.amdhsa_accum_offset 12
		.amdhsa_reserve_vcc 1
		.amdhsa_reserve_flat_scratch 0
		.amdhsa_float_round_mode_32 0
		.amdhsa_float_round_mode_16_64 0
		.amdhsa_float_denorm_mode_32 3
		.amdhsa_float_denorm_mode_16_64 3
		.amdhsa_dx10_clamp 1
		.amdhsa_ieee_mode 1
		.amdhsa_fp16_overflow 0
		.amdhsa_tg_split 0
		.amdhsa_exception_fp_ieee_invalid_op 0
		.amdhsa_exception_fp_denorm_src 0
		.amdhsa_exception_fp_ieee_div_zero 0
		.amdhsa_exception_fp_ieee_overflow 0
		.amdhsa_exception_fp_ieee_underflow 0
		.amdhsa_exception_fp_ieee_inexact 0
		.amdhsa_exception_int_div_zero 0
	.end_amdhsa_kernel
	.section	.text._ZN5aiter19grouped_topk_kernelIN3c108BFloat16EDv1_fLi1ELb1ELb0ELb0EEEvPT_PKS4_PfPimiiiif,"axG",@progbits,_ZN5aiter19grouped_topk_kernelIN3c108BFloat16EDv1_fLi1ELb1ELb0ELb0EEEvPT_PKS4_PfPimiiiif,comdat
.Lfunc_end276:
	.size	_ZN5aiter19grouped_topk_kernelIN3c108BFloat16EDv1_fLi1ELb1ELb0ELb0EEEvPT_PKS4_PfPimiiiif, .Lfunc_end276-_ZN5aiter19grouped_topk_kernelIN3c108BFloat16EDv1_fLi1ELb1ELb0ELb0EEEvPT_PKS4_PfPimiiiif
                                        ; -- End function
	.section	.AMDGPU.csdata,"",@progbits
; Kernel info:
; codeLenInByte = 1028
; NumSgprs: 28
; NumVgprs: 12
; NumAgprs: 0
; TotalNumVgprs: 12
; ScratchSize: 0
; MemoryBound: 0
; FloatMode: 240
; IeeeMode: 1
; LDSByteSize: 0 bytes/workgroup (compile time only)
; SGPRBlocks: 3
; VGPRBlocks: 1
; NumSGPRsForWavesPerEU: 28
; NumVGPRsForWavesPerEU: 12
; AccumOffset: 12
; Occupancy: 8
; WaveLimiterHint : 0
; COMPUTE_PGM_RSRC2:SCRATCH_EN: 0
; COMPUTE_PGM_RSRC2:USER_SGPR: 6
; COMPUTE_PGM_RSRC2:TRAP_HANDLER: 0
; COMPUTE_PGM_RSRC2:TGID_X_EN: 1
; COMPUTE_PGM_RSRC2:TGID_Y_EN: 0
; COMPUTE_PGM_RSRC2:TGID_Z_EN: 0
; COMPUTE_PGM_RSRC2:TIDIG_COMP_CNT: 0
; COMPUTE_PGM_RSRC3_GFX90A:ACCUM_OFFSET: 2
; COMPUTE_PGM_RSRC3_GFX90A:TG_SPLIT: 0
	.section	.text._ZN5aiter28grouped_topk_opt_sort_kernelIfDv1_fLi1ELb0ELb1ELb0EEEvPT_PKS2_PfPimiiiif,"axG",@progbits,_ZN5aiter28grouped_topk_opt_sort_kernelIfDv1_fLi1ELb0ELb1ELb0EEEvPT_PKS2_PfPimiiiif,comdat
	.protected	_ZN5aiter28grouped_topk_opt_sort_kernelIfDv1_fLi1ELb0ELb1ELb0EEEvPT_PKS2_PfPimiiiif ; -- Begin function _ZN5aiter28grouped_topk_opt_sort_kernelIfDv1_fLi1ELb0ELb1ELb0EEEvPT_PKS2_PfPimiiiif
	.globl	_ZN5aiter28grouped_topk_opt_sort_kernelIfDv1_fLi1ELb0ELb1ELb0EEEvPT_PKS2_PfPimiiiif
	.p2align	8
	.type	_ZN5aiter28grouped_topk_opt_sort_kernelIfDv1_fLi1ELb0ELb1ELb0EEEvPT_PKS2_PfPimiiiif,@function
_ZN5aiter28grouped_topk_opt_sort_kernelIfDv1_fLi1ELb0ELb1ELb0EEEvPT_PKS2_PfPimiiiif: ; @_ZN5aiter28grouped_topk_opt_sort_kernelIfDv1_fLi1ELb0ELb1ELb0EEEvPT_PKS2_PfPimiiiif
; %bb.0:
	s_load_dword s1, s[4:5], 0x28
	s_load_dwordx4 s[8:11], s[4:5], 0x0
	s_load_dword s0, s[4:5], 0x30
	v_lshlrev_b32_e32 v2, 2, v0
	s_mov_b32 s4, 0xc2fc0000
	s_waitcnt lgkmcnt(0)
	s_mul_i32 s2, s6, s1
	s_ashr_i32 s3, s2, 31
	s_lshl_b64 s[2:3], s[2:3], 2
	s_add_u32 s2, s8, s2
	s_addc_u32 s3, s9, s3
	global_load_dword v0, v2, s[2:3]
	global_load_dword v3, v2, s[10:11]
	s_mov_b32 s2, 0x652b82fe
	s_mov_b32 s3, 0xbff71547
	v_mov_b32_e32 v4, 0x42800000
	v_add_u32_e32 v2, 0, v2
	s_cmp_lt_i32 s0, 1
	s_waitcnt vmcnt(1)
	v_cvt_f64_f32_e32 v[0:1], v0
	v_mul_f64 v[0:1], v[0:1], s[2:3]
	v_cvt_f32_f64_e32 v0, v[0:1]
	v_cmp_gt_f32_e32 vcc, s4, v0
	v_cndmask_b32_e32 v1, 0, v4, vcc
	v_add_f32_e32 v0, v0, v1
	v_exp_f32_e32 v0, v0
	v_mov_b32_e32 v1, 0x1f800000
	v_cndmask_b32_e32 v1, 1.0, v1, vcc
	v_fma_f32 v0, v0, v1, 1.0
	v_rcp_f32_e32 v0, v0
	v_mov_b32_e32 v1, 0xff800000
	s_waitcnt vmcnt(0)
	v_add_f32_e32 v0, v3, v0
	v_cmp_o_f32_e32 vcc, v0, v0
	v_cndmask_b32_e32 v0, v1, v0, vcc
	ds_write_b32 v2, v0
	s_cbranch_scc1 .LBB277_7
; %bb.1:
	s_lshl_b32 s1, s1, 2
	s_add_i32 s1, s1, 0
	s_cmp_lt_u32 s0, 8
	s_cbranch_scc1 .LBB277_4
; %bb.2:
	s_and_b32 s2, s0, 0x7ffffff8
	v_mov_b32_e32 v0, s1
	s_mov_b32 s3, 0xff800000
	v_mov_b32_e32 v1, 0xff800000
.LBB277_3:                              ; =>This Inner Loop Header: Depth=1
	ds_read_b32 v2, v0
	s_add_i32 s2, s2, -8
	s_cmp_lg_u32 s2, 0
	s_waitcnt lgkmcnt(0)
	v_cmp_nlg_f32_e32 vcc, s3, v2
	v_cndmask_b32_e64 v2, 0, 1, vcc
	v_lshlrev_b32_e32 v2, 2, v2
	v_add_u32_e32 v2, s1, v2
	ds_write_b32 v2, v1
	ds_read_b32 v2, v0
	s_waitcnt lgkmcnt(0)
	v_cmp_nlg_f32_e32 vcc, s3, v2
	v_cndmask_b32_e64 v2, 0, 1, vcc
	v_lshlrev_b32_e32 v2, 2, v2
	v_add_u32_e32 v2, s1, v2
	ds_write_b32 v2, v1
	ds_read_b32 v2, v0
	;; [unrolled: 7-line block ×7, first 2 shown]
	s_waitcnt lgkmcnt(0)
	v_cmp_nlg_f32_e32 vcc, s3, v2
	v_cndmask_b32_e64 v2, 0, 1, vcc
	v_lshlrev_b32_e32 v2, 2, v2
	v_add_u32_e32 v2, s1, v2
	ds_write_b32 v2, v1
	s_cbranch_scc1 .LBB277_3
.LBB277_4:
	s_and_b32 s0, s0, 7
	s_cmp_eq_u32 s0, 0
	s_cbranch_scc1 .LBB277_7
; %bb.5:
	v_mov_b32_e32 v0, s1
	s_mov_b32 s2, 0xff800000
	v_mov_b32_e32 v1, 0xff800000
.LBB277_6:                              ; =>This Inner Loop Header: Depth=1
	ds_read_b32 v2, v0
	s_add_i32 s0, s0, -1
	s_cmp_lg_u32 s0, 0
	s_waitcnt lgkmcnt(0)
	v_cmp_nlg_f32_e32 vcc, s2, v2
	v_cndmask_b32_e64 v2, 0, 1, vcc
	v_lshlrev_b32_e32 v2, 2, v2
	v_add_u32_e32 v2, s1, v2
	ds_write_b32 v2, v1
	s_cbranch_scc1 .LBB277_6
.LBB277_7:
	s_endpgm
	.section	.rodata,"a",@progbits
	.p2align	6, 0x0
	.amdhsa_kernel _ZN5aiter28grouped_topk_opt_sort_kernelIfDv1_fLi1ELb0ELb1ELb0EEEvPT_PKS2_PfPimiiiif
		.amdhsa_group_segment_fixed_size 0
		.amdhsa_private_segment_fixed_size 0
		.amdhsa_kernarg_size 60
		.amdhsa_user_sgpr_count 6
		.amdhsa_user_sgpr_private_segment_buffer 1
		.amdhsa_user_sgpr_dispatch_ptr 0
		.amdhsa_user_sgpr_queue_ptr 0
		.amdhsa_user_sgpr_kernarg_segment_ptr 1
		.amdhsa_user_sgpr_dispatch_id 0
		.amdhsa_user_sgpr_flat_scratch_init 0
		.amdhsa_user_sgpr_kernarg_preload_length 0
		.amdhsa_user_sgpr_kernarg_preload_offset 0
		.amdhsa_user_sgpr_private_segment_size 0
		.amdhsa_uses_dynamic_stack 0
		.amdhsa_system_sgpr_private_segment_wavefront_offset 0
		.amdhsa_system_sgpr_workgroup_id_x 1
		.amdhsa_system_sgpr_workgroup_id_y 0
		.amdhsa_system_sgpr_workgroup_id_z 0
		.amdhsa_system_sgpr_workgroup_info 0
		.amdhsa_system_vgpr_workitem_id 0
		.amdhsa_next_free_vgpr 5
		.amdhsa_next_free_sgpr 12
		.amdhsa_accum_offset 8
		.amdhsa_reserve_vcc 1
		.amdhsa_reserve_flat_scratch 0
		.amdhsa_float_round_mode_32 0
		.amdhsa_float_round_mode_16_64 0
		.amdhsa_float_denorm_mode_32 3
		.amdhsa_float_denorm_mode_16_64 3
		.amdhsa_dx10_clamp 1
		.amdhsa_ieee_mode 1
		.amdhsa_fp16_overflow 0
		.amdhsa_tg_split 0
		.amdhsa_exception_fp_ieee_invalid_op 0
		.amdhsa_exception_fp_denorm_src 0
		.amdhsa_exception_fp_ieee_div_zero 0
		.amdhsa_exception_fp_ieee_overflow 0
		.amdhsa_exception_fp_ieee_underflow 0
		.amdhsa_exception_fp_ieee_inexact 0
		.amdhsa_exception_int_div_zero 0
	.end_amdhsa_kernel
	.section	.text._ZN5aiter28grouped_topk_opt_sort_kernelIfDv1_fLi1ELb0ELb1ELb0EEEvPT_PKS2_PfPimiiiif,"axG",@progbits,_ZN5aiter28grouped_topk_opt_sort_kernelIfDv1_fLi1ELb0ELb1ELb0EEEvPT_PKS2_PfPimiiiif,comdat
.Lfunc_end277:
	.size	_ZN5aiter28grouped_topk_opt_sort_kernelIfDv1_fLi1ELb0ELb1ELb0EEEvPT_PKS2_PfPimiiiif, .Lfunc_end277-_ZN5aiter28grouped_topk_opt_sort_kernelIfDv1_fLi1ELb0ELb1ELb0EEEvPT_PKS2_PfPimiiiif
                                        ; -- End function
	.section	.AMDGPU.csdata,"",@progbits
; Kernel info:
; codeLenInByte = 668
; NumSgprs: 16
; NumVgprs: 5
; NumAgprs: 0
; TotalNumVgprs: 5
; ScratchSize: 0
; MemoryBound: 0
; FloatMode: 240
; IeeeMode: 1
; LDSByteSize: 0 bytes/workgroup (compile time only)
; SGPRBlocks: 1
; VGPRBlocks: 0
; NumSGPRsForWavesPerEU: 16
; NumVGPRsForWavesPerEU: 5
; AccumOffset: 8
; Occupancy: 8
; WaveLimiterHint : 0
; COMPUTE_PGM_RSRC2:SCRATCH_EN: 0
; COMPUTE_PGM_RSRC2:USER_SGPR: 6
; COMPUTE_PGM_RSRC2:TRAP_HANDLER: 0
; COMPUTE_PGM_RSRC2:TGID_X_EN: 1
; COMPUTE_PGM_RSRC2:TGID_Y_EN: 0
; COMPUTE_PGM_RSRC2:TGID_Z_EN: 0
; COMPUTE_PGM_RSRC2:TIDIG_COMP_CNT: 0
; COMPUTE_PGM_RSRC3_GFX90A:ACCUM_OFFSET: 1
; COMPUTE_PGM_RSRC3_GFX90A:TG_SPLIT: 0
	.section	.text._ZN5aiter28grouped_topk_opt_sort_kernelIN3c104HalfEDv1_fLi1ELb0ELb1ELb0EEEvPT_PKS4_PfPimiiiif,"axG",@progbits,_ZN5aiter28grouped_topk_opt_sort_kernelIN3c104HalfEDv1_fLi1ELb0ELb1ELb0EEEvPT_PKS4_PfPimiiiif,comdat
	.protected	_ZN5aiter28grouped_topk_opt_sort_kernelIN3c104HalfEDv1_fLi1ELb0ELb1ELb0EEEvPT_PKS4_PfPimiiiif ; -- Begin function _ZN5aiter28grouped_topk_opt_sort_kernelIN3c104HalfEDv1_fLi1ELb0ELb1ELb0EEEvPT_PKS4_PfPimiiiif
	.globl	_ZN5aiter28grouped_topk_opt_sort_kernelIN3c104HalfEDv1_fLi1ELb0ELb1ELb0EEEvPT_PKS4_PfPimiiiif
	.p2align	8
	.type	_ZN5aiter28grouped_topk_opt_sort_kernelIN3c104HalfEDv1_fLi1ELb0ELb1ELb0EEEvPT_PKS4_PfPimiiiif,@function
_ZN5aiter28grouped_topk_opt_sort_kernelIN3c104HalfEDv1_fLi1ELb0ELb1ELb0EEEvPT_PKS4_PfPimiiiif: ; @_ZN5aiter28grouped_topk_opt_sort_kernelIN3c104HalfEDv1_fLi1ELb0ELb1ELb0EEEvPT_PKS4_PfPimiiiif
; %bb.0:
	s_load_dword s1, s[4:5], 0x28
	s_load_dwordx4 s[8:11], s[4:5], 0x0
	s_load_dword s0, s[4:5], 0x30
	v_lshlrev_b32_e32 v1, 1, v0
	s_mov_b32 s4, 0xc2fc0000
	s_waitcnt lgkmcnt(0)
	s_mul_i32 s2, s6, s1
	s_ashr_i32 s3, s2, 31
	s_lshl_b64 s[2:3], s[2:3], 1
	s_add_u32 s2, s8, s2
	s_addc_u32 s3, s9, s3
	global_load_ushort v2, v1, s[2:3]
	global_load_ushort v4, v1, s[10:11]
	s_mov_b32 s2, 0x652b82fe
	s_mov_b32 s3, 0xbff71547
	v_mov_b32_e32 v5, 0x42800000
	v_lshl_add_u32 v0, v0, 2, 0
	s_cmp_lt_i32 s0, 1
	s_waitcnt vmcnt(1)
	v_cvt_f32_f16_e32 v1, v2
	v_cvt_f64_f32_e32 v[2:3], v1
	v_mul_f64 v[2:3], v[2:3], s[2:3]
	v_cvt_f32_f64_e32 v1, v[2:3]
	v_cmp_gt_f32_e32 vcc, s4, v1
	v_cndmask_b32_e32 v2, 0, v5, vcc
	v_add_f32_e32 v1, v1, v2
	v_exp_f32_e32 v1, v1
	v_mov_b32_e32 v2, 0x1f800000
	v_cndmask_b32_e32 v2, 1.0, v2, vcc
	s_waitcnt vmcnt(0)
	v_cvt_f32_f16_e32 v3, v4
	v_fma_f32 v1, v1, v2, 1.0
	v_rcp_f32_e32 v1, v1
	v_mov_b32_e32 v2, 0xff800000
	v_add_f32_e32 v1, v1, v3
	v_cmp_o_f32_e32 vcc, v1, v1
	v_cndmask_b32_e32 v1, v2, v1, vcc
	ds_write_b32 v0, v1
	s_cbranch_scc1 .LBB278_7
; %bb.1:
	s_lshl_b32 s1, s1, 2
	s_add_i32 s1, s1, 0
	s_cmp_lt_u32 s0, 8
	s_cbranch_scc1 .LBB278_4
; %bb.2:
	s_and_b32 s2, s0, 0x7ffffff8
	v_mov_b32_e32 v0, s1
	s_mov_b32 s3, 0xff800000
	v_mov_b32_e32 v1, 0xff800000
.LBB278_3:                              ; =>This Inner Loop Header: Depth=1
	ds_read_b32 v2, v0
	s_add_i32 s2, s2, -8
	s_cmp_lg_u32 s2, 0
	s_waitcnt lgkmcnt(0)
	v_cmp_nlg_f32_e32 vcc, s3, v2
	v_cndmask_b32_e64 v2, 0, 1, vcc
	v_lshlrev_b32_e32 v2, 2, v2
	v_add_u32_e32 v2, s1, v2
	ds_write_b32 v2, v1
	ds_read_b32 v2, v0
	s_waitcnt lgkmcnt(0)
	v_cmp_nlg_f32_e32 vcc, s3, v2
	v_cndmask_b32_e64 v2, 0, 1, vcc
	v_lshlrev_b32_e32 v2, 2, v2
	v_add_u32_e32 v2, s1, v2
	ds_write_b32 v2, v1
	ds_read_b32 v2, v0
	;; [unrolled: 7-line block ×7, first 2 shown]
	s_waitcnt lgkmcnt(0)
	v_cmp_nlg_f32_e32 vcc, s3, v2
	v_cndmask_b32_e64 v2, 0, 1, vcc
	v_lshlrev_b32_e32 v2, 2, v2
	v_add_u32_e32 v2, s1, v2
	ds_write_b32 v2, v1
	s_cbranch_scc1 .LBB278_3
.LBB278_4:
	s_and_b32 s0, s0, 7
	s_cmp_eq_u32 s0, 0
	s_cbranch_scc1 .LBB278_7
; %bb.5:
	v_mov_b32_e32 v0, s1
	s_mov_b32 s2, 0xff800000
	v_mov_b32_e32 v1, 0xff800000
.LBB278_6:                              ; =>This Inner Loop Header: Depth=1
	ds_read_b32 v2, v0
	s_add_i32 s0, s0, -1
	s_cmp_lg_u32 s0, 0
	s_waitcnt lgkmcnt(0)
	v_cmp_nlg_f32_e32 vcc, s2, v2
	v_cndmask_b32_e64 v2, 0, 1, vcc
	v_lshlrev_b32_e32 v2, 2, v2
	v_add_u32_e32 v2, s1, v2
	ds_write_b32 v2, v1
	s_cbranch_scc1 .LBB278_6
.LBB278_7:
	s_endpgm
	.section	.rodata,"a",@progbits
	.p2align	6, 0x0
	.amdhsa_kernel _ZN5aiter28grouped_topk_opt_sort_kernelIN3c104HalfEDv1_fLi1ELb0ELb1ELb0EEEvPT_PKS4_PfPimiiiif
		.amdhsa_group_segment_fixed_size 0
		.amdhsa_private_segment_fixed_size 0
		.amdhsa_kernarg_size 60
		.amdhsa_user_sgpr_count 6
		.amdhsa_user_sgpr_private_segment_buffer 1
		.amdhsa_user_sgpr_dispatch_ptr 0
		.amdhsa_user_sgpr_queue_ptr 0
		.amdhsa_user_sgpr_kernarg_segment_ptr 1
		.amdhsa_user_sgpr_dispatch_id 0
		.amdhsa_user_sgpr_flat_scratch_init 0
		.amdhsa_user_sgpr_kernarg_preload_length 0
		.amdhsa_user_sgpr_kernarg_preload_offset 0
		.amdhsa_user_sgpr_private_segment_size 0
		.amdhsa_uses_dynamic_stack 0
		.amdhsa_system_sgpr_private_segment_wavefront_offset 0
		.amdhsa_system_sgpr_workgroup_id_x 1
		.amdhsa_system_sgpr_workgroup_id_y 0
		.amdhsa_system_sgpr_workgroup_id_z 0
		.amdhsa_system_sgpr_workgroup_info 0
		.amdhsa_system_vgpr_workitem_id 0
		.amdhsa_next_free_vgpr 6
		.amdhsa_next_free_sgpr 12
		.amdhsa_accum_offset 8
		.amdhsa_reserve_vcc 1
		.amdhsa_reserve_flat_scratch 0
		.amdhsa_float_round_mode_32 0
		.amdhsa_float_round_mode_16_64 0
		.amdhsa_float_denorm_mode_32 3
		.amdhsa_float_denorm_mode_16_64 3
		.amdhsa_dx10_clamp 1
		.amdhsa_ieee_mode 1
		.amdhsa_fp16_overflow 0
		.amdhsa_tg_split 0
		.amdhsa_exception_fp_ieee_invalid_op 0
		.amdhsa_exception_fp_denorm_src 0
		.amdhsa_exception_fp_ieee_div_zero 0
		.amdhsa_exception_fp_ieee_overflow 0
		.amdhsa_exception_fp_ieee_underflow 0
		.amdhsa_exception_fp_ieee_inexact 0
		.amdhsa_exception_int_div_zero 0
	.end_amdhsa_kernel
	.section	.text._ZN5aiter28grouped_topk_opt_sort_kernelIN3c104HalfEDv1_fLi1ELb0ELb1ELb0EEEvPT_PKS4_PfPimiiiif,"axG",@progbits,_ZN5aiter28grouped_topk_opt_sort_kernelIN3c104HalfEDv1_fLi1ELb0ELb1ELb0EEEvPT_PKS4_PfPimiiiif,comdat
.Lfunc_end278:
	.size	_ZN5aiter28grouped_topk_opt_sort_kernelIN3c104HalfEDv1_fLi1ELb0ELb1ELb0EEEvPT_PKS4_PfPimiiiif, .Lfunc_end278-_ZN5aiter28grouped_topk_opt_sort_kernelIN3c104HalfEDv1_fLi1ELb0ELb1ELb0EEEvPT_PKS4_PfPimiiiif
                                        ; -- End function
	.section	.AMDGPU.csdata,"",@progbits
; Kernel info:
; codeLenInByte = 680
; NumSgprs: 16
; NumVgprs: 6
; NumAgprs: 0
; TotalNumVgprs: 6
; ScratchSize: 0
; MemoryBound: 0
; FloatMode: 240
; IeeeMode: 1
; LDSByteSize: 0 bytes/workgroup (compile time only)
; SGPRBlocks: 1
; VGPRBlocks: 0
; NumSGPRsForWavesPerEU: 16
; NumVGPRsForWavesPerEU: 6
; AccumOffset: 8
; Occupancy: 8
; WaveLimiterHint : 0
; COMPUTE_PGM_RSRC2:SCRATCH_EN: 0
; COMPUTE_PGM_RSRC2:USER_SGPR: 6
; COMPUTE_PGM_RSRC2:TRAP_HANDLER: 0
; COMPUTE_PGM_RSRC2:TGID_X_EN: 1
; COMPUTE_PGM_RSRC2:TGID_Y_EN: 0
; COMPUTE_PGM_RSRC2:TGID_Z_EN: 0
; COMPUTE_PGM_RSRC2:TIDIG_COMP_CNT: 0
; COMPUTE_PGM_RSRC3_GFX90A:ACCUM_OFFSET: 1
; COMPUTE_PGM_RSRC3_GFX90A:TG_SPLIT: 0
	.section	.text._ZN5aiter28grouped_topk_opt_sort_kernelIN3c108BFloat16EDv1_fLi1ELb0ELb1ELb0EEEvPT_PKS4_PfPimiiiif,"axG",@progbits,_ZN5aiter28grouped_topk_opt_sort_kernelIN3c108BFloat16EDv1_fLi1ELb0ELb1ELb0EEEvPT_PKS4_PfPimiiiif,comdat
	.protected	_ZN5aiter28grouped_topk_opt_sort_kernelIN3c108BFloat16EDv1_fLi1ELb0ELb1ELb0EEEvPT_PKS4_PfPimiiiif ; -- Begin function _ZN5aiter28grouped_topk_opt_sort_kernelIN3c108BFloat16EDv1_fLi1ELb0ELb1ELb0EEEvPT_PKS4_PfPimiiiif
	.globl	_ZN5aiter28grouped_topk_opt_sort_kernelIN3c108BFloat16EDv1_fLi1ELb0ELb1ELb0EEEvPT_PKS4_PfPimiiiif
	.p2align	8
	.type	_ZN5aiter28grouped_topk_opt_sort_kernelIN3c108BFloat16EDv1_fLi1ELb0ELb1ELb0EEEvPT_PKS4_PfPimiiiif,@function
_ZN5aiter28grouped_topk_opt_sort_kernelIN3c108BFloat16EDv1_fLi1ELb0ELb1ELb0EEEvPT_PKS4_PfPimiiiif: ; @_ZN5aiter28grouped_topk_opt_sort_kernelIN3c108BFloat16EDv1_fLi1ELb0ELb1ELb0EEEvPT_PKS4_PfPimiiiif
; %bb.0:
	s_load_dword s1, s[4:5], 0x28
	s_load_dwordx4 s[8:11], s[4:5], 0x0
	s_load_dword s0, s[4:5], 0x30
	v_lshlrev_b32_e32 v1, 1, v0
	s_mov_b32 s4, 0xc2fc0000
	s_waitcnt lgkmcnt(0)
	s_mul_i32 s2, s6, s1
	s_ashr_i32 s3, s2, 31
	s_lshl_b64 s[2:3], s[2:3], 1
	s_add_u32 s2, s8, s2
	s_addc_u32 s3, s9, s3
	global_load_ushort v2, v1, s[2:3]
	global_load_ushort v4, v1, s[10:11]
	s_mov_b32 s2, 0x652b82fe
	s_mov_b32 s3, 0xbff71547
	v_mov_b32_e32 v1, 0x42800000
	v_lshl_add_u32 v0, v0, 2, 0
	s_cmp_lt_i32 s0, 1
	s_waitcnt vmcnt(1)
	v_cvt_f64_u32_e32 v[2:3], v2
	v_mul_f64 v[2:3], v[2:3], s[2:3]
	v_cvt_f32_f64_e32 v2, v[2:3]
	v_cmp_gt_f32_e32 vcc, s4, v2
	v_cndmask_b32_e32 v1, 0, v1, vcc
	v_add_f32_e32 v1, v2, v1
	v_exp_f32_e32 v1, v1
	v_mov_b32_e32 v2, 0x1f800000
	v_cndmask_b32_e32 v2, 1.0, v2, vcc
	s_waitcnt vmcnt(0)
	v_cvt_f32_u32_e32 v3, v4
	v_fma_f32 v1, v1, v2, 1.0
	v_rcp_f32_e32 v1, v1
	v_mov_b32_e32 v2, 0xff800000
	v_add_f32_e32 v1, v1, v3
	v_cmp_o_f32_e32 vcc, v1, v1
	v_cndmask_b32_e32 v1, v2, v1, vcc
	ds_write_b32 v0, v1
	s_cbranch_scc1 .LBB279_7
; %bb.1:
	s_lshl_b32 s1, s1, 2
	s_add_i32 s1, s1, 0
	s_cmp_lt_u32 s0, 8
	s_cbranch_scc1 .LBB279_4
; %bb.2:
	s_and_b32 s2, s0, 0x7ffffff8
	v_mov_b32_e32 v0, s1
	s_mov_b32 s3, 0xff800000
	v_mov_b32_e32 v1, 0xff800000
.LBB279_3:                              ; =>This Inner Loop Header: Depth=1
	ds_read_b32 v2, v0
	s_add_i32 s2, s2, -8
	s_cmp_lg_u32 s2, 0
	s_waitcnt lgkmcnt(0)
	v_cmp_nlg_f32_e32 vcc, s3, v2
	v_cndmask_b32_e64 v2, 0, 1, vcc
	v_lshlrev_b32_e32 v2, 2, v2
	v_add_u32_e32 v2, s1, v2
	ds_write_b32 v2, v1
	ds_read_b32 v2, v0
	s_waitcnt lgkmcnt(0)
	v_cmp_nlg_f32_e32 vcc, s3, v2
	v_cndmask_b32_e64 v2, 0, 1, vcc
	v_lshlrev_b32_e32 v2, 2, v2
	v_add_u32_e32 v2, s1, v2
	ds_write_b32 v2, v1
	ds_read_b32 v2, v0
	;; [unrolled: 7-line block ×7, first 2 shown]
	s_waitcnt lgkmcnt(0)
	v_cmp_nlg_f32_e32 vcc, s3, v2
	v_cndmask_b32_e64 v2, 0, 1, vcc
	v_lshlrev_b32_e32 v2, 2, v2
	v_add_u32_e32 v2, s1, v2
	ds_write_b32 v2, v1
	s_cbranch_scc1 .LBB279_3
.LBB279_4:
	s_and_b32 s0, s0, 7
	s_cmp_eq_u32 s0, 0
	s_cbranch_scc1 .LBB279_7
; %bb.5:
	v_mov_b32_e32 v0, s1
	s_mov_b32 s2, 0xff800000
	v_mov_b32_e32 v1, 0xff800000
.LBB279_6:                              ; =>This Inner Loop Header: Depth=1
	ds_read_b32 v2, v0
	s_add_i32 s0, s0, -1
	s_cmp_lg_u32 s0, 0
	s_waitcnt lgkmcnt(0)
	v_cmp_nlg_f32_e32 vcc, s2, v2
	v_cndmask_b32_e64 v2, 0, 1, vcc
	v_lshlrev_b32_e32 v2, 2, v2
	v_add_u32_e32 v2, s1, v2
	ds_write_b32 v2, v1
	s_cbranch_scc1 .LBB279_6
.LBB279_7:
	s_endpgm
	.section	.rodata,"a",@progbits
	.p2align	6, 0x0
	.amdhsa_kernel _ZN5aiter28grouped_topk_opt_sort_kernelIN3c108BFloat16EDv1_fLi1ELb0ELb1ELb0EEEvPT_PKS4_PfPimiiiif
		.amdhsa_group_segment_fixed_size 0
		.amdhsa_private_segment_fixed_size 0
		.amdhsa_kernarg_size 60
		.amdhsa_user_sgpr_count 6
		.amdhsa_user_sgpr_private_segment_buffer 1
		.amdhsa_user_sgpr_dispatch_ptr 0
		.amdhsa_user_sgpr_queue_ptr 0
		.amdhsa_user_sgpr_kernarg_segment_ptr 1
		.amdhsa_user_sgpr_dispatch_id 0
		.amdhsa_user_sgpr_flat_scratch_init 0
		.amdhsa_user_sgpr_kernarg_preload_length 0
		.amdhsa_user_sgpr_kernarg_preload_offset 0
		.amdhsa_user_sgpr_private_segment_size 0
		.amdhsa_uses_dynamic_stack 0
		.amdhsa_system_sgpr_private_segment_wavefront_offset 0
		.amdhsa_system_sgpr_workgroup_id_x 1
		.amdhsa_system_sgpr_workgroup_id_y 0
		.amdhsa_system_sgpr_workgroup_id_z 0
		.amdhsa_system_sgpr_workgroup_info 0
		.amdhsa_system_vgpr_workitem_id 0
		.amdhsa_next_free_vgpr 5
		.amdhsa_next_free_sgpr 12
		.amdhsa_accum_offset 8
		.amdhsa_reserve_vcc 1
		.amdhsa_reserve_flat_scratch 0
		.amdhsa_float_round_mode_32 0
		.amdhsa_float_round_mode_16_64 0
		.amdhsa_float_denorm_mode_32 3
		.amdhsa_float_denorm_mode_16_64 3
		.amdhsa_dx10_clamp 1
		.amdhsa_ieee_mode 1
		.amdhsa_fp16_overflow 0
		.amdhsa_tg_split 0
		.amdhsa_exception_fp_ieee_invalid_op 0
		.amdhsa_exception_fp_denorm_src 0
		.amdhsa_exception_fp_ieee_div_zero 0
		.amdhsa_exception_fp_ieee_overflow 0
		.amdhsa_exception_fp_ieee_underflow 0
		.amdhsa_exception_fp_ieee_inexact 0
		.amdhsa_exception_int_div_zero 0
	.end_amdhsa_kernel
	.section	.text._ZN5aiter28grouped_topk_opt_sort_kernelIN3c108BFloat16EDv1_fLi1ELb0ELb1ELb0EEEvPT_PKS4_PfPimiiiif,"axG",@progbits,_ZN5aiter28grouped_topk_opt_sort_kernelIN3c108BFloat16EDv1_fLi1ELb0ELb1ELb0EEEvPT_PKS4_PfPimiiiif,comdat
.Lfunc_end279:
	.size	_ZN5aiter28grouped_topk_opt_sort_kernelIN3c108BFloat16EDv1_fLi1ELb0ELb1ELb0EEEvPT_PKS4_PfPimiiiif, .Lfunc_end279-_ZN5aiter28grouped_topk_opt_sort_kernelIN3c108BFloat16EDv1_fLi1ELb0ELb1ELb0EEEvPT_PKS4_PfPimiiiif
                                        ; -- End function
	.section	.AMDGPU.csdata,"",@progbits
; Kernel info:
; codeLenInByte = 676
; NumSgprs: 16
; NumVgprs: 5
; NumAgprs: 0
; TotalNumVgprs: 5
; ScratchSize: 0
; MemoryBound: 0
; FloatMode: 240
; IeeeMode: 1
; LDSByteSize: 0 bytes/workgroup (compile time only)
; SGPRBlocks: 1
; VGPRBlocks: 0
; NumSGPRsForWavesPerEU: 16
; NumVGPRsForWavesPerEU: 5
; AccumOffset: 8
; Occupancy: 8
; WaveLimiterHint : 0
; COMPUTE_PGM_RSRC2:SCRATCH_EN: 0
; COMPUTE_PGM_RSRC2:USER_SGPR: 6
; COMPUTE_PGM_RSRC2:TRAP_HANDLER: 0
; COMPUTE_PGM_RSRC2:TGID_X_EN: 1
; COMPUTE_PGM_RSRC2:TGID_Y_EN: 0
; COMPUTE_PGM_RSRC2:TGID_Z_EN: 0
; COMPUTE_PGM_RSRC2:TIDIG_COMP_CNT: 0
; COMPUTE_PGM_RSRC3_GFX90A:ACCUM_OFFSET: 1
; COMPUTE_PGM_RSRC3_GFX90A:TG_SPLIT: 0
	.section	.text._ZN5aiter19grouped_topk_kernelIfDv1_fLi1ELb0ELb1ELb0EEEvPT_PKS2_PfPimiiiif,"axG",@progbits,_ZN5aiter19grouped_topk_kernelIfDv1_fLi1ELb0ELb1ELb0EEEvPT_PKS2_PfPimiiiif,comdat
	.protected	_ZN5aiter19grouped_topk_kernelIfDv1_fLi1ELb0ELb1ELb0EEEvPT_PKS2_PfPimiiiif ; -- Begin function _ZN5aiter19grouped_topk_kernelIfDv1_fLi1ELb0ELb1ELb0EEEvPT_PKS2_PfPimiiiif
	.globl	_ZN5aiter19grouped_topk_kernelIfDv1_fLi1ELb0ELb1ELb0EEEvPT_PKS2_PfPimiiiif
	.p2align	8
	.type	_ZN5aiter19grouped_topk_kernelIfDv1_fLi1ELb0ELb1ELb0EEEvPT_PKS2_PfPimiiiif,@function
_ZN5aiter19grouped_topk_kernelIfDv1_fLi1ELb0ELb1ELb0EEEvPT_PKS2_PfPimiiiif: ; @_ZN5aiter19grouped_topk_kernelIfDv1_fLi1ELb0ELb1ELb0EEEvPT_PKS2_PfPimiiiif
; %bb.0:
	s_load_dwordx2 s[2:3], s[4:5], 0x28
	s_load_dwordx4 s[8:11], s[4:5], 0x8
	s_load_dwordx2 s[12:13], s[4:5], 0x18
	v_lshl_add_u32 v1, v0, 2, 0
	s_waitcnt lgkmcnt(0)
	v_cmp_gt_i32_e64 s[0:1], s2, v0
	s_and_saveexec_b64 s[14:15], s[0:1]
	s_cbranch_execz .LBB280_3
; %bb.1:
	s_load_dwordx2 s[16:17], s[4:5], 0x0
	s_load_dword s20, s[4:5], 0x4c
	s_mul_i32 s18, s6, s2
	s_ashr_i32 s19, s18, 31
	s_lshl_b64 s[18:19], s[18:19], 2
	s_waitcnt lgkmcnt(0)
	s_add_u32 s7, s16, s18
	s_addc_u32 s21, s17, s19
	s_and_b32 s18, s20, 0xffff
	v_lshl_add_u32 v4, v0, 2, 0
	s_lshl_b32 s19, s18, 2
	s_mov_b64 s[16:17], 0
	v_mov_b32_e32 v5, s21
	v_mov_b32_e32 v6, s9
	s_mov_b32 s20, 0xbfb8aa3b
	s_mov_b32 s21, 0x42ce8ed0
	;; [unrolled: 1-line block ×3, first 2 shown]
	v_mov_b32_e32 v7, 0x7f800000
	v_mov_b32_e32 v2, v0
.LBB280_2:                              ; =>This Inner Loop Header: Depth=1
	v_ashrrev_i32_e32 v3, 31, v2
	v_lshlrev_b64 v[8:9], 2, v[2:3]
	v_add_co_u32_e32 v10, vcc, s7, v8
	v_addc_co_u32_e32 v11, vcc, v5, v9, vcc
	global_load_dword v3, v[10:11], off
	v_add_co_u32_e32 v8, vcc, s8, v8
	v_addc_co_u32_e32 v9, vcc, v6, v9, vcc
	global_load_dword v8, v[8:9], off
	v_add_u32_e32 v2, s18, v2
	v_cmp_le_i32_e32 vcc, s2, v2
	s_or_b64 s[16:17], vcc, s[16:17]
	s_waitcnt vmcnt(1)
	v_mul_f32_e32 v9, 0xbfb8aa3b, v3
	v_fma_f32 v10, v3, s20, -v9
	v_rndne_f32_e32 v11, v9
	v_fmac_f32_e32 v10, 0xb2a5705f, v3
	v_sub_f32_e32 v9, v9, v11
	v_add_f32_e32 v9, v9, v10
	v_cvt_i32_f32_e32 v11, v11
	v_exp_f32_e32 v9, v9
	v_cmp_nlt_f32_e32 vcc, s21, v3
	v_ldexp_f32 v9, v9, v11
	v_cndmask_b32_e32 v9, 0, v9, vcc
	v_cmp_ngt_f32_e32 vcc, s22, v3
	v_cndmask_b32_e32 v3, v7, v9, vcc
	v_add_f32_e32 v3, 1.0, v3
	v_div_scale_f32 v9, s[24:25], v3, v3, 1.0
	v_rcp_f32_e32 v10, v9
	v_div_scale_f32 v11, vcc, 1.0, v3, 1.0
	v_fma_f32 v12, -v9, v10, 1.0
	v_fmac_f32_e32 v10, v12, v10
	v_mul_f32_e32 v12, v11, v10
	v_fma_f32 v13, -v9, v12, v11
	v_fmac_f32_e32 v12, v13, v10
	v_fma_f32 v9, -v9, v12, v11
	v_div_fmas_f32 v9, v9, v10, v12
	v_div_fixup_f32 v3, v9, v3, 1.0
	s_waitcnt vmcnt(0)
	v_add_f32_e32 v3, v8, v3
	ds_write_b32 v4, v3
	v_add_u32_e32 v4, s19, v4
	s_andn2_b64 exec, exec, s[16:17]
	s_cbranch_execnz .LBB280_2
.LBB280_3:
	s_or_b64 exec, exec, s[14:15]
	s_cmp_lt_i32 s3, 1
	s_waitcnt lgkmcnt(0)
	s_barrier
	s_cbranch_scc1 .LBB280_10
; %bb.4:
	s_add_u32 s14, s4, 64
	s_addc_u32 s15, s5, 0
	s_mov_b32 s7, 0
	v_mov_b32_e32 v4, 0xff800000
                                        ; implicit-def: $vgpr3
                                        ; implicit-def: $vgpr2
	s_branch .LBB280_6
.LBB280_5:                              ;   in Loop: Header=BB280_6 Depth=1
	s_or_b64 exec, exec, s[16:17]
	v_mov_b32_dpp v8, v6 quad_perm:[1,0,3,2] row_mask:0xf bank_mask:0xf
	v_cmp_lt_f32_e32 vcc, v6, v8
	v_cndmask_b32_e32 v6, v6, v8, vcc
	v_mov_b32_dpp v7, v5 quad_perm:[1,0,3,2] row_mask:0xf bank_mask:0xf
	v_cndmask_b32_e32 v5, v5, v7, vcc
	v_mov_b32_dpp v8, v6 quad_perm:[2,3,0,1] row_mask:0xf bank_mask:0xf
	v_cmp_gt_f32_e32 vcc, v8, v6
	v_cndmask_b32_e32 v6, v6, v8, vcc
	v_mov_b32_dpp v7, v5 quad_perm:[2,3,0,1] row_mask:0xf bank_mask:0xf
	v_cndmask_b32_e32 v5, v5, v7, vcc
	v_mov_b32_dpp v8, v6 row_half_mirror row_mask:0xf bank_mask:0xf
	v_cmp_gt_f32_e32 vcc, v8, v6
	v_cndmask_b32_e32 v6, v6, v8, vcc
	v_mov_b32_dpp v7, v5 row_half_mirror row_mask:0xf bank_mask:0xf
	v_cndmask_b32_e32 v5, v5, v7, vcc
	v_mov_b32_dpp v8, v6 row_mirror row_mask:0xf bank_mask:0xf
	v_cmp_gt_f32_e32 vcc, v8, v6
	v_cndmask_b32_e32 v6, v6, v8, vcc
	v_mov_b32_dpp v7, v5 row_mirror row_mask:0xf bank_mask:0xf
	v_cndmask_b32_e32 v5, v5, v7, vcc
	v_mov_b32_dpp v8, v6 row_bcast:15 row_mask:0xf bank_mask:0xf
	v_cmp_gt_f32_e32 vcc, v8, v6
	v_mov_b32_dpp v7, v5 row_bcast:15 row_mask:0xf bank_mask:0xf
	v_cndmask_b32_e32 v6, v6, v8, vcc
	v_cndmask_b32_e32 v5, v5, v7, vcc
	s_nop 0
	v_mov_b32_dpp v8, v6 row_bcast:31 row_mask:0xf bank_mask:0xf
	v_mov_b32_dpp v7, v5 row_bcast:31 row_mask:0xf bank_mask:0xf
	v_cmp_gt_f32_e32 vcc, v8, v6
	v_cndmask_b32_e32 v5, v5, v7, vcc
	v_readlane_b32 s16, v5, 63
	s_ashr_i32 s17, s16, 31
	s_lshl_b64 s[18:19], s[16:17], 2
	s_add_u32 s18, s8, s18
	s_addc_u32 s19, s9, s19
	s_load_dword s17, s[18:19], 0x0
	v_cndmask_b32_e32 v5, v6, v8, vcc
	v_readlane_b32 s18, v5, 63
	v_cmp_eq_u32_e32 vcc, s7, v0
	s_add_i32 s7, s7, 1
	s_waitcnt lgkmcnt(0)
	v_mov_b32_e32 v5, s17
	s_lshl_b32 s17, s16, 2
	s_add_i32 s17, s17, 0
	v_mov_b32_e32 v6, s17
	v_sub_f32_e32 v5, s18, v5
	ds_write_b32 v6, v4
	v_mov_b32_e32 v6, s16
	v_cndmask_b32_e32 v2, v2, v6, vcc
	s_cmp_eq_u32 s7, s3
	v_cndmask_b32_e32 v3, v3, v5, vcc
	s_cbranch_scc1 .LBB280_11
.LBB280_6:                              ; =>This Loop Header: Depth=1
                                        ;     Child Loop BB280_8 Depth 2
	v_mov_b32_e32 v5, s7
	v_mov_b32_e32 v6, 0xff800000
	s_and_saveexec_b64 s[16:17], s[0:1]
	s_cbranch_execz .LBB280_5
; %bb.7:                                ;   in Loop: Header=BB280_6 Depth=1
	s_load_dword s20, s[14:15], 0xc
	s_mov_b64 s[18:19], 0
	v_mov_b32_e32 v5, s7
	v_mov_b32_e32 v6, 0xff800000
	;; [unrolled: 1-line block ×3, first 2 shown]
	s_waitcnt lgkmcnt(0)
	s_and_b32 s20, s20, 0xffff
	s_lshl_b32 s21, s20, 2
	v_mov_b32_e32 v8, v0
.LBB280_8:                              ;   Parent Loop BB280_6 Depth=1
                                        ; =>  This Inner Loop Header: Depth=2
	ds_read_b32 v9, v7
	v_add_u32_e32 v7, s21, v7
	s_waitcnt lgkmcnt(0)
	v_cmp_gt_f32_e32 vcc, v9, v6
	v_cndmask_b32_e32 v5, v5, v8, vcc
	v_add_u32_e32 v8, s20, v8
	v_cndmask_b32_e32 v6, v6, v9, vcc
	v_cmp_le_i32_e32 vcc, s2, v8
	s_or_b64 s[18:19], vcc, s[18:19]
	s_andn2_b64 exec, exec, s[18:19]
	s_cbranch_execnz .LBB280_8
; %bb.9:                                ;   in Loop: Header=BB280_6 Depth=1
	s_or_b64 exec, exec, s[18:19]
	s_branch .LBB280_5
.LBB280_10:
                                        ; implicit-def: $vgpr3
                                        ; implicit-def: $vgpr2
.LBB280_11:
	v_cmp_gt_i32_e32 vcc, s3, v0
	s_and_saveexec_b64 s[0:1], vcc
	s_cbranch_execz .LBB280_14
; %bb.12:
	s_load_dword s2, s[4:5], 0x38
	s_load_dwordx2 s[0:1], s[4:5], 0x20
	s_ashr_i32 s7, s6, 31
	s_load_dword s4, s[4:5], 0x4c
	v_mov_b32_e32 v4, s11
	s_waitcnt lgkmcnt(0)
	v_mul_f32_e32 v1, s2, v3
	s_mul_i32 s1, s6, s1
	s_mul_hi_u32 s2, s6, s0
	s_add_i32 s1, s2, s1
	s_mul_i32 s7, s7, s0
	s_add_i32 s5, s1, s7
	s_mul_i32 s2, s6, s0
	s_and_b32 s4, s4, 0xffff
	s_mov_b64 s[0:1], 0
	v_mov_b32_e32 v3, s5
	v_mov_b32_e32 v5, s13
.LBB280_13:                             ; =>This Inner Loop Header: Depth=1
	v_ashrrev_i32_e32 v7, 31, v0
	v_add_co_u32_e32 v6, vcc, s2, v0
	v_addc_co_u32_e32 v7, vcc, v3, v7, vcc
	v_add_u32_e32 v0, s4, v0
	v_cmp_le_i32_e32 vcc, s3, v0
	v_lshlrev_b64 v[6:7], 2, v[6:7]
	s_or_b64 s[0:1], vcc, s[0:1]
	v_add_co_u32_e32 v8, vcc, s10, v6
	v_addc_co_u32_e32 v9, vcc, v4, v7, vcc
	v_add_co_u32_e32 v6, vcc, s12, v6
	v_addc_co_u32_e32 v7, vcc, v5, v7, vcc
	global_store_dword v[8:9], v1, off
	global_store_dword v[6:7], v2, off
	s_andn2_b64 exec, exec, s[0:1]
	s_cbranch_execnz .LBB280_13
.LBB280_14:
	s_endpgm
	.section	.rodata,"a",@progbits
	.p2align	6, 0x0
	.amdhsa_kernel _ZN5aiter19grouped_topk_kernelIfDv1_fLi1ELb0ELb1ELb0EEEvPT_PKS2_PfPimiiiif
		.amdhsa_group_segment_fixed_size 0
		.amdhsa_private_segment_fixed_size 0
		.amdhsa_kernarg_size 320
		.amdhsa_user_sgpr_count 6
		.amdhsa_user_sgpr_private_segment_buffer 1
		.amdhsa_user_sgpr_dispatch_ptr 0
		.amdhsa_user_sgpr_queue_ptr 0
		.amdhsa_user_sgpr_kernarg_segment_ptr 1
		.amdhsa_user_sgpr_dispatch_id 0
		.amdhsa_user_sgpr_flat_scratch_init 0
		.amdhsa_user_sgpr_kernarg_preload_length 0
		.amdhsa_user_sgpr_kernarg_preload_offset 0
		.amdhsa_user_sgpr_private_segment_size 0
		.amdhsa_uses_dynamic_stack 0
		.amdhsa_system_sgpr_private_segment_wavefront_offset 0
		.amdhsa_system_sgpr_workgroup_id_x 1
		.amdhsa_system_sgpr_workgroup_id_y 0
		.amdhsa_system_sgpr_workgroup_id_z 0
		.amdhsa_system_sgpr_workgroup_info 0
		.amdhsa_system_vgpr_workitem_id 0
		.amdhsa_next_free_vgpr 14
		.amdhsa_next_free_sgpr 26
		.amdhsa_accum_offset 16
		.amdhsa_reserve_vcc 1
		.amdhsa_reserve_flat_scratch 0
		.amdhsa_float_round_mode_32 0
		.amdhsa_float_round_mode_16_64 0
		.amdhsa_float_denorm_mode_32 3
		.amdhsa_float_denorm_mode_16_64 3
		.amdhsa_dx10_clamp 1
		.amdhsa_ieee_mode 1
		.amdhsa_fp16_overflow 0
		.amdhsa_tg_split 0
		.amdhsa_exception_fp_ieee_invalid_op 0
		.amdhsa_exception_fp_denorm_src 0
		.amdhsa_exception_fp_ieee_div_zero 0
		.amdhsa_exception_fp_ieee_overflow 0
		.amdhsa_exception_fp_ieee_underflow 0
		.amdhsa_exception_fp_ieee_inexact 0
		.amdhsa_exception_int_div_zero 0
	.end_amdhsa_kernel
	.section	.text._ZN5aiter19grouped_topk_kernelIfDv1_fLi1ELb0ELb1ELb0EEEvPT_PKS2_PfPimiiiif,"axG",@progbits,_ZN5aiter19grouped_topk_kernelIfDv1_fLi1ELb0ELb1ELb0EEEvPT_PKS2_PfPimiiiif,comdat
.Lfunc_end280:
	.size	_ZN5aiter19grouped_topk_kernelIfDv1_fLi1ELb0ELb1ELb0EEEvPT_PKS2_PfPimiiiif, .Lfunc_end280-_ZN5aiter19grouped_topk_kernelIfDv1_fLi1ELb0ELb1ELb0EEEvPT_PKS2_PfPimiiiif
                                        ; -- End function
	.section	.AMDGPU.csdata,"",@progbits
; Kernel info:
; codeLenInByte = 1008
; NumSgprs: 30
; NumVgprs: 14
; NumAgprs: 0
; TotalNumVgprs: 14
; ScratchSize: 0
; MemoryBound: 0
; FloatMode: 240
; IeeeMode: 1
; LDSByteSize: 0 bytes/workgroup (compile time only)
; SGPRBlocks: 3
; VGPRBlocks: 1
; NumSGPRsForWavesPerEU: 30
; NumVGPRsForWavesPerEU: 14
; AccumOffset: 16
; Occupancy: 8
; WaveLimiterHint : 0
; COMPUTE_PGM_RSRC2:SCRATCH_EN: 0
; COMPUTE_PGM_RSRC2:USER_SGPR: 6
; COMPUTE_PGM_RSRC2:TRAP_HANDLER: 0
; COMPUTE_PGM_RSRC2:TGID_X_EN: 1
; COMPUTE_PGM_RSRC2:TGID_Y_EN: 0
; COMPUTE_PGM_RSRC2:TGID_Z_EN: 0
; COMPUTE_PGM_RSRC2:TIDIG_COMP_CNT: 0
; COMPUTE_PGM_RSRC3_GFX90A:ACCUM_OFFSET: 3
; COMPUTE_PGM_RSRC3_GFX90A:TG_SPLIT: 0
	.section	.text._ZN5aiter19grouped_topk_kernelIN3c104HalfEDv1_fLi1ELb0ELb1ELb0EEEvPT_PKS4_PfPimiiiif,"axG",@progbits,_ZN5aiter19grouped_topk_kernelIN3c104HalfEDv1_fLi1ELb0ELb1ELb0EEEvPT_PKS4_PfPimiiiif,comdat
	.protected	_ZN5aiter19grouped_topk_kernelIN3c104HalfEDv1_fLi1ELb0ELb1ELb0EEEvPT_PKS4_PfPimiiiif ; -- Begin function _ZN5aiter19grouped_topk_kernelIN3c104HalfEDv1_fLi1ELb0ELb1ELb0EEEvPT_PKS4_PfPimiiiif
	.globl	_ZN5aiter19grouped_topk_kernelIN3c104HalfEDv1_fLi1ELb0ELb1ELb0EEEvPT_PKS4_PfPimiiiif
	.p2align	8
	.type	_ZN5aiter19grouped_topk_kernelIN3c104HalfEDv1_fLi1ELb0ELb1ELb0EEEvPT_PKS4_PfPimiiiif,@function
_ZN5aiter19grouped_topk_kernelIN3c104HalfEDv1_fLi1ELb0ELb1ELb0EEEvPT_PKS4_PfPimiiiif: ; @_ZN5aiter19grouped_topk_kernelIN3c104HalfEDv1_fLi1ELb0ELb1ELb0EEEvPT_PKS4_PfPimiiiif
; %bb.0:
	s_load_dwordx2 s[2:3], s[4:5], 0x28
	s_load_dwordx4 s[8:11], s[4:5], 0x8
	s_load_dwordx2 s[12:13], s[4:5], 0x18
	v_lshl_add_u32 v1, v0, 2, 0
	s_waitcnt lgkmcnt(0)
	v_cmp_gt_i32_e64 s[0:1], s2, v0
	s_and_saveexec_b64 s[14:15], s[0:1]
	s_cbranch_execz .LBB281_3
; %bb.1:
	s_load_dwordx2 s[16:17], s[4:5], 0x0
	s_load_dword s20, s[4:5], 0x4c
	s_mul_i32 s18, s6, s2
	s_ashr_i32 s19, s18, 31
	s_lshl_b64 s[18:19], s[18:19], 1
	s_waitcnt lgkmcnt(0)
	s_add_u32 s7, s16, s18
	s_addc_u32 s21, s17, s19
	s_and_b32 s18, s20, 0xffff
	v_lshl_add_u32 v4, v0, 2, 0
	s_lshl_b32 s19, s18, 2
	s_mov_b64 s[16:17], 0
	v_mov_b32_e32 v5, s21
	v_mov_b32_e32 v6, s9
	s_mov_b32 s20, 0x3fb8aa3b
	s_mov_b32 s21, 0x32a5705f
	;; [unrolled: 1-line block ×4, first 2 shown]
	v_mov_b32_e32 v7, 0x7f800000
	v_mov_b32_e32 v2, v0
.LBB281_2:                              ; =>This Inner Loop Header: Depth=1
	v_ashrrev_i32_e32 v3, 31, v2
	v_lshlrev_b64 v[8:9], 1, v[2:3]
	v_add_co_u32_e32 v10, vcc, s7, v8
	v_addc_co_u32_e32 v11, vcc, v5, v9, vcc
	v_add_co_u32_e32 v8, vcc, s8, v8
	v_addc_co_u32_e32 v9, vcc, v6, v9, vcc
	global_load_ushort v3, v[10:11], off
	global_load_ushort v12, v[8:9], off
	v_add_u32_e32 v2, s18, v2
	v_cmp_le_i32_e32 vcc, s2, v2
	s_or_b64 s[16:17], vcc, s[16:17]
	s_waitcnt vmcnt(1)
	v_cvt_f32_f16_e64 v8, -v3
	s_waitcnt vmcnt(0)
	v_cvt_f32_f16_e32 v9, v12
	v_mul_f32_e32 v10, 0x3fb8aa3b, v8
	v_fma_mix_f32 v11, -v3, s20, -v10 op_sel_hi:[1,0,0]
	v_rndne_f32_e32 v12, v10
	v_fma_mix_f32 v3, -v3, s21, v11 op_sel_hi:[1,0,0]
	v_sub_f32_e32 v10, v10, v12
	v_add_f32_e32 v3, v10, v3
	v_cvt_i32_f32_e32 v11, v12
	v_exp_f32_e32 v3, v3
	v_cmp_ngt_f32_e32 vcc, s22, v8
	v_ldexp_f32 v3, v3, v11
	v_cndmask_b32_e32 v3, 0, v3, vcc
	v_cmp_nlt_f32_e32 vcc, s23, v8
	v_cndmask_b32_e32 v3, v7, v3, vcc
	v_add_f32_e32 v3, 1.0, v3
	v_div_scale_f32 v8, s[24:25], v3, v3, 1.0
	v_rcp_f32_e32 v10, v8
	v_div_scale_f32 v11, vcc, 1.0, v3, 1.0
	v_fma_f32 v12, -v8, v10, 1.0
	v_fmac_f32_e32 v10, v12, v10
	v_mul_f32_e32 v12, v11, v10
	v_fma_f32 v13, -v8, v12, v11
	v_fmac_f32_e32 v12, v13, v10
	v_fma_f32 v8, -v8, v12, v11
	v_div_fmas_f32 v8, v8, v10, v12
	v_div_fixup_f32 v3, v8, v3, 1.0
	v_add_f32_e32 v3, v3, v9
	ds_write_b32 v4, v3
	v_add_u32_e32 v4, s19, v4
	s_andn2_b64 exec, exec, s[16:17]
	s_cbranch_execnz .LBB281_2
.LBB281_3:
	s_or_b64 exec, exec, s[14:15]
	s_cmp_lt_i32 s3, 1
	s_waitcnt lgkmcnt(0)
	s_barrier
	s_cbranch_scc1 .LBB281_10
; %bb.4:
	s_add_u32 s14, s4, 64
	s_addc_u32 s15, s5, 0
	s_mov_b32 s7, 0
	v_mov_b32_e32 v4, 0
	v_mov_b32_e32 v5, 0xff800000
                                        ; implicit-def: $vgpr3
                                        ; implicit-def: $vgpr2
	s_branch .LBB281_6
.LBB281_5:                              ;   in Loop: Header=BB281_6 Depth=1
	s_or_b64 exec, exec, s[16:17]
	v_mov_b32_dpp v9, v7 quad_perm:[1,0,3,2] row_mask:0xf bank_mask:0xf
	v_cmp_lt_f32_e32 vcc, v7, v9
	v_cndmask_b32_e32 v7, v7, v9, vcc
	v_mov_b32_dpp v8, v6 quad_perm:[1,0,3,2] row_mask:0xf bank_mask:0xf
	v_cndmask_b32_e32 v6, v6, v8, vcc
	v_mov_b32_dpp v9, v7 quad_perm:[2,3,0,1] row_mask:0xf bank_mask:0xf
	v_cmp_gt_f32_e32 vcc, v9, v7
	v_cndmask_b32_e32 v7, v7, v9, vcc
	v_mov_b32_dpp v8, v6 quad_perm:[2,3,0,1] row_mask:0xf bank_mask:0xf
	v_cndmask_b32_e32 v6, v6, v8, vcc
	v_mov_b32_dpp v9, v7 row_half_mirror row_mask:0xf bank_mask:0xf
	v_cmp_gt_f32_e32 vcc, v9, v7
	v_cndmask_b32_e32 v7, v7, v9, vcc
	v_mov_b32_dpp v8, v6 row_half_mirror row_mask:0xf bank_mask:0xf
	v_cndmask_b32_e32 v6, v6, v8, vcc
	v_mov_b32_dpp v9, v7 row_mirror row_mask:0xf bank_mask:0xf
	v_cmp_gt_f32_e32 vcc, v9, v7
	v_cndmask_b32_e32 v7, v7, v9, vcc
	v_mov_b32_dpp v8, v6 row_mirror row_mask:0xf bank_mask:0xf
	v_cndmask_b32_e32 v6, v6, v8, vcc
	v_mov_b32_dpp v9, v7 row_bcast:15 row_mask:0xf bank_mask:0xf
	v_cmp_gt_f32_e32 vcc, v9, v7
	v_mov_b32_dpp v8, v6 row_bcast:15 row_mask:0xf bank_mask:0xf
	v_cndmask_b32_e32 v7, v7, v9, vcc
	v_cndmask_b32_e32 v6, v6, v8, vcc
	s_nop 0
	v_mov_b32_dpp v9, v7 row_bcast:31 row_mask:0xf bank_mask:0xf
	v_mov_b32_dpp v8, v6 row_bcast:31 row_mask:0xf bank_mask:0xf
	v_cmp_gt_f32_e32 vcc, v9, v7
	v_cndmask_b32_e32 v6, v6, v8, vcc
	v_readlane_b32 s16, v6, 63
	s_ashr_i32 s17, s16, 31
	s_lshl_b64 s[18:19], s[16:17], 1
	s_add_u32 s18, s8, s18
	s_addc_u32 s19, s9, s19
	global_load_ushort v6, v4, s[18:19]
	v_cndmask_b32_e32 v7, v7, v9, vcc
	v_readlane_b32 s17, v7, 63
	v_mov_b32_e32 v7, s16
	s_lshl_b32 s16, s16, 2
	v_cmp_eq_u32_e32 vcc, s7, v0
	s_add_i32 s7, s7, 1
	s_add_i32 s16, s16, 0
	v_cndmask_b32_e32 v2, v2, v7, vcc
	v_mov_b32_e32 v7, s16
	s_cmp_eq_u32 s7, s3
	ds_write_b32 v7, v5
	s_waitcnt vmcnt(0)
	v_cvt_f32_f16_e32 v6, v6
	v_sub_f32_e32 v6, s17, v6
	v_cndmask_b32_e32 v3, v3, v6, vcc
	s_cbranch_scc1 .LBB281_11
.LBB281_6:                              ; =>This Loop Header: Depth=1
                                        ;     Child Loop BB281_8 Depth 2
	v_mov_b32_e32 v6, s7
	v_mov_b32_e32 v7, 0xff800000
	s_and_saveexec_b64 s[16:17], s[0:1]
	s_cbranch_execz .LBB281_5
; %bb.7:                                ;   in Loop: Header=BB281_6 Depth=1
	s_load_dword s20, s[14:15], 0xc
	s_mov_b64 s[18:19], 0
	v_mov_b32_e32 v6, s7
	v_mov_b32_e32 v7, 0xff800000
	;; [unrolled: 1-line block ×3, first 2 shown]
	s_waitcnt lgkmcnt(0)
	s_and_b32 s20, s20, 0xffff
	s_lshl_b32 s21, s20, 2
	v_mov_b32_e32 v9, v0
.LBB281_8:                              ;   Parent Loop BB281_6 Depth=1
                                        ; =>  This Inner Loop Header: Depth=2
	ds_read_b32 v10, v8
	v_add_u32_e32 v8, s21, v8
	s_waitcnt lgkmcnt(0)
	v_cmp_gt_f32_e32 vcc, v10, v7
	v_cndmask_b32_e32 v6, v6, v9, vcc
	v_add_u32_e32 v9, s20, v9
	v_cndmask_b32_e32 v7, v7, v10, vcc
	v_cmp_le_i32_e32 vcc, s2, v9
	s_or_b64 s[18:19], vcc, s[18:19]
	s_andn2_b64 exec, exec, s[18:19]
	s_cbranch_execnz .LBB281_8
; %bb.9:                                ;   in Loop: Header=BB281_6 Depth=1
	s_or_b64 exec, exec, s[18:19]
	s_branch .LBB281_5
.LBB281_10:
                                        ; implicit-def: $vgpr3
                                        ; implicit-def: $vgpr2
.LBB281_11:
	v_cmp_gt_i32_e32 vcc, s3, v0
	s_and_saveexec_b64 s[0:1], vcc
	s_cbranch_execz .LBB281_14
; %bb.12:
	s_load_dword s2, s[4:5], 0x38
	s_load_dwordx2 s[0:1], s[4:5], 0x20
	s_ashr_i32 s7, s6, 31
	s_load_dword s4, s[4:5], 0x4c
	v_mov_b32_e32 v4, s11
	s_waitcnt lgkmcnt(0)
	v_mul_f32_e32 v1, s2, v3
	s_mul_i32 s1, s6, s1
	s_mul_hi_u32 s2, s6, s0
	s_add_i32 s1, s2, s1
	s_mul_i32 s7, s7, s0
	s_add_i32 s5, s1, s7
	s_mul_i32 s2, s6, s0
	s_and_b32 s4, s4, 0xffff
	s_mov_b64 s[0:1], 0
	v_mov_b32_e32 v3, s5
	v_mov_b32_e32 v5, s13
.LBB281_13:                             ; =>This Inner Loop Header: Depth=1
	v_ashrrev_i32_e32 v7, 31, v0
	v_add_co_u32_e32 v6, vcc, s2, v0
	v_addc_co_u32_e32 v7, vcc, v3, v7, vcc
	v_add_u32_e32 v0, s4, v0
	v_cmp_le_i32_e32 vcc, s3, v0
	v_lshlrev_b64 v[6:7], 2, v[6:7]
	s_or_b64 s[0:1], vcc, s[0:1]
	v_add_co_u32_e32 v8, vcc, s10, v6
	v_addc_co_u32_e32 v9, vcc, v4, v7, vcc
	v_add_co_u32_e32 v6, vcc, s12, v6
	v_addc_co_u32_e32 v7, vcc, v5, v7, vcc
	global_store_dword v[8:9], v1, off
	global_store_dword v[6:7], v2, off
	s_andn2_b64 exec, exec, s[0:1]
	s_cbranch_execnz .LBB281_13
.LBB281_14:
	s_endpgm
	.section	.rodata,"a",@progbits
	.p2align	6, 0x0
	.amdhsa_kernel _ZN5aiter19grouped_topk_kernelIN3c104HalfEDv1_fLi1ELb0ELb1ELb0EEEvPT_PKS4_PfPimiiiif
		.amdhsa_group_segment_fixed_size 0
		.amdhsa_private_segment_fixed_size 0
		.amdhsa_kernarg_size 320
		.amdhsa_user_sgpr_count 6
		.amdhsa_user_sgpr_private_segment_buffer 1
		.amdhsa_user_sgpr_dispatch_ptr 0
		.amdhsa_user_sgpr_queue_ptr 0
		.amdhsa_user_sgpr_kernarg_segment_ptr 1
		.amdhsa_user_sgpr_dispatch_id 0
		.amdhsa_user_sgpr_flat_scratch_init 0
		.amdhsa_user_sgpr_kernarg_preload_length 0
		.amdhsa_user_sgpr_kernarg_preload_offset 0
		.amdhsa_user_sgpr_private_segment_size 0
		.amdhsa_uses_dynamic_stack 0
		.amdhsa_system_sgpr_private_segment_wavefront_offset 0
		.amdhsa_system_sgpr_workgroup_id_x 1
		.amdhsa_system_sgpr_workgroup_id_y 0
		.amdhsa_system_sgpr_workgroup_id_z 0
		.amdhsa_system_sgpr_workgroup_info 0
		.amdhsa_system_vgpr_workitem_id 0
		.amdhsa_next_free_vgpr 14
		.amdhsa_next_free_sgpr 26
		.amdhsa_accum_offset 16
		.amdhsa_reserve_vcc 1
		.amdhsa_reserve_flat_scratch 0
		.amdhsa_float_round_mode_32 0
		.amdhsa_float_round_mode_16_64 0
		.amdhsa_float_denorm_mode_32 3
		.amdhsa_float_denorm_mode_16_64 3
		.amdhsa_dx10_clamp 1
		.amdhsa_ieee_mode 1
		.amdhsa_fp16_overflow 0
		.amdhsa_tg_split 0
		.amdhsa_exception_fp_ieee_invalid_op 0
		.amdhsa_exception_fp_denorm_src 0
		.amdhsa_exception_fp_ieee_div_zero 0
		.amdhsa_exception_fp_ieee_overflow 0
		.amdhsa_exception_fp_ieee_underflow 0
		.amdhsa_exception_fp_ieee_inexact 0
		.amdhsa_exception_int_div_zero 0
	.end_amdhsa_kernel
	.section	.text._ZN5aiter19grouped_topk_kernelIN3c104HalfEDv1_fLi1ELb0ELb1ELb0EEEvPT_PKS4_PfPimiiiif,"axG",@progbits,_ZN5aiter19grouped_topk_kernelIN3c104HalfEDv1_fLi1ELb0ELb1ELb0EEEvPT_PKS4_PfPimiiiif,comdat
.Lfunc_end281:
	.size	_ZN5aiter19grouped_topk_kernelIN3c104HalfEDv1_fLi1ELb0ELb1ELb0EEEvPT_PKS4_PfPimiiiif, .Lfunc_end281-_ZN5aiter19grouped_topk_kernelIN3c104HalfEDv1_fLi1ELb0ELb1ELb0EEEvPT_PKS4_PfPimiiiif
                                        ; -- End function
	.section	.AMDGPU.csdata,"",@progbits
; Kernel info:
; codeLenInByte = 1032
; NumSgprs: 30
; NumVgprs: 14
; NumAgprs: 0
; TotalNumVgprs: 14
; ScratchSize: 0
; MemoryBound: 0
; FloatMode: 240
; IeeeMode: 1
; LDSByteSize: 0 bytes/workgroup (compile time only)
; SGPRBlocks: 3
; VGPRBlocks: 1
; NumSGPRsForWavesPerEU: 30
; NumVGPRsForWavesPerEU: 14
; AccumOffset: 16
; Occupancy: 8
; WaveLimiterHint : 0
; COMPUTE_PGM_RSRC2:SCRATCH_EN: 0
; COMPUTE_PGM_RSRC2:USER_SGPR: 6
; COMPUTE_PGM_RSRC2:TRAP_HANDLER: 0
; COMPUTE_PGM_RSRC2:TGID_X_EN: 1
; COMPUTE_PGM_RSRC2:TGID_Y_EN: 0
; COMPUTE_PGM_RSRC2:TGID_Z_EN: 0
; COMPUTE_PGM_RSRC2:TIDIG_COMP_CNT: 0
; COMPUTE_PGM_RSRC3_GFX90A:ACCUM_OFFSET: 3
; COMPUTE_PGM_RSRC3_GFX90A:TG_SPLIT: 0
	.section	.text._ZN5aiter19grouped_topk_kernelIN3c108BFloat16EDv1_fLi1ELb0ELb1ELb0EEEvPT_PKS4_PfPimiiiif,"axG",@progbits,_ZN5aiter19grouped_topk_kernelIN3c108BFloat16EDv1_fLi1ELb0ELb1ELb0EEEvPT_PKS4_PfPimiiiif,comdat
	.protected	_ZN5aiter19grouped_topk_kernelIN3c108BFloat16EDv1_fLi1ELb0ELb1ELb0EEEvPT_PKS4_PfPimiiiif ; -- Begin function _ZN5aiter19grouped_topk_kernelIN3c108BFloat16EDv1_fLi1ELb0ELb1ELb0EEEvPT_PKS4_PfPimiiiif
	.globl	_ZN5aiter19grouped_topk_kernelIN3c108BFloat16EDv1_fLi1ELb0ELb1ELb0EEEvPT_PKS4_PfPimiiiif
	.p2align	8
	.type	_ZN5aiter19grouped_topk_kernelIN3c108BFloat16EDv1_fLi1ELb0ELb1ELb0EEEvPT_PKS4_PfPimiiiif,@function
_ZN5aiter19grouped_topk_kernelIN3c108BFloat16EDv1_fLi1ELb0ELb1ELb0EEEvPT_PKS4_PfPimiiiif: ; @_ZN5aiter19grouped_topk_kernelIN3c108BFloat16EDv1_fLi1ELb0ELb1ELb0EEEvPT_PKS4_PfPimiiiif
; %bb.0:
	s_load_dwordx2 s[2:3], s[4:5], 0x28
	s_load_dwordx4 s[8:11], s[4:5], 0x8
	s_load_dwordx2 s[12:13], s[4:5], 0x18
	v_lshl_add_u32 v1, v0, 2, 0
	s_waitcnt lgkmcnt(0)
	v_cmp_gt_i32_e64 s[0:1], s2, v0
	s_and_saveexec_b64 s[14:15], s[0:1]
	s_cbranch_execz .LBB282_3
; %bb.1:
	s_load_dwordx2 s[16:17], s[4:5], 0x0
	s_load_dword s20, s[4:5], 0x4c
	s_mul_i32 s18, s6, s2
	s_ashr_i32 s19, s18, 31
	s_lshl_b64 s[18:19], s[18:19], 1
	s_waitcnt lgkmcnt(0)
	s_add_u32 s7, s16, s18
	s_addc_u32 s21, s17, s19
	s_and_b32 s18, s20, 0xffff
	v_lshl_add_u32 v4, v0, 2, 0
	s_lshl_b32 s19, s18, 2
	s_mov_b64 s[16:17], 0
	v_mov_b32_e32 v5, s21
	v_mov_b32_e32 v6, s9
	s_mov_b32 s20, 0xbfb8aa3b
	s_mov_b32 s21, 0x42ce8ed0
	s_mov_b32 s22, 0xc2b17218
	v_mov_b32_e32 v7, 0x7f800000
	v_mov_b32_e32 v2, v0
.LBB282_2:                              ; =>This Inner Loop Header: Depth=1
	v_ashrrev_i32_e32 v3, 31, v2
	v_lshlrev_b64 v[8:9], 1, v[2:3]
	v_add_co_u32_e32 v10, vcc, s7, v8
	v_addc_co_u32_e32 v11, vcc, v5, v9, vcc
	v_add_co_u32_e32 v8, vcc, s8, v8
	v_addc_co_u32_e32 v9, vcc, v6, v9, vcc
	global_load_ushort v3, v[10:11], off
	global_load_ushort v12, v[8:9], off
	v_add_u32_e32 v2, s18, v2
	v_cmp_le_i32_e32 vcc, s2, v2
	s_or_b64 s[16:17], vcc, s[16:17]
	s_waitcnt vmcnt(1)
	v_cvt_f32_u32_e32 v3, v3
	s_waitcnt vmcnt(0)
	v_cvt_f32_u32_e32 v8, v12
	v_mul_f32_e32 v9, 0xbfb8aa3b, v3
	v_fma_f32 v10, v3, s20, -v9
	v_rndne_f32_e32 v11, v9
	v_fmac_f32_e32 v10, 0xb2a5705f, v3
	v_sub_f32_e32 v9, v9, v11
	v_add_f32_e32 v9, v9, v10
	v_cvt_i32_f32_e32 v11, v11
	v_exp_f32_e32 v9, v9
	v_cmp_nlt_f32_e32 vcc, s21, v3
	v_ldexp_f32 v9, v9, v11
	v_cndmask_b32_e32 v9, 0, v9, vcc
	v_cmp_ngt_f32_e32 vcc, s22, v3
	v_cndmask_b32_e32 v3, v7, v9, vcc
	v_add_f32_e32 v3, 1.0, v3
	v_div_scale_f32 v9, s[24:25], v3, v3, 1.0
	v_rcp_f32_e32 v10, v9
	v_div_scale_f32 v11, vcc, 1.0, v3, 1.0
	v_fma_f32 v12, -v9, v10, 1.0
	v_fmac_f32_e32 v10, v12, v10
	v_mul_f32_e32 v12, v11, v10
	v_fma_f32 v13, -v9, v12, v11
	v_fmac_f32_e32 v12, v13, v10
	v_fma_f32 v9, -v9, v12, v11
	v_div_fmas_f32 v9, v9, v10, v12
	v_div_fixup_f32 v3, v9, v3, 1.0
	v_add_f32_e32 v3, v3, v8
	ds_write_b32 v4, v3
	v_add_u32_e32 v4, s19, v4
	s_andn2_b64 exec, exec, s[16:17]
	s_cbranch_execnz .LBB282_2
.LBB282_3:
	s_or_b64 exec, exec, s[14:15]
	s_cmp_lt_i32 s3, 1
	s_waitcnt lgkmcnt(0)
	s_barrier
	s_cbranch_scc1 .LBB282_10
; %bb.4:
	s_add_u32 s14, s4, 64
	s_addc_u32 s15, s5, 0
	s_mov_b32 s7, 0
	v_mov_b32_e32 v4, 0
	v_mov_b32_e32 v5, 0xff800000
                                        ; implicit-def: $vgpr3
                                        ; implicit-def: $vgpr2
	s_branch .LBB282_6
.LBB282_5:                              ;   in Loop: Header=BB282_6 Depth=1
	s_or_b64 exec, exec, s[16:17]
	v_mov_b32_dpp v9, v7 quad_perm:[1,0,3,2] row_mask:0xf bank_mask:0xf
	v_cmp_lt_f32_e32 vcc, v7, v9
	v_cndmask_b32_e32 v7, v7, v9, vcc
	v_mov_b32_dpp v8, v6 quad_perm:[1,0,3,2] row_mask:0xf bank_mask:0xf
	v_cndmask_b32_e32 v6, v6, v8, vcc
	v_mov_b32_dpp v9, v7 quad_perm:[2,3,0,1] row_mask:0xf bank_mask:0xf
	v_cmp_gt_f32_e32 vcc, v9, v7
	v_cndmask_b32_e32 v7, v7, v9, vcc
	v_mov_b32_dpp v8, v6 quad_perm:[2,3,0,1] row_mask:0xf bank_mask:0xf
	v_cndmask_b32_e32 v6, v6, v8, vcc
	v_mov_b32_dpp v9, v7 row_half_mirror row_mask:0xf bank_mask:0xf
	v_cmp_gt_f32_e32 vcc, v9, v7
	v_cndmask_b32_e32 v7, v7, v9, vcc
	v_mov_b32_dpp v8, v6 row_half_mirror row_mask:0xf bank_mask:0xf
	v_cndmask_b32_e32 v6, v6, v8, vcc
	v_mov_b32_dpp v9, v7 row_mirror row_mask:0xf bank_mask:0xf
	v_cmp_gt_f32_e32 vcc, v9, v7
	v_cndmask_b32_e32 v7, v7, v9, vcc
	v_mov_b32_dpp v8, v6 row_mirror row_mask:0xf bank_mask:0xf
	v_cndmask_b32_e32 v6, v6, v8, vcc
	v_mov_b32_dpp v9, v7 row_bcast:15 row_mask:0xf bank_mask:0xf
	v_cmp_gt_f32_e32 vcc, v9, v7
	v_mov_b32_dpp v8, v6 row_bcast:15 row_mask:0xf bank_mask:0xf
	v_cndmask_b32_e32 v7, v7, v9, vcc
	v_cndmask_b32_e32 v6, v6, v8, vcc
	s_nop 0
	v_mov_b32_dpp v9, v7 row_bcast:31 row_mask:0xf bank_mask:0xf
	v_mov_b32_dpp v8, v6 row_bcast:31 row_mask:0xf bank_mask:0xf
	v_cmp_gt_f32_e32 vcc, v9, v7
	v_cndmask_b32_e32 v6, v6, v8, vcc
	v_readlane_b32 s16, v6, 63
	s_ashr_i32 s17, s16, 31
	s_lshl_b64 s[18:19], s[16:17], 1
	s_add_u32 s18, s8, s18
	s_addc_u32 s19, s9, s19
	global_load_ushort v6, v4, s[18:19]
	v_cndmask_b32_e32 v7, v7, v9, vcc
	v_readlane_b32 s17, v7, 63
	v_mov_b32_e32 v7, s16
	s_lshl_b32 s16, s16, 2
	v_cmp_eq_u32_e32 vcc, s7, v0
	s_add_i32 s16, s16, 0
	v_cndmask_b32_e32 v2, v2, v7, vcc
	v_mov_b32_e32 v7, s16
	ds_write_b32 v7, v5
	s_add_i32 s7, s7, 1
	s_cmp_eq_u32 s7, s3
	s_waitcnt vmcnt(0)
	v_and_b32_e32 v7, 0xff, v6
	v_lshlrev_b32_e32 v6, 16, v6
	v_lshlrev_b32_e32 v7, 16, v7
	v_and_b32_e32 v6, 0xff000000, v6
	v_or_b32_e32 v6, v7, v6
	v_sub_f32_e32 v6, s17, v6
	v_cndmask_b32_e32 v3, v3, v6, vcc
	s_cbranch_scc1 .LBB282_11
.LBB282_6:                              ; =>This Loop Header: Depth=1
                                        ;     Child Loop BB282_8 Depth 2
	v_mov_b32_e32 v6, s7
	v_mov_b32_e32 v7, 0xff800000
	s_and_saveexec_b64 s[16:17], s[0:1]
	s_cbranch_execz .LBB282_5
; %bb.7:                                ;   in Loop: Header=BB282_6 Depth=1
	s_load_dword s20, s[14:15], 0xc
	s_mov_b64 s[18:19], 0
	v_mov_b32_e32 v6, s7
	v_mov_b32_e32 v7, 0xff800000
	;; [unrolled: 1-line block ×3, first 2 shown]
	s_waitcnt lgkmcnt(0)
	s_and_b32 s20, s20, 0xffff
	s_lshl_b32 s21, s20, 2
	v_mov_b32_e32 v9, v0
.LBB282_8:                              ;   Parent Loop BB282_6 Depth=1
                                        ; =>  This Inner Loop Header: Depth=2
	ds_read_b32 v10, v8
	v_add_u32_e32 v8, s21, v8
	s_waitcnt lgkmcnt(0)
	v_cmp_gt_f32_e32 vcc, v10, v7
	v_cndmask_b32_e32 v6, v6, v9, vcc
	v_add_u32_e32 v9, s20, v9
	v_cndmask_b32_e32 v7, v7, v10, vcc
	v_cmp_le_i32_e32 vcc, s2, v9
	s_or_b64 s[18:19], vcc, s[18:19]
	s_andn2_b64 exec, exec, s[18:19]
	s_cbranch_execnz .LBB282_8
; %bb.9:                                ;   in Loop: Header=BB282_6 Depth=1
	s_or_b64 exec, exec, s[18:19]
	s_branch .LBB282_5
.LBB282_10:
                                        ; implicit-def: $vgpr3
                                        ; implicit-def: $vgpr2
.LBB282_11:
	v_cmp_gt_i32_e32 vcc, s3, v0
	s_and_saveexec_b64 s[0:1], vcc
	s_cbranch_execz .LBB282_14
; %bb.12:
	s_load_dword s2, s[4:5], 0x38
	s_load_dwordx2 s[0:1], s[4:5], 0x20
	s_ashr_i32 s7, s6, 31
	s_load_dword s4, s[4:5], 0x4c
	v_mov_b32_e32 v4, s11
	s_waitcnt lgkmcnt(0)
	v_mul_f32_e32 v1, s2, v3
	s_mul_i32 s1, s6, s1
	s_mul_hi_u32 s2, s6, s0
	s_add_i32 s1, s2, s1
	s_mul_i32 s7, s7, s0
	s_add_i32 s5, s1, s7
	s_mul_i32 s2, s6, s0
	s_and_b32 s4, s4, 0xffff
	s_mov_b64 s[0:1], 0
	v_mov_b32_e32 v3, s5
	v_mov_b32_e32 v5, s13
.LBB282_13:                             ; =>This Inner Loop Header: Depth=1
	v_ashrrev_i32_e32 v7, 31, v0
	v_add_co_u32_e32 v6, vcc, s2, v0
	v_addc_co_u32_e32 v7, vcc, v3, v7, vcc
	v_add_u32_e32 v0, s4, v0
	v_cmp_le_i32_e32 vcc, s3, v0
	v_lshlrev_b64 v[6:7], 2, v[6:7]
	s_or_b64 s[0:1], vcc, s[0:1]
	v_add_co_u32_e32 v8, vcc, s10, v6
	v_addc_co_u32_e32 v9, vcc, v4, v7, vcc
	v_add_co_u32_e32 v6, vcc, s12, v6
	v_addc_co_u32_e32 v7, vcc, v5, v7, vcc
	global_store_dword v[8:9], v1, off
	global_store_dword v[6:7], v2, off
	s_andn2_b64 exec, exec, s[0:1]
	s_cbranch_execnz .LBB282_13
.LBB282_14:
	s_endpgm
	.section	.rodata,"a",@progbits
	.p2align	6, 0x0
	.amdhsa_kernel _ZN5aiter19grouped_topk_kernelIN3c108BFloat16EDv1_fLi1ELb0ELb1ELb0EEEvPT_PKS4_PfPimiiiif
		.amdhsa_group_segment_fixed_size 0
		.amdhsa_private_segment_fixed_size 0
		.amdhsa_kernarg_size 320
		.amdhsa_user_sgpr_count 6
		.amdhsa_user_sgpr_private_segment_buffer 1
		.amdhsa_user_sgpr_dispatch_ptr 0
		.amdhsa_user_sgpr_queue_ptr 0
		.amdhsa_user_sgpr_kernarg_segment_ptr 1
		.amdhsa_user_sgpr_dispatch_id 0
		.amdhsa_user_sgpr_flat_scratch_init 0
		.amdhsa_user_sgpr_kernarg_preload_length 0
		.amdhsa_user_sgpr_kernarg_preload_offset 0
		.amdhsa_user_sgpr_private_segment_size 0
		.amdhsa_uses_dynamic_stack 0
		.amdhsa_system_sgpr_private_segment_wavefront_offset 0
		.amdhsa_system_sgpr_workgroup_id_x 1
		.amdhsa_system_sgpr_workgroup_id_y 0
		.amdhsa_system_sgpr_workgroup_id_z 0
		.amdhsa_system_sgpr_workgroup_info 0
		.amdhsa_system_vgpr_workitem_id 0
		.amdhsa_next_free_vgpr 14
		.amdhsa_next_free_sgpr 26
		.amdhsa_accum_offset 16
		.amdhsa_reserve_vcc 1
		.amdhsa_reserve_flat_scratch 0
		.amdhsa_float_round_mode_32 0
		.amdhsa_float_round_mode_16_64 0
		.amdhsa_float_denorm_mode_32 3
		.amdhsa_float_denorm_mode_16_64 3
		.amdhsa_dx10_clamp 1
		.amdhsa_ieee_mode 1
		.amdhsa_fp16_overflow 0
		.amdhsa_tg_split 0
		.amdhsa_exception_fp_ieee_invalid_op 0
		.amdhsa_exception_fp_denorm_src 0
		.amdhsa_exception_fp_ieee_div_zero 0
		.amdhsa_exception_fp_ieee_overflow 0
		.amdhsa_exception_fp_ieee_underflow 0
		.amdhsa_exception_fp_ieee_inexact 0
		.amdhsa_exception_int_div_zero 0
	.end_amdhsa_kernel
	.section	.text._ZN5aiter19grouped_topk_kernelIN3c108BFloat16EDv1_fLi1ELb0ELb1ELb0EEEvPT_PKS4_PfPimiiiif,"axG",@progbits,_ZN5aiter19grouped_topk_kernelIN3c108BFloat16EDv1_fLi1ELb0ELb1ELb0EEEvPT_PKS4_PfPimiiiif,comdat
.Lfunc_end282:
	.size	_ZN5aiter19grouped_topk_kernelIN3c108BFloat16EDv1_fLi1ELb0ELb1ELb0EEEvPT_PKS4_PfPimiiiif, .Lfunc_end282-_ZN5aiter19grouped_topk_kernelIN3c108BFloat16EDv1_fLi1ELb0ELb1ELb0EEEvPT_PKS4_PfPimiiiif
                                        ; -- End function
	.section	.AMDGPU.csdata,"",@progbits
; Kernel info:
; codeLenInByte = 1044
; NumSgprs: 30
; NumVgprs: 14
; NumAgprs: 0
; TotalNumVgprs: 14
; ScratchSize: 0
; MemoryBound: 0
; FloatMode: 240
; IeeeMode: 1
; LDSByteSize: 0 bytes/workgroup (compile time only)
; SGPRBlocks: 3
; VGPRBlocks: 1
; NumSGPRsForWavesPerEU: 30
; NumVGPRsForWavesPerEU: 14
; AccumOffset: 16
; Occupancy: 8
; WaveLimiterHint : 0
; COMPUTE_PGM_RSRC2:SCRATCH_EN: 0
; COMPUTE_PGM_RSRC2:USER_SGPR: 6
; COMPUTE_PGM_RSRC2:TRAP_HANDLER: 0
; COMPUTE_PGM_RSRC2:TGID_X_EN: 1
; COMPUTE_PGM_RSRC2:TGID_Y_EN: 0
; COMPUTE_PGM_RSRC2:TGID_Z_EN: 0
; COMPUTE_PGM_RSRC2:TIDIG_COMP_CNT: 0
; COMPUTE_PGM_RSRC3_GFX90A:ACCUM_OFFSET: 3
; COMPUTE_PGM_RSRC3_GFX90A:TG_SPLIT: 0
	.section	.text._ZN5aiter19grouped_topk_kernelIfDv1_fLi1ELb0ELb0ELb1EEEvPT_PKS2_PfPimiiiif,"axG",@progbits,_ZN5aiter19grouped_topk_kernelIfDv1_fLi1ELb0ELb0ELb1EEEvPT_PKS2_PfPimiiiif,comdat
	.protected	_ZN5aiter19grouped_topk_kernelIfDv1_fLi1ELb0ELb0ELb1EEEvPT_PKS2_PfPimiiiif ; -- Begin function _ZN5aiter19grouped_topk_kernelIfDv1_fLi1ELb0ELb0ELb1EEEvPT_PKS2_PfPimiiiif
	.globl	_ZN5aiter19grouped_topk_kernelIfDv1_fLi1ELb0ELb0ELb1EEEvPT_PKS2_PfPimiiiif
	.p2align	8
	.type	_ZN5aiter19grouped_topk_kernelIfDv1_fLi1ELb0ELb0ELb1EEEvPT_PKS2_PfPimiiiif,@function
_ZN5aiter19grouped_topk_kernelIfDv1_fLi1ELb0ELb0ELb1EEEvPT_PKS2_PfPimiiiif: ; @_ZN5aiter19grouped_topk_kernelIfDv1_fLi1ELb0ELb0ELb1EEEvPT_PKS2_PfPimiiiif
; %bb.0:
	s_load_dwordx2 s[2:3], s[4:5], 0x28
	s_load_dwordx4 s[8:11], s[4:5], 0x10
	v_mov_b32_e32 v2, 0xff800000
	v_lshl_add_u32 v1, v0, 2, 0
	s_waitcnt lgkmcnt(0)
	v_cmp_gt_i32_e64 s[0:1], s2, v0
	s_and_saveexec_b64 s[12:13], s[0:1]
	s_cbranch_execz .LBB283_4
; %bb.1:
	s_load_dword s18, s[4:5], 0x4c
	s_load_dwordx2 s[14:15], s[4:5], 0x0
	s_mul_i32 s7, s6, s2
	v_lshl_add_u32 v3, v0, 2, 0
	s_mov_b64 s[16:17], 0
	s_waitcnt lgkmcnt(0)
	s_and_b32 s18, s18, 0xffff
	s_lshl_b32 s19, s18, 2
	v_mov_b32_e32 v2, 0xff800000
	v_mov_b32_e32 v4, s15
	;; [unrolled: 1-line block ×3, first 2 shown]
.LBB283_2:                              ; =>This Inner Loop Header: Depth=1
	v_add_u32_e32 v6, s7, v5
	v_ashrrev_i32_e32 v7, 31, v6
	v_lshlrev_b64 v[6:7], 2, v[6:7]
	v_add_co_u32_e32 v6, vcc, s14, v6
	v_addc_co_u32_e32 v7, vcc, v4, v7, vcc
	global_load_dword v6, v[6:7], off
	v_add_u32_e32 v5, s18, v5
	v_cmp_le_i32_e32 vcc, s2, v5
	s_or_b64 s[16:17], vcc, s[16:17]
	s_waitcnt vmcnt(0)
	v_cmp_gt_f32_e32 vcc, v6, v2
	ds_write_b32 v3, v6
	v_cndmask_b32_e32 v2, v2, v6, vcc
	v_add_u32_e32 v3, s19, v3
	s_andn2_b64 exec, exec, s[16:17]
	s_cbranch_execnz .LBB283_2
; %bb.3:
	s_or_b64 exec, exec, s[16:17]
.LBB283_4:
	s_or_b64 exec, exec, s[12:13]
	v_mov_b32_dpp v3, v2 quad_perm:[1,0,3,2] row_mask:0xf bank_mask:0xf
	v_cmp_lt_f32_e32 vcc, v2, v3
	v_cndmask_b32_e32 v2, v2, v3, vcc
	v_bfrev_b32_e32 v4, 0.5
	s_waitcnt lgkmcnt(0)
	v_mov_b32_dpp v3, v2 quad_perm:[2,3,0,1] row_mask:0xf bank_mask:0xf
	v_cmp_lt_f32_e32 vcc, v2, v3
	v_cndmask_b32_e32 v2, v2, v3, vcc
	s_barrier
	s_nop 0
	v_mov_b32_dpp v3, v2 row_half_mirror row_mask:0xf bank_mask:0xf
	v_cmp_lt_f32_e32 vcc, v2, v3
	v_cndmask_b32_e32 v2, v2, v3, vcc
	s_nop 1
	v_mov_b32_dpp v3, v2 row_mirror row_mask:0xf bank_mask:0xf
	v_cmp_lt_f32_e32 vcc, v2, v3
	v_cndmask_b32_e32 v2, v2, v3, vcc
	s_nop 1
	v_mov_b32_dpp v3, v2 row_bcast:15 row_mask:0xf bank_mask:0xf
	v_cmp_lt_f32_e32 vcc, v2, v3
	v_cndmask_b32_e32 v2, v2, v3, vcc
	s_nop 1
	v_mov_b32_dpp v3, v2 row_bcast:31 row_mask:0xf bank_mask:0xf
	v_cmp_lt_f32_e32 vcc, v2, v3
	v_cndmask_b32_e32 v3, v2, v3, vcc
	v_mbcnt_lo_u32_b32 v2, -1, 0
	v_mbcnt_hi_u32_b32 v2, -1, v2
	v_lshl_or_b32 v2, v2, 2, v4
	ds_bpermute_b32 v4, v2, v3
	v_mov_b32_e32 v3, 0
	s_and_saveexec_b64 s[12:13], s[0:1]
	s_cbranch_execz .LBB283_8
; %bb.5:
	s_load_dword s16, s[4:5], 0x4c
	v_lshl_add_u32 v5, v0, 2, 0
	s_mov_b64 s[14:15], 0
	v_mov_b32_e32 v3, 0
	s_mov_b32 s7, 0x3fb8aa3b
	s_waitcnt lgkmcnt(0)
	s_and_b32 s16, s16, 0xffff
	s_lshl_b32 s17, s16, 2
	s_mov_b32 s18, 0xc2ce8ed0
	s_mov_b32 s19, 0x42b17218
	v_mov_b32_e32 v6, 0x7f800000
	v_mov_b32_e32 v7, v0
.LBB283_6:                              ; =>This Inner Loop Header: Depth=1
	ds_read_b32 v8, v5
	v_add_u32_e32 v7, s16, v7
	s_waitcnt lgkmcnt(0)
	v_sub_f32_e32 v8, v8, v4
	v_mul_f32_e32 v9, 0x3fb8aa3b, v8
	v_fma_f32 v10, v8, s7, -v9
	v_rndne_f32_e32 v11, v9
	v_fmac_f32_e32 v10, 0x32a5705f, v8
	v_sub_f32_e32 v9, v9, v11
	v_add_f32_e32 v9, v9, v10
	v_cvt_i32_f32_e32 v11, v11
	v_exp_f32_e32 v9, v9
	v_cmp_ngt_f32_e32 vcc, s18, v8
	v_ldexp_f32 v9, v9, v11
	v_cndmask_b32_e32 v9, 0, v9, vcc
	v_cmp_nlt_f32_e32 vcc, s19, v8
	v_cndmask_b32_e32 v8, v6, v9, vcc
	v_cmp_le_i32_e32 vcc, s2, v7
	ds_write_b32 v5, v8
	v_add_f32_e32 v3, v3, v8
	s_or_b64 s[14:15], vcc, s[14:15]
	v_add_u32_e32 v5, s17, v5
	s_andn2_b64 exec, exec, s[14:15]
	s_cbranch_execnz .LBB283_6
; %bb.7:
	s_or_b64 exec, exec, s[14:15]
.LBB283_8:
	s_or_b64 exec, exec, s[12:13]
	s_waitcnt lgkmcnt(0)
	v_mov_b32_dpp v4, v3 quad_perm:[1,0,3,2] row_mask:0xf bank_mask:0xf
	v_add_f32_e32 v3, v3, v4
	s_barrier
	s_nop 0
	v_mov_b32_dpp v4, v3 quad_perm:[2,3,0,1] row_mask:0xf bank_mask:0xf
	v_add_f32_e32 v3, v3, v4
	s_nop 1
	v_mov_b32_dpp v4, v3 row_half_mirror row_mask:0xf bank_mask:0xf
	v_add_f32_e32 v3, v3, v4
	s_nop 1
	v_mov_b32_dpp v4, v3 row_mirror row_mask:0xf bank_mask:0xf
	v_add_f32_e32 v3, v3, v4
	s_nop 1
	v_mov_b32_dpp v4, v3 row_bcast:15 row_mask:0xf bank_mask:0xf
	v_add_f32_e32 v3, v3, v4
	s_nop 1
	v_mov_b32_dpp v4, v3 row_bcast:31 row_mask:0xf bank_mask:0xf
	v_add_f32_e32 v3, v3, v4
	ds_bpermute_b32 v2, v2, v3
	s_and_saveexec_b64 s[12:13], s[0:1]
	s_cbranch_execz .LBB283_11
; %bb.9:
	s_load_dword s7, s[4:5], 0x4c
	v_lshl_add_u32 v3, v0, 2, 0
	s_mov_b64 s[14:15], 0
	v_mov_b32_e32 v4, v0
	s_waitcnt lgkmcnt(0)
	s_and_b32 s7, s7, 0xffff
	s_lshl_b32 s16, s7, 2
.LBB283_10:                             ; =>This Inner Loop Header: Depth=1
	ds_read_b32 v5, v3
	v_add_u32_e32 v4, s7, v4
	v_cmp_le_i32_e32 vcc, s2, v4
	s_or_b64 s[14:15], vcc, s[14:15]
	s_waitcnt lgkmcnt(0)
	v_div_scale_f32 v6, s[18:19], v2, v2, v5
	v_rcp_f32_e32 v7, v6
	v_div_scale_f32 v8, vcc, v5, v2, v5
	v_fma_f32 v9, -v6, v7, 1.0
	v_fmac_f32_e32 v7, v9, v7
	v_mul_f32_e32 v9, v8, v7
	v_fma_f32 v10, -v6, v9, v8
	v_fmac_f32_e32 v9, v10, v7
	v_fma_f32 v6, -v6, v9, v8
	v_div_fmas_f32 v6, v6, v7, v9
	v_div_fixup_f32 v5, v6, v2, v5
	ds_write_b32 v3, v5
	v_add_u32_e32 v3, s16, v3
	s_andn2_b64 exec, exec, s[14:15]
	s_cbranch_execnz .LBB283_10
.LBB283_11:
	s_or_b64 exec, exec, s[12:13]
	s_cmp_lt_i32 s3, 1
	s_waitcnt lgkmcnt(0)
	s_barrier
	s_cbranch_scc1 .LBB283_18
; %bb.12:
	s_add_u32 s12, s4, 64
	s_addc_u32 s13, s5, 0
	s_mov_b32 s7, 0
	v_mov_b32_e32 v4, 0xff800000
                                        ; implicit-def: $vgpr3
                                        ; implicit-def: $vgpr2
	s_branch .LBB283_14
.LBB283_13:                             ;   in Loop: Header=BB283_14 Depth=1
	s_or_b64 exec, exec, s[14:15]
	v_mov_b32_dpp v8, v6 quad_perm:[1,0,3,2] row_mask:0xf bank_mask:0xf
	v_cmp_lt_f32_e32 vcc, v6, v8
	v_cndmask_b32_e32 v6, v6, v8, vcc
	v_mov_b32_dpp v7, v5 quad_perm:[1,0,3,2] row_mask:0xf bank_mask:0xf
	v_cndmask_b32_e32 v5, v5, v7, vcc
	v_mov_b32_dpp v8, v6 quad_perm:[2,3,0,1] row_mask:0xf bank_mask:0xf
	v_cmp_gt_f32_e32 vcc, v8, v6
	v_cndmask_b32_e32 v6, v6, v8, vcc
	v_mov_b32_dpp v7, v5 quad_perm:[2,3,0,1] row_mask:0xf bank_mask:0xf
	v_cndmask_b32_e32 v5, v5, v7, vcc
	v_mov_b32_dpp v8, v6 row_half_mirror row_mask:0xf bank_mask:0xf
	v_cmp_gt_f32_e32 vcc, v8, v6
	v_cndmask_b32_e32 v6, v6, v8, vcc
	v_mov_b32_dpp v7, v5 row_half_mirror row_mask:0xf bank_mask:0xf
	v_cndmask_b32_e32 v5, v5, v7, vcc
	v_mov_b32_dpp v8, v6 row_mirror row_mask:0xf bank_mask:0xf
	v_cmp_gt_f32_e32 vcc, v8, v6
	v_cndmask_b32_e32 v6, v6, v8, vcc
	v_mov_b32_dpp v7, v5 row_mirror row_mask:0xf bank_mask:0xf
	v_cndmask_b32_e32 v5, v5, v7, vcc
	v_mov_b32_dpp v8, v6 row_bcast:15 row_mask:0xf bank_mask:0xf
	v_cmp_gt_f32_e32 vcc, v8, v6
	v_mov_b32_dpp v7, v5 row_bcast:15 row_mask:0xf bank_mask:0xf
	v_cndmask_b32_e32 v6, v6, v8, vcc
	v_cndmask_b32_e32 v5, v5, v7, vcc
	s_nop 0
	v_mov_b32_dpp v8, v6 row_bcast:31 row_mask:0xf bank_mask:0xf
	v_mov_b32_dpp v7, v5 row_bcast:31 row_mask:0xf bank_mask:0xf
	v_cmp_gt_f32_e32 vcc, v8, v6
	v_cndmask_b32_e32 v5, v5, v7, vcc
	v_readlane_b32 s15, v5, 63
	s_lshl_b32 s16, s15, 2
	s_add_i32 s16, s16, 0
	v_cndmask_b32_e32 v6, v6, v8, vcc
	v_mov_b32_e32 v5, s16
	v_readlane_b32 s14, v6, 63
	ds_write_b32 v5, v4
	v_mov_b32_e32 v5, s15
	v_cmp_eq_u32_e32 vcc, s7, v0
	v_cndmask_b32_e32 v2, v2, v5, vcc
	v_mov_b32_e32 v5, s14
	s_add_i32 s7, s7, 1
	s_cmp_eq_u32 s7, s3
	v_cndmask_b32_e32 v3, v3, v5, vcc
	s_cbranch_scc1 .LBB283_19
.LBB283_14:                             ; =>This Loop Header: Depth=1
                                        ;     Child Loop BB283_16 Depth 2
	v_mov_b32_e32 v5, s7
	v_mov_b32_e32 v6, 0xff800000
	s_and_saveexec_b64 s[14:15], s[0:1]
	s_cbranch_execz .LBB283_13
; %bb.15:                               ;   in Loop: Header=BB283_14 Depth=1
	s_load_dword s18, s[12:13], 0xc
	s_mov_b64 s[16:17], 0
	v_mov_b32_e32 v5, s7
	v_mov_b32_e32 v6, 0xff800000
	;; [unrolled: 1-line block ×3, first 2 shown]
	s_waitcnt lgkmcnt(0)
	s_and_b32 s18, s18, 0xffff
	s_lshl_b32 s19, s18, 2
	v_mov_b32_e32 v8, v0
.LBB283_16:                             ;   Parent Loop BB283_14 Depth=1
                                        ; =>  This Inner Loop Header: Depth=2
	ds_read_b32 v9, v7
	v_add_u32_e32 v7, s19, v7
	s_waitcnt lgkmcnt(0)
	v_cmp_gt_f32_e32 vcc, v9, v6
	v_cndmask_b32_e32 v5, v5, v8, vcc
	v_add_u32_e32 v8, s18, v8
	v_cndmask_b32_e32 v6, v6, v9, vcc
	v_cmp_le_i32_e32 vcc, s2, v8
	s_or_b64 s[16:17], vcc, s[16:17]
	s_andn2_b64 exec, exec, s[16:17]
	s_cbranch_execnz .LBB283_16
; %bb.17:                               ;   in Loop: Header=BB283_14 Depth=1
	s_or_b64 exec, exec, s[16:17]
	s_branch .LBB283_13
.LBB283_18:
                                        ; implicit-def: $vgpr3
                                        ; implicit-def: $vgpr2
.LBB283_19:
	v_cmp_gt_i32_e32 vcc, s3, v0
	s_and_saveexec_b64 s[0:1], vcc
	s_cbranch_execz .LBB283_22
; %bb.20:
	s_load_dword s2, s[4:5], 0x38
	s_load_dwordx2 s[0:1], s[4:5], 0x20
	s_ashr_i32 s7, s6, 31
	s_load_dword s4, s[4:5], 0x4c
	v_mov_b32_e32 v4, s9
	s_waitcnt lgkmcnt(0)
	v_mul_f32_e32 v1, s2, v3
	s_mul_i32 s1, s6, s1
	s_mul_hi_u32 s2, s6, s0
	s_add_i32 s1, s2, s1
	s_mul_i32 s7, s7, s0
	s_add_i32 s5, s1, s7
	s_mul_i32 s2, s6, s0
	s_and_b32 s4, s4, 0xffff
	s_mov_b64 s[0:1], 0
	v_mov_b32_e32 v3, s5
	v_mov_b32_e32 v5, s11
.LBB283_21:                             ; =>This Inner Loop Header: Depth=1
	v_ashrrev_i32_e32 v7, 31, v0
	v_add_co_u32_e32 v6, vcc, s2, v0
	v_addc_co_u32_e32 v7, vcc, v3, v7, vcc
	v_add_u32_e32 v0, s4, v0
	v_cmp_le_i32_e32 vcc, s3, v0
	v_lshlrev_b64 v[6:7], 2, v[6:7]
	s_or_b64 s[0:1], vcc, s[0:1]
	v_add_co_u32_e32 v8, vcc, s8, v6
	v_addc_co_u32_e32 v9, vcc, v4, v7, vcc
	v_add_co_u32_e32 v6, vcc, s10, v6
	v_addc_co_u32_e32 v7, vcc, v5, v7, vcc
	global_store_dword v[8:9], v1, off
	global_store_dword v[6:7], v2, off
	s_andn2_b64 exec, exec, s[0:1]
	s_cbranch_execnz .LBB283_21
.LBB283_22:
	s_endpgm
	.section	.rodata,"a",@progbits
	.p2align	6, 0x0
	.amdhsa_kernel _ZN5aiter19grouped_topk_kernelIfDv1_fLi1ELb0ELb0ELb1EEEvPT_PKS2_PfPimiiiif
		.amdhsa_group_segment_fixed_size 0
		.amdhsa_private_segment_fixed_size 0
		.amdhsa_kernarg_size 320
		.amdhsa_user_sgpr_count 6
		.amdhsa_user_sgpr_private_segment_buffer 1
		.amdhsa_user_sgpr_dispatch_ptr 0
		.amdhsa_user_sgpr_queue_ptr 0
		.amdhsa_user_sgpr_kernarg_segment_ptr 1
		.amdhsa_user_sgpr_dispatch_id 0
		.amdhsa_user_sgpr_flat_scratch_init 0
		.amdhsa_user_sgpr_kernarg_preload_length 0
		.amdhsa_user_sgpr_kernarg_preload_offset 0
		.amdhsa_user_sgpr_private_segment_size 0
		.amdhsa_uses_dynamic_stack 0
		.amdhsa_system_sgpr_private_segment_wavefront_offset 0
		.amdhsa_system_sgpr_workgroup_id_x 1
		.amdhsa_system_sgpr_workgroup_id_y 0
		.amdhsa_system_sgpr_workgroup_id_z 0
		.amdhsa_system_sgpr_workgroup_info 0
		.amdhsa_system_vgpr_workitem_id 0
		.amdhsa_next_free_vgpr 12
		.amdhsa_next_free_sgpr 20
		.amdhsa_accum_offset 12
		.amdhsa_reserve_vcc 1
		.amdhsa_reserve_flat_scratch 0
		.amdhsa_float_round_mode_32 0
		.amdhsa_float_round_mode_16_64 0
		.amdhsa_float_denorm_mode_32 3
		.amdhsa_float_denorm_mode_16_64 3
		.amdhsa_dx10_clamp 1
		.amdhsa_ieee_mode 1
		.amdhsa_fp16_overflow 0
		.amdhsa_tg_split 0
		.amdhsa_exception_fp_ieee_invalid_op 0
		.amdhsa_exception_fp_denorm_src 0
		.amdhsa_exception_fp_ieee_div_zero 0
		.amdhsa_exception_fp_ieee_overflow 0
		.amdhsa_exception_fp_ieee_underflow 0
		.amdhsa_exception_fp_ieee_inexact 0
		.amdhsa_exception_int_div_zero 0
	.end_amdhsa_kernel
	.section	.text._ZN5aiter19grouped_topk_kernelIfDv1_fLi1ELb0ELb0ELb1EEEvPT_PKS2_PfPimiiiif,"axG",@progbits,_ZN5aiter19grouped_topk_kernelIfDv1_fLi1ELb0ELb0ELb1EEEvPT_PKS2_PfPimiiiif,comdat
.Lfunc_end283:
	.size	_ZN5aiter19grouped_topk_kernelIfDv1_fLi1ELb0ELb0ELb1EEEvPT_PKS2_PfPimiiiif, .Lfunc_end283-_ZN5aiter19grouped_topk_kernelIfDv1_fLi1ELb0ELb0ELb1EEEvPT_PKS2_PfPimiiiif
                                        ; -- End function
	.section	.AMDGPU.csdata,"",@progbits
; Kernel info:
; codeLenInByte = 1428
; NumSgprs: 24
; NumVgprs: 12
; NumAgprs: 0
; TotalNumVgprs: 12
; ScratchSize: 0
; MemoryBound: 0
; FloatMode: 240
; IeeeMode: 1
; LDSByteSize: 0 bytes/workgroup (compile time only)
; SGPRBlocks: 2
; VGPRBlocks: 1
; NumSGPRsForWavesPerEU: 24
; NumVGPRsForWavesPerEU: 12
; AccumOffset: 12
; Occupancy: 8
; WaveLimiterHint : 0
; COMPUTE_PGM_RSRC2:SCRATCH_EN: 0
; COMPUTE_PGM_RSRC2:USER_SGPR: 6
; COMPUTE_PGM_RSRC2:TRAP_HANDLER: 0
; COMPUTE_PGM_RSRC2:TGID_X_EN: 1
; COMPUTE_PGM_RSRC2:TGID_Y_EN: 0
; COMPUTE_PGM_RSRC2:TGID_Z_EN: 0
; COMPUTE_PGM_RSRC2:TIDIG_COMP_CNT: 0
; COMPUTE_PGM_RSRC3_GFX90A:ACCUM_OFFSET: 2
; COMPUTE_PGM_RSRC3_GFX90A:TG_SPLIT: 0
	.section	.text._ZN5aiter19grouped_topk_kernelIN3c104HalfEDv1_fLi1ELb0ELb0ELb1EEEvPT_PKS4_PfPimiiiif,"axG",@progbits,_ZN5aiter19grouped_topk_kernelIN3c104HalfEDv1_fLi1ELb0ELb0ELb1EEEvPT_PKS4_PfPimiiiif,comdat
	.protected	_ZN5aiter19grouped_topk_kernelIN3c104HalfEDv1_fLi1ELb0ELb0ELb1EEEvPT_PKS4_PfPimiiiif ; -- Begin function _ZN5aiter19grouped_topk_kernelIN3c104HalfEDv1_fLi1ELb0ELb0ELb1EEEvPT_PKS4_PfPimiiiif
	.globl	_ZN5aiter19grouped_topk_kernelIN3c104HalfEDv1_fLi1ELb0ELb0ELb1EEEvPT_PKS4_PfPimiiiif
	.p2align	8
	.type	_ZN5aiter19grouped_topk_kernelIN3c104HalfEDv1_fLi1ELb0ELb0ELb1EEEvPT_PKS4_PfPimiiiif,@function
_ZN5aiter19grouped_topk_kernelIN3c104HalfEDv1_fLi1ELb0ELb0ELb1EEEvPT_PKS4_PfPimiiiif: ; @_ZN5aiter19grouped_topk_kernelIN3c104HalfEDv1_fLi1ELb0ELb0ELb1EEEvPT_PKS4_PfPimiiiif
; %bb.0:
	s_load_dwordx2 s[2:3], s[4:5], 0x28
	s_load_dwordx4 s[8:11], s[4:5], 0x10
	v_mov_b32_e32 v2, 0xff800000
	v_lshl_add_u32 v1, v0, 2, 0
	s_waitcnt lgkmcnt(0)
	v_cmp_gt_i32_e64 s[0:1], s2, v0
	s_and_saveexec_b64 s[12:13], s[0:1]
	s_cbranch_execz .LBB284_4
; %bb.1:
	s_load_dword s18, s[4:5], 0x4c
	s_load_dwordx2 s[14:15], s[4:5], 0x0
	s_mul_i32 s7, s6, s2
	v_lshl_add_u32 v3, v0, 2, 0
	s_mov_b64 s[16:17], 0
	s_waitcnt lgkmcnt(0)
	s_and_b32 s18, s18, 0xffff
	s_lshl_b32 s19, s18, 2
	v_mov_b32_e32 v2, 0xff800000
	v_mov_b32_e32 v4, s15
	v_mov_b32_e32 v5, v0
.LBB284_2:                              ; =>This Inner Loop Header: Depth=1
	v_add_u32_e32 v6, s7, v5
	v_ashrrev_i32_e32 v7, 31, v6
	v_lshlrev_b64 v[6:7], 1, v[6:7]
	v_add_co_u32_e32 v6, vcc, s14, v6
	v_addc_co_u32_e32 v7, vcc, v4, v7, vcc
	global_load_ushort v6, v[6:7], off
	v_add_u32_e32 v5, s18, v5
	v_cmp_le_i32_e32 vcc, s2, v5
	s_or_b64 s[16:17], vcc, s[16:17]
	s_waitcnt vmcnt(0)
	v_cvt_f32_f16_e32 v6, v6
	v_cmp_lt_f32_e32 vcc, v2, v6
	ds_write_b32 v3, v6
	v_cndmask_b32_e32 v2, v2, v6, vcc
	v_add_u32_e32 v3, s19, v3
	s_andn2_b64 exec, exec, s[16:17]
	s_cbranch_execnz .LBB284_2
; %bb.3:
	s_or_b64 exec, exec, s[16:17]
.LBB284_4:
	s_or_b64 exec, exec, s[12:13]
	v_mov_b32_dpp v3, v2 quad_perm:[1,0,3,2] row_mask:0xf bank_mask:0xf
	v_cmp_lt_f32_e32 vcc, v2, v3
	v_cndmask_b32_e32 v2, v2, v3, vcc
	v_bfrev_b32_e32 v4, 0.5
	s_waitcnt lgkmcnt(0)
	v_mov_b32_dpp v3, v2 quad_perm:[2,3,0,1] row_mask:0xf bank_mask:0xf
	v_cmp_lt_f32_e32 vcc, v2, v3
	v_cndmask_b32_e32 v2, v2, v3, vcc
	s_barrier
	s_nop 0
	v_mov_b32_dpp v3, v2 row_half_mirror row_mask:0xf bank_mask:0xf
	v_cmp_lt_f32_e32 vcc, v2, v3
	v_cndmask_b32_e32 v2, v2, v3, vcc
	s_nop 1
	v_mov_b32_dpp v3, v2 row_mirror row_mask:0xf bank_mask:0xf
	v_cmp_lt_f32_e32 vcc, v2, v3
	v_cndmask_b32_e32 v2, v2, v3, vcc
	s_nop 1
	v_mov_b32_dpp v3, v2 row_bcast:15 row_mask:0xf bank_mask:0xf
	v_cmp_lt_f32_e32 vcc, v2, v3
	v_cndmask_b32_e32 v2, v2, v3, vcc
	s_nop 1
	v_mov_b32_dpp v3, v2 row_bcast:31 row_mask:0xf bank_mask:0xf
	v_cmp_lt_f32_e32 vcc, v2, v3
	v_cndmask_b32_e32 v3, v2, v3, vcc
	v_mbcnt_lo_u32_b32 v2, -1, 0
	v_mbcnt_hi_u32_b32 v2, -1, v2
	v_lshl_or_b32 v2, v2, 2, v4
	ds_bpermute_b32 v4, v2, v3
	v_mov_b32_e32 v3, 0
	s_and_saveexec_b64 s[12:13], s[0:1]
	s_cbranch_execz .LBB284_8
; %bb.5:
	s_load_dword s16, s[4:5], 0x4c
	v_lshl_add_u32 v5, v0, 2, 0
	s_mov_b64 s[14:15], 0
	v_mov_b32_e32 v3, 0
	s_mov_b32 s7, 0x3fb8aa3b
	s_waitcnt lgkmcnt(0)
	s_and_b32 s16, s16, 0xffff
	s_lshl_b32 s17, s16, 2
	s_mov_b32 s18, 0xc2ce8ed0
	s_mov_b32 s19, 0x42b17218
	v_mov_b32_e32 v6, 0x7f800000
	v_mov_b32_e32 v7, v0
.LBB284_6:                              ; =>This Inner Loop Header: Depth=1
	ds_read_b32 v8, v5
	v_add_u32_e32 v7, s16, v7
	s_waitcnt lgkmcnt(0)
	v_sub_f32_e32 v8, v8, v4
	v_mul_f32_e32 v9, 0x3fb8aa3b, v8
	v_fma_f32 v10, v8, s7, -v9
	v_rndne_f32_e32 v11, v9
	v_fmac_f32_e32 v10, 0x32a5705f, v8
	v_sub_f32_e32 v9, v9, v11
	v_add_f32_e32 v9, v9, v10
	v_cvt_i32_f32_e32 v11, v11
	v_exp_f32_e32 v9, v9
	v_cmp_ngt_f32_e32 vcc, s18, v8
	v_ldexp_f32 v9, v9, v11
	v_cndmask_b32_e32 v9, 0, v9, vcc
	v_cmp_nlt_f32_e32 vcc, s19, v8
	v_cndmask_b32_e32 v8, v6, v9, vcc
	v_cmp_le_i32_e32 vcc, s2, v7
	ds_write_b32 v5, v8
	v_add_f32_e32 v3, v3, v8
	s_or_b64 s[14:15], vcc, s[14:15]
	v_add_u32_e32 v5, s17, v5
	s_andn2_b64 exec, exec, s[14:15]
	s_cbranch_execnz .LBB284_6
; %bb.7:
	s_or_b64 exec, exec, s[14:15]
.LBB284_8:
	s_or_b64 exec, exec, s[12:13]
	s_waitcnt lgkmcnt(0)
	v_mov_b32_dpp v4, v3 quad_perm:[1,0,3,2] row_mask:0xf bank_mask:0xf
	v_add_f32_e32 v3, v3, v4
	s_barrier
	s_nop 0
	v_mov_b32_dpp v4, v3 quad_perm:[2,3,0,1] row_mask:0xf bank_mask:0xf
	v_add_f32_e32 v3, v3, v4
	s_nop 1
	v_mov_b32_dpp v4, v3 row_half_mirror row_mask:0xf bank_mask:0xf
	v_add_f32_e32 v3, v3, v4
	s_nop 1
	v_mov_b32_dpp v4, v3 row_mirror row_mask:0xf bank_mask:0xf
	v_add_f32_e32 v3, v3, v4
	s_nop 1
	v_mov_b32_dpp v4, v3 row_bcast:15 row_mask:0xf bank_mask:0xf
	v_add_f32_e32 v3, v3, v4
	s_nop 1
	v_mov_b32_dpp v4, v3 row_bcast:31 row_mask:0xf bank_mask:0xf
	v_add_f32_e32 v3, v3, v4
	ds_bpermute_b32 v2, v2, v3
	s_and_saveexec_b64 s[12:13], s[0:1]
	s_cbranch_execz .LBB284_11
; %bb.9:
	s_load_dword s7, s[4:5], 0x4c
	v_lshl_add_u32 v3, v0, 2, 0
	s_mov_b64 s[14:15], 0
	v_mov_b32_e32 v4, v0
	s_waitcnt lgkmcnt(0)
	s_and_b32 s7, s7, 0xffff
	s_lshl_b32 s16, s7, 2
.LBB284_10:                             ; =>This Inner Loop Header: Depth=1
	ds_read_b32 v5, v3
	v_add_u32_e32 v4, s7, v4
	v_cmp_le_i32_e32 vcc, s2, v4
	s_or_b64 s[14:15], vcc, s[14:15]
	s_waitcnt lgkmcnt(0)
	v_div_scale_f32 v6, s[18:19], v2, v2, v5
	v_rcp_f32_e32 v7, v6
	v_div_scale_f32 v8, vcc, v5, v2, v5
	v_fma_f32 v9, -v6, v7, 1.0
	v_fmac_f32_e32 v7, v9, v7
	v_mul_f32_e32 v9, v8, v7
	v_fma_f32 v10, -v6, v9, v8
	v_fmac_f32_e32 v9, v10, v7
	v_fma_f32 v6, -v6, v9, v8
	v_div_fmas_f32 v6, v6, v7, v9
	v_div_fixup_f32 v5, v6, v2, v5
	ds_write_b32 v3, v5
	v_add_u32_e32 v3, s16, v3
	s_andn2_b64 exec, exec, s[14:15]
	s_cbranch_execnz .LBB284_10
.LBB284_11:
	s_or_b64 exec, exec, s[12:13]
	s_cmp_lt_i32 s3, 1
	s_waitcnt lgkmcnt(0)
	s_barrier
	s_cbranch_scc1 .LBB284_18
; %bb.12:
	s_add_u32 s12, s4, 64
	s_addc_u32 s13, s5, 0
	s_mov_b32 s7, 0
	v_mov_b32_e32 v4, 0xff800000
                                        ; implicit-def: $vgpr3
                                        ; implicit-def: $vgpr2
	s_branch .LBB284_14
.LBB284_13:                             ;   in Loop: Header=BB284_14 Depth=1
	s_or_b64 exec, exec, s[14:15]
	v_mov_b32_dpp v8, v6 quad_perm:[1,0,3,2] row_mask:0xf bank_mask:0xf
	v_cmp_lt_f32_e32 vcc, v6, v8
	v_cndmask_b32_e32 v6, v6, v8, vcc
	v_mov_b32_dpp v7, v5 quad_perm:[1,0,3,2] row_mask:0xf bank_mask:0xf
	v_cndmask_b32_e32 v5, v5, v7, vcc
	v_mov_b32_dpp v8, v6 quad_perm:[2,3,0,1] row_mask:0xf bank_mask:0xf
	v_cmp_gt_f32_e32 vcc, v8, v6
	v_cndmask_b32_e32 v6, v6, v8, vcc
	v_mov_b32_dpp v7, v5 quad_perm:[2,3,0,1] row_mask:0xf bank_mask:0xf
	v_cndmask_b32_e32 v5, v5, v7, vcc
	v_mov_b32_dpp v8, v6 row_half_mirror row_mask:0xf bank_mask:0xf
	v_cmp_gt_f32_e32 vcc, v8, v6
	v_cndmask_b32_e32 v6, v6, v8, vcc
	v_mov_b32_dpp v7, v5 row_half_mirror row_mask:0xf bank_mask:0xf
	v_cndmask_b32_e32 v5, v5, v7, vcc
	v_mov_b32_dpp v8, v6 row_mirror row_mask:0xf bank_mask:0xf
	v_cmp_gt_f32_e32 vcc, v8, v6
	v_cndmask_b32_e32 v6, v6, v8, vcc
	v_mov_b32_dpp v7, v5 row_mirror row_mask:0xf bank_mask:0xf
	v_cndmask_b32_e32 v5, v5, v7, vcc
	v_mov_b32_dpp v8, v6 row_bcast:15 row_mask:0xf bank_mask:0xf
	v_cmp_gt_f32_e32 vcc, v8, v6
	v_mov_b32_dpp v7, v5 row_bcast:15 row_mask:0xf bank_mask:0xf
	v_cndmask_b32_e32 v6, v6, v8, vcc
	v_cndmask_b32_e32 v5, v5, v7, vcc
	s_nop 0
	v_mov_b32_dpp v8, v6 row_bcast:31 row_mask:0xf bank_mask:0xf
	v_mov_b32_dpp v7, v5 row_bcast:31 row_mask:0xf bank_mask:0xf
	v_cmp_gt_f32_e32 vcc, v8, v6
	v_cndmask_b32_e32 v5, v5, v7, vcc
	v_readlane_b32 s15, v5, 63
	s_lshl_b32 s16, s15, 2
	s_add_i32 s16, s16, 0
	v_cndmask_b32_e32 v6, v6, v8, vcc
	v_mov_b32_e32 v5, s16
	v_readlane_b32 s14, v6, 63
	ds_write_b32 v5, v4
	v_mov_b32_e32 v5, s15
	v_cmp_eq_u32_e32 vcc, s7, v0
	v_cndmask_b32_e32 v2, v2, v5, vcc
	v_mov_b32_e32 v5, s14
	s_add_i32 s7, s7, 1
	s_cmp_eq_u32 s7, s3
	v_cndmask_b32_e32 v3, v3, v5, vcc
	s_cbranch_scc1 .LBB284_19
.LBB284_14:                             ; =>This Loop Header: Depth=1
                                        ;     Child Loop BB284_16 Depth 2
	v_mov_b32_e32 v5, s7
	v_mov_b32_e32 v6, 0xff800000
	s_and_saveexec_b64 s[14:15], s[0:1]
	s_cbranch_execz .LBB284_13
; %bb.15:                               ;   in Loop: Header=BB284_14 Depth=1
	s_load_dword s18, s[12:13], 0xc
	s_mov_b64 s[16:17], 0
	v_mov_b32_e32 v5, s7
	v_mov_b32_e32 v6, 0xff800000
	;; [unrolled: 1-line block ×3, first 2 shown]
	s_waitcnt lgkmcnt(0)
	s_and_b32 s18, s18, 0xffff
	s_lshl_b32 s19, s18, 2
	v_mov_b32_e32 v8, v0
.LBB284_16:                             ;   Parent Loop BB284_14 Depth=1
                                        ; =>  This Inner Loop Header: Depth=2
	ds_read_b32 v9, v7
	v_add_u32_e32 v7, s19, v7
	s_waitcnt lgkmcnt(0)
	v_cmp_gt_f32_e32 vcc, v9, v6
	v_cndmask_b32_e32 v5, v5, v8, vcc
	v_add_u32_e32 v8, s18, v8
	v_cndmask_b32_e32 v6, v6, v9, vcc
	v_cmp_le_i32_e32 vcc, s2, v8
	s_or_b64 s[16:17], vcc, s[16:17]
	s_andn2_b64 exec, exec, s[16:17]
	s_cbranch_execnz .LBB284_16
; %bb.17:                               ;   in Loop: Header=BB284_14 Depth=1
	s_or_b64 exec, exec, s[16:17]
	s_branch .LBB284_13
.LBB284_18:
                                        ; implicit-def: $vgpr3
                                        ; implicit-def: $vgpr2
.LBB284_19:
	v_cmp_gt_i32_e32 vcc, s3, v0
	s_and_saveexec_b64 s[0:1], vcc
	s_cbranch_execz .LBB284_22
; %bb.20:
	s_load_dword s2, s[4:5], 0x38
	s_load_dwordx2 s[0:1], s[4:5], 0x20
	s_ashr_i32 s7, s6, 31
	s_load_dword s4, s[4:5], 0x4c
	v_mov_b32_e32 v4, s9
	s_waitcnt lgkmcnt(0)
	v_mul_f32_e32 v1, s2, v3
	s_mul_i32 s1, s6, s1
	s_mul_hi_u32 s2, s6, s0
	s_add_i32 s1, s2, s1
	s_mul_i32 s7, s7, s0
	s_add_i32 s5, s1, s7
	s_mul_i32 s2, s6, s0
	s_and_b32 s4, s4, 0xffff
	s_mov_b64 s[0:1], 0
	v_mov_b32_e32 v3, s5
	v_mov_b32_e32 v5, s11
.LBB284_21:                             ; =>This Inner Loop Header: Depth=1
	v_ashrrev_i32_e32 v7, 31, v0
	v_add_co_u32_e32 v6, vcc, s2, v0
	v_addc_co_u32_e32 v7, vcc, v3, v7, vcc
	v_add_u32_e32 v0, s4, v0
	v_cmp_le_i32_e32 vcc, s3, v0
	v_lshlrev_b64 v[6:7], 2, v[6:7]
	s_or_b64 s[0:1], vcc, s[0:1]
	v_add_co_u32_e32 v8, vcc, s8, v6
	v_addc_co_u32_e32 v9, vcc, v4, v7, vcc
	v_add_co_u32_e32 v6, vcc, s10, v6
	v_addc_co_u32_e32 v7, vcc, v5, v7, vcc
	global_store_dword v[8:9], v1, off
	global_store_dword v[6:7], v2, off
	s_andn2_b64 exec, exec, s[0:1]
	s_cbranch_execnz .LBB284_21
.LBB284_22:
	s_endpgm
	.section	.rodata,"a",@progbits
	.p2align	6, 0x0
	.amdhsa_kernel _ZN5aiter19grouped_topk_kernelIN3c104HalfEDv1_fLi1ELb0ELb0ELb1EEEvPT_PKS4_PfPimiiiif
		.amdhsa_group_segment_fixed_size 0
		.amdhsa_private_segment_fixed_size 0
		.amdhsa_kernarg_size 320
		.amdhsa_user_sgpr_count 6
		.amdhsa_user_sgpr_private_segment_buffer 1
		.amdhsa_user_sgpr_dispatch_ptr 0
		.amdhsa_user_sgpr_queue_ptr 0
		.amdhsa_user_sgpr_kernarg_segment_ptr 1
		.amdhsa_user_sgpr_dispatch_id 0
		.amdhsa_user_sgpr_flat_scratch_init 0
		.amdhsa_user_sgpr_kernarg_preload_length 0
		.amdhsa_user_sgpr_kernarg_preload_offset 0
		.amdhsa_user_sgpr_private_segment_size 0
		.amdhsa_uses_dynamic_stack 0
		.amdhsa_system_sgpr_private_segment_wavefront_offset 0
		.amdhsa_system_sgpr_workgroup_id_x 1
		.amdhsa_system_sgpr_workgroup_id_y 0
		.amdhsa_system_sgpr_workgroup_id_z 0
		.amdhsa_system_sgpr_workgroup_info 0
		.amdhsa_system_vgpr_workitem_id 0
		.amdhsa_next_free_vgpr 12
		.amdhsa_next_free_sgpr 20
		.amdhsa_accum_offset 12
		.amdhsa_reserve_vcc 1
		.amdhsa_reserve_flat_scratch 0
		.amdhsa_float_round_mode_32 0
		.amdhsa_float_round_mode_16_64 0
		.amdhsa_float_denorm_mode_32 3
		.amdhsa_float_denorm_mode_16_64 3
		.amdhsa_dx10_clamp 1
		.amdhsa_ieee_mode 1
		.amdhsa_fp16_overflow 0
		.amdhsa_tg_split 0
		.amdhsa_exception_fp_ieee_invalid_op 0
		.amdhsa_exception_fp_denorm_src 0
		.amdhsa_exception_fp_ieee_div_zero 0
		.amdhsa_exception_fp_ieee_overflow 0
		.amdhsa_exception_fp_ieee_underflow 0
		.amdhsa_exception_fp_ieee_inexact 0
		.amdhsa_exception_int_div_zero 0
	.end_amdhsa_kernel
	.section	.text._ZN5aiter19grouped_topk_kernelIN3c104HalfEDv1_fLi1ELb0ELb0ELb1EEEvPT_PKS4_PfPimiiiif,"axG",@progbits,_ZN5aiter19grouped_topk_kernelIN3c104HalfEDv1_fLi1ELb0ELb0ELb1EEEvPT_PKS4_PfPimiiiif,comdat
.Lfunc_end284:
	.size	_ZN5aiter19grouped_topk_kernelIN3c104HalfEDv1_fLi1ELb0ELb0ELb1EEEvPT_PKS4_PfPimiiiif, .Lfunc_end284-_ZN5aiter19grouped_topk_kernelIN3c104HalfEDv1_fLi1ELb0ELb0ELb1EEEvPT_PKS4_PfPimiiiif
                                        ; -- End function
	.section	.AMDGPU.csdata,"",@progbits
; Kernel info:
; codeLenInByte = 1432
; NumSgprs: 24
; NumVgprs: 12
; NumAgprs: 0
; TotalNumVgprs: 12
; ScratchSize: 0
; MemoryBound: 0
; FloatMode: 240
; IeeeMode: 1
; LDSByteSize: 0 bytes/workgroup (compile time only)
; SGPRBlocks: 2
; VGPRBlocks: 1
; NumSGPRsForWavesPerEU: 24
; NumVGPRsForWavesPerEU: 12
; AccumOffset: 12
; Occupancy: 8
; WaveLimiterHint : 0
; COMPUTE_PGM_RSRC2:SCRATCH_EN: 0
; COMPUTE_PGM_RSRC2:USER_SGPR: 6
; COMPUTE_PGM_RSRC2:TRAP_HANDLER: 0
; COMPUTE_PGM_RSRC2:TGID_X_EN: 1
; COMPUTE_PGM_RSRC2:TGID_Y_EN: 0
; COMPUTE_PGM_RSRC2:TGID_Z_EN: 0
; COMPUTE_PGM_RSRC2:TIDIG_COMP_CNT: 0
; COMPUTE_PGM_RSRC3_GFX90A:ACCUM_OFFSET: 2
; COMPUTE_PGM_RSRC3_GFX90A:TG_SPLIT: 0
	.section	.text._ZN5aiter19grouped_topk_kernelIN3c108BFloat16EDv1_fLi1ELb0ELb0ELb1EEEvPT_PKS4_PfPimiiiif,"axG",@progbits,_ZN5aiter19grouped_topk_kernelIN3c108BFloat16EDv1_fLi1ELb0ELb0ELb1EEEvPT_PKS4_PfPimiiiif,comdat
	.protected	_ZN5aiter19grouped_topk_kernelIN3c108BFloat16EDv1_fLi1ELb0ELb0ELb1EEEvPT_PKS4_PfPimiiiif ; -- Begin function _ZN5aiter19grouped_topk_kernelIN3c108BFloat16EDv1_fLi1ELb0ELb0ELb1EEEvPT_PKS4_PfPimiiiif
	.globl	_ZN5aiter19grouped_topk_kernelIN3c108BFloat16EDv1_fLi1ELb0ELb0ELb1EEEvPT_PKS4_PfPimiiiif
	.p2align	8
	.type	_ZN5aiter19grouped_topk_kernelIN3c108BFloat16EDv1_fLi1ELb0ELb0ELb1EEEvPT_PKS4_PfPimiiiif,@function
_ZN5aiter19grouped_topk_kernelIN3c108BFloat16EDv1_fLi1ELb0ELb0ELb1EEEvPT_PKS4_PfPimiiiif: ; @_ZN5aiter19grouped_topk_kernelIN3c108BFloat16EDv1_fLi1ELb0ELb0ELb1EEEvPT_PKS4_PfPimiiiif
; %bb.0:
	s_load_dwordx2 s[2:3], s[4:5], 0x28
	s_load_dwordx4 s[8:11], s[4:5], 0x10
	v_mov_b32_e32 v2, 0xff800000
	v_lshl_add_u32 v1, v0, 2, 0
	s_waitcnt lgkmcnt(0)
	v_cmp_gt_i32_e64 s[0:1], s2, v0
	s_and_saveexec_b64 s[12:13], s[0:1]
	s_cbranch_execz .LBB285_4
; %bb.1:
	s_load_dword s18, s[4:5], 0x4c
	s_load_dwordx2 s[14:15], s[4:5], 0x0
	s_mul_i32 s7, s6, s2
	v_lshl_add_u32 v3, v0, 2, 0
	s_mov_b64 s[16:17], 0
	s_waitcnt lgkmcnt(0)
	s_and_b32 s18, s18, 0xffff
	s_lshl_b32 s19, s18, 2
	v_mov_b32_e32 v2, 0xff800000
	v_mov_b32_e32 v4, s15
	;; [unrolled: 1-line block ×3, first 2 shown]
.LBB285_2:                              ; =>This Inner Loop Header: Depth=1
	v_add_u32_e32 v6, s7, v5
	v_ashrrev_i32_e32 v7, 31, v6
	v_lshlrev_b64 v[6:7], 1, v[6:7]
	v_add_co_u32_e32 v6, vcc, s14, v6
	v_addc_co_u32_e32 v7, vcc, v4, v7, vcc
	global_load_ushort v6, v[6:7], off
	v_add_u32_e32 v5, s18, v5
	v_cmp_le_i32_e32 vcc, s2, v5
	s_or_b64 s[16:17], vcc, s[16:17]
	s_waitcnt vmcnt(0)
	v_lshrrev_b16_e32 v7, 8, v6
	v_and_b32_e32 v6, 0xff, v6
	v_lshlrev_b32_e32 v6, 16, v6
	v_lshl_or_b32 v6, v7, 24, v6
	v_cmp_lt_f32_e32 vcc, v2, v6
	ds_write_b32 v3, v6
	v_cndmask_b32_e32 v2, v2, v6, vcc
	v_add_u32_e32 v3, s19, v3
	s_andn2_b64 exec, exec, s[16:17]
	s_cbranch_execnz .LBB285_2
; %bb.3:
	s_or_b64 exec, exec, s[16:17]
.LBB285_4:
	s_or_b64 exec, exec, s[12:13]
	v_mov_b32_dpp v3, v2 quad_perm:[1,0,3,2] row_mask:0xf bank_mask:0xf
	v_cmp_lt_f32_e32 vcc, v2, v3
	v_cndmask_b32_e32 v2, v2, v3, vcc
	v_bfrev_b32_e32 v4, 0.5
	s_waitcnt lgkmcnt(0)
	v_mov_b32_dpp v3, v2 quad_perm:[2,3,0,1] row_mask:0xf bank_mask:0xf
	v_cmp_lt_f32_e32 vcc, v2, v3
	v_cndmask_b32_e32 v2, v2, v3, vcc
	s_barrier
	s_nop 0
	v_mov_b32_dpp v3, v2 row_half_mirror row_mask:0xf bank_mask:0xf
	v_cmp_lt_f32_e32 vcc, v2, v3
	v_cndmask_b32_e32 v2, v2, v3, vcc
	s_nop 1
	v_mov_b32_dpp v3, v2 row_mirror row_mask:0xf bank_mask:0xf
	v_cmp_lt_f32_e32 vcc, v2, v3
	v_cndmask_b32_e32 v2, v2, v3, vcc
	s_nop 1
	v_mov_b32_dpp v3, v2 row_bcast:15 row_mask:0xf bank_mask:0xf
	v_cmp_lt_f32_e32 vcc, v2, v3
	v_cndmask_b32_e32 v2, v2, v3, vcc
	s_nop 1
	v_mov_b32_dpp v3, v2 row_bcast:31 row_mask:0xf bank_mask:0xf
	v_cmp_lt_f32_e32 vcc, v2, v3
	v_cndmask_b32_e32 v3, v2, v3, vcc
	v_mbcnt_lo_u32_b32 v2, -1, 0
	v_mbcnt_hi_u32_b32 v2, -1, v2
	v_lshl_or_b32 v2, v2, 2, v4
	ds_bpermute_b32 v4, v2, v3
	v_mov_b32_e32 v3, 0
	s_and_saveexec_b64 s[12:13], s[0:1]
	s_cbranch_execz .LBB285_8
; %bb.5:
	s_load_dword s16, s[4:5], 0x4c
	v_lshl_add_u32 v5, v0, 2, 0
	s_mov_b64 s[14:15], 0
	v_mov_b32_e32 v3, 0
	s_mov_b32 s7, 0x3fb8aa3b
	s_waitcnt lgkmcnt(0)
	s_and_b32 s16, s16, 0xffff
	s_lshl_b32 s17, s16, 2
	s_mov_b32 s18, 0xc2ce8ed0
	s_mov_b32 s19, 0x42b17218
	v_mov_b32_e32 v6, 0x7f800000
	v_mov_b32_e32 v7, v0
.LBB285_6:                              ; =>This Inner Loop Header: Depth=1
	ds_read_b32 v8, v5
	v_add_u32_e32 v7, s16, v7
	s_waitcnt lgkmcnt(0)
	v_sub_f32_e32 v8, v8, v4
	v_mul_f32_e32 v9, 0x3fb8aa3b, v8
	v_fma_f32 v10, v8, s7, -v9
	v_rndne_f32_e32 v11, v9
	v_fmac_f32_e32 v10, 0x32a5705f, v8
	v_sub_f32_e32 v9, v9, v11
	v_add_f32_e32 v9, v9, v10
	v_cvt_i32_f32_e32 v11, v11
	v_exp_f32_e32 v9, v9
	v_cmp_ngt_f32_e32 vcc, s18, v8
	v_ldexp_f32 v9, v9, v11
	v_cndmask_b32_e32 v9, 0, v9, vcc
	v_cmp_nlt_f32_e32 vcc, s19, v8
	v_cndmask_b32_e32 v8, v6, v9, vcc
	v_cmp_le_i32_e32 vcc, s2, v7
	ds_write_b32 v5, v8
	v_add_f32_e32 v3, v3, v8
	s_or_b64 s[14:15], vcc, s[14:15]
	v_add_u32_e32 v5, s17, v5
	s_andn2_b64 exec, exec, s[14:15]
	s_cbranch_execnz .LBB285_6
; %bb.7:
	s_or_b64 exec, exec, s[14:15]
.LBB285_8:
	s_or_b64 exec, exec, s[12:13]
	s_waitcnt lgkmcnt(0)
	v_mov_b32_dpp v4, v3 quad_perm:[1,0,3,2] row_mask:0xf bank_mask:0xf
	v_add_f32_e32 v3, v3, v4
	s_barrier
	s_nop 0
	v_mov_b32_dpp v4, v3 quad_perm:[2,3,0,1] row_mask:0xf bank_mask:0xf
	v_add_f32_e32 v3, v3, v4
	s_nop 1
	v_mov_b32_dpp v4, v3 row_half_mirror row_mask:0xf bank_mask:0xf
	v_add_f32_e32 v3, v3, v4
	s_nop 1
	v_mov_b32_dpp v4, v3 row_mirror row_mask:0xf bank_mask:0xf
	v_add_f32_e32 v3, v3, v4
	s_nop 1
	v_mov_b32_dpp v4, v3 row_bcast:15 row_mask:0xf bank_mask:0xf
	v_add_f32_e32 v3, v3, v4
	s_nop 1
	v_mov_b32_dpp v4, v3 row_bcast:31 row_mask:0xf bank_mask:0xf
	v_add_f32_e32 v3, v3, v4
	ds_bpermute_b32 v2, v2, v3
	s_and_saveexec_b64 s[12:13], s[0:1]
	s_cbranch_execz .LBB285_11
; %bb.9:
	s_load_dword s7, s[4:5], 0x4c
	v_lshl_add_u32 v3, v0, 2, 0
	s_mov_b64 s[14:15], 0
	v_mov_b32_e32 v4, v0
	s_waitcnt lgkmcnt(0)
	s_and_b32 s7, s7, 0xffff
	s_lshl_b32 s16, s7, 2
.LBB285_10:                             ; =>This Inner Loop Header: Depth=1
	ds_read_b32 v5, v3
	v_add_u32_e32 v4, s7, v4
	v_cmp_le_i32_e32 vcc, s2, v4
	s_or_b64 s[14:15], vcc, s[14:15]
	s_waitcnt lgkmcnt(0)
	v_div_scale_f32 v6, s[18:19], v2, v2, v5
	v_rcp_f32_e32 v7, v6
	v_div_scale_f32 v8, vcc, v5, v2, v5
	v_fma_f32 v9, -v6, v7, 1.0
	v_fmac_f32_e32 v7, v9, v7
	v_mul_f32_e32 v9, v8, v7
	v_fma_f32 v10, -v6, v9, v8
	v_fmac_f32_e32 v9, v10, v7
	v_fma_f32 v6, -v6, v9, v8
	v_div_fmas_f32 v6, v6, v7, v9
	v_div_fixup_f32 v5, v6, v2, v5
	ds_write_b32 v3, v5
	v_add_u32_e32 v3, s16, v3
	s_andn2_b64 exec, exec, s[14:15]
	s_cbranch_execnz .LBB285_10
.LBB285_11:
	s_or_b64 exec, exec, s[12:13]
	s_cmp_lt_i32 s3, 1
	s_waitcnt lgkmcnt(0)
	s_barrier
	s_cbranch_scc1 .LBB285_18
; %bb.12:
	s_add_u32 s12, s4, 64
	s_addc_u32 s13, s5, 0
	s_mov_b32 s7, 0
	v_mov_b32_e32 v4, 0xff800000
                                        ; implicit-def: $vgpr3
                                        ; implicit-def: $vgpr2
	s_branch .LBB285_14
.LBB285_13:                             ;   in Loop: Header=BB285_14 Depth=1
	s_or_b64 exec, exec, s[14:15]
	v_mov_b32_dpp v8, v6 quad_perm:[1,0,3,2] row_mask:0xf bank_mask:0xf
	v_cmp_lt_f32_e32 vcc, v6, v8
	v_cndmask_b32_e32 v6, v6, v8, vcc
	v_mov_b32_dpp v7, v5 quad_perm:[1,0,3,2] row_mask:0xf bank_mask:0xf
	v_cndmask_b32_e32 v5, v5, v7, vcc
	v_mov_b32_dpp v8, v6 quad_perm:[2,3,0,1] row_mask:0xf bank_mask:0xf
	v_cmp_gt_f32_e32 vcc, v8, v6
	v_cndmask_b32_e32 v6, v6, v8, vcc
	v_mov_b32_dpp v7, v5 quad_perm:[2,3,0,1] row_mask:0xf bank_mask:0xf
	v_cndmask_b32_e32 v5, v5, v7, vcc
	v_mov_b32_dpp v8, v6 row_half_mirror row_mask:0xf bank_mask:0xf
	v_cmp_gt_f32_e32 vcc, v8, v6
	v_cndmask_b32_e32 v6, v6, v8, vcc
	v_mov_b32_dpp v7, v5 row_half_mirror row_mask:0xf bank_mask:0xf
	v_cndmask_b32_e32 v5, v5, v7, vcc
	v_mov_b32_dpp v8, v6 row_mirror row_mask:0xf bank_mask:0xf
	v_cmp_gt_f32_e32 vcc, v8, v6
	v_cndmask_b32_e32 v6, v6, v8, vcc
	v_mov_b32_dpp v7, v5 row_mirror row_mask:0xf bank_mask:0xf
	v_cndmask_b32_e32 v5, v5, v7, vcc
	v_mov_b32_dpp v8, v6 row_bcast:15 row_mask:0xf bank_mask:0xf
	v_cmp_gt_f32_e32 vcc, v8, v6
	v_mov_b32_dpp v7, v5 row_bcast:15 row_mask:0xf bank_mask:0xf
	v_cndmask_b32_e32 v6, v6, v8, vcc
	v_cndmask_b32_e32 v5, v5, v7, vcc
	s_nop 0
	v_mov_b32_dpp v8, v6 row_bcast:31 row_mask:0xf bank_mask:0xf
	v_mov_b32_dpp v7, v5 row_bcast:31 row_mask:0xf bank_mask:0xf
	v_cmp_gt_f32_e32 vcc, v8, v6
	v_cndmask_b32_e32 v5, v5, v7, vcc
	v_readlane_b32 s15, v5, 63
	s_lshl_b32 s16, s15, 2
	s_add_i32 s16, s16, 0
	v_cndmask_b32_e32 v6, v6, v8, vcc
	v_mov_b32_e32 v5, s16
	v_readlane_b32 s14, v6, 63
	ds_write_b32 v5, v4
	v_mov_b32_e32 v5, s15
	v_cmp_eq_u32_e32 vcc, s7, v0
	v_cndmask_b32_e32 v2, v2, v5, vcc
	v_mov_b32_e32 v5, s14
	s_add_i32 s7, s7, 1
	s_cmp_eq_u32 s7, s3
	v_cndmask_b32_e32 v3, v3, v5, vcc
	s_cbranch_scc1 .LBB285_19
.LBB285_14:                             ; =>This Loop Header: Depth=1
                                        ;     Child Loop BB285_16 Depth 2
	v_mov_b32_e32 v5, s7
	v_mov_b32_e32 v6, 0xff800000
	s_and_saveexec_b64 s[14:15], s[0:1]
	s_cbranch_execz .LBB285_13
; %bb.15:                               ;   in Loop: Header=BB285_14 Depth=1
	s_load_dword s18, s[12:13], 0xc
	s_mov_b64 s[16:17], 0
	v_mov_b32_e32 v5, s7
	v_mov_b32_e32 v6, 0xff800000
	;; [unrolled: 1-line block ×3, first 2 shown]
	s_waitcnt lgkmcnt(0)
	s_and_b32 s18, s18, 0xffff
	s_lshl_b32 s19, s18, 2
	v_mov_b32_e32 v8, v0
.LBB285_16:                             ;   Parent Loop BB285_14 Depth=1
                                        ; =>  This Inner Loop Header: Depth=2
	ds_read_b32 v9, v7
	v_add_u32_e32 v7, s19, v7
	s_waitcnt lgkmcnt(0)
	v_cmp_gt_f32_e32 vcc, v9, v6
	v_cndmask_b32_e32 v5, v5, v8, vcc
	v_add_u32_e32 v8, s18, v8
	v_cndmask_b32_e32 v6, v6, v9, vcc
	v_cmp_le_i32_e32 vcc, s2, v8
	s_or_b64 s[16:17], vcc, s[16:17]
	s_andn2_b64 exec, exec, s[16:17]
	s_cbranch_execnz .LBB285_16
; %bb.17:                               ;   in Loop: Header=BB285_14 Depth=1
	s_or_b64 exec, exec, s[16:17]
	s_branch .LBB285_13
.LBB285_18:
                                        ; implicit-def: $vgpr3
                                        ; implicit-def: $vgpr2
.LBB285_19:
	v_cmp_gt_i32_e32 vcc, s3, v0
	s_and_saveexec_b64 s[0:1], vcc
	s_cbranch_execz .LBB285_22
; %bb.20:
	s_load_dword s2, s[4:5], 0x38
	s_load_dwordx2 s[0:1], s[4:5], 0x20
	s_ashr_i32 s7, s6, 31
	s_load_dword s4, s[4:5], 0x4c
	v_mov_b32_e32 v4, s9
	s_waitcnt lgkmcnt(0)
	v_mul_f32_e32 v1, s2, v3
	s_mul_i32 s1, s6, s1
	s_mul_hi_u32 s2, s6, s0
	s_add_i32 s1, s2, s1
	s_mul_i32 s7, s7, s0
	s_add_i32 s5, s1, s7
	s_mul_i32 s2, s6, s0
	s_and_b32 s4, s4, 0xffff
	s_mov_b64 s[0:1], 0
	v_mov_b32_e32 v3, s5
	v_mov_b32_e32 v5, s11
.LBB285_21:                             ; =>This Inner Loop Header: Depth=1
	v_ashrrev_i32_e32 v7, 31, v0
	v_add_co_u32_e32 v6, vcc, s2, v0
	v_addc_co_u32_e32 v7, vcc, v3, v7, vcc
	v_add_u32_e32 v0, s4, v0
	v_cmp_le_i32_e32 vcc, s3, v0
	v_lshlrev_b64 v[6:7], 2, v[6:7]
	s_or_b64 s[0:1], vcc, s[0:1]
	v_add_co_u32_e32 v8, vcc, s8, v6
	v_addc_co_u32_e32 v9, vcc, v4, v7, vcc
	v_add_co_u32_e32 v6, vcc, s10, v6
	v_addc_co_u32_e32 v7, vcc, v5, v7, vcc
	global_store_dword v[8:9], v1, off
	global_store_dword v[6:7], v2, off
	s_andn2_b64 exec, exec, s[0:1]
	s_cbranch_execnz .LBB285_21
.LBB285_22:
	s_endpgm
	.section	.rodata,"a",@progbits
	.p2align	6, 0x0
	.amdhsa_kernel _ZN5aiter19grouped_topk_kernelIN3c108BFloat16EDv1_fLi1ELb0ELb0ELb1EEEvPT_PKS4_PfPimiiiif
		.amdhsa_group_segment_fixed_size 0
		.amdhsa_private_segment_fixed_size 0
		.amdhsa_kernarg_size 320
		.amdhsa_user_sgpr_count 6
		.amdhsa_user_sgpr_private_segment_buffer 1
		.amdhsa_user_sgpr_dispatch_ptr 0
		.amdhsa_user_sgpr_queue_ptr 0
		.amdhsa_user_sgpr_kernarg_segment_ptr 1
		.amdhsa_user_sgpr_dispatch_id 0
		.amdhsa_user_sgpr_flat_scratch_init 0
		.amdhsa_user_sgpr_kernarg_preload_length 0
		.amdhsa_user_sgpr_kernarg_preload_offset 0
		.amdhsa_user_sgpr_private_segment_size 0
		.amdhsa_uses_dynamic_stack 0
		.amdhsa_system_sgpr_private_segment_wavefront_offset 0
		.amdhsa_system_sgpr_workgroup_id_x 1
		.amdhsa_system_sgpr_workgroup_id_y 0
		.amdhsa_system_sgpr_workgroup_id_z 0
		.amdhsa_system_sgpr_workgroup_info 0
		.amdhsa_system_vgpr_workitem_id 0
		.amdhsa_next_free_vgpr 12
		.amdhsa_next_free_sgpr 20
		.amdhsa_accum_offset 12
		.amdhsa_reserve_vcc 1
		.amdhsa_reserve_flat_scratch 0
		.amdhsa_float_round_mode_32 0
		.amdhsa_float_round_mode_16_64 0
		.amdhsa_float_denorm_mode_32 3
		.amdhsa_float_denorm_mode_16_64 3
		.amdhsa_dx10_clamp 1
		.amdhsa_ieee_mode 1
		.amdhsa_fp16_overflow 0
		.amdhsa_tg_split 0
		.amdhsa_exception_fp_ieee_invalid_op 0
		.amdhsa_exception_fp_denorm_src 0
		.amdhsa_exception_fp_ieee_div_zero 0
		.amdhsa_exception_fp_ieee_overflow 0
		.amdhsa_exception_fp_ieee_underflow 0
		.amdhsa_exception_fp_ieee_inexact 0
		.amdhsa_exception_int_div_zero 0
	.end_amdhsa_kernel
	.section	.text._ZN5aiter19grouped_topk_kernelIN3c108BFloat16EDv1_fLi1ELb0ELb0ELb1EEEvPT_PKS4_PfPimiiiif,"axG",@progbits,_ZN5aiter19grouped_topk_kernelIN3c108BFloat16EDv1_fLi1ELb0ELb0ELb1EEEvPT_PKS4_PfPimiiiif,comdat
.Lfunc_end285:
	.size	_ZN5aiter19grouped_topk_kernelIN3c108BFloat16EDv1_fLi1ELb0ELb0ELb1EEEvPT_PKS4_PfPimiiiif, .Lfunc_end285-_ZN5aiter19grouped_topk_kernelIN3c108BFloat16EDv1_fLi1ELb0ELb0ELb1EEEvPT_PKS4_PfPimiiiif
                                        ; -- End function
	.section	.AMDGPU.csdata,"",@progbits
; Kernel info:
; codeLenInByte = 1452
; NumSgprs: 24
; NumVgprs: 12
; NumAgprs: 0
; TotalNumVgprs: 12
; ScratchSize: 0
; MemoryBound: 0
; FloatMode: 240
; IeeeMode: 1
; LDSByteSize: 0 bytes/workgroup (compile time only)
; SGPRBlocks: 2
; VGPRBlocks: 1
; NumSGPRsForWavesPerEU: 24
; NumVGPRsForWavesPerEU: 12
; AccumOffset: 12
; Occupancy: 8
; WaveLimiterHint : 0
; COMPUTE_PGM_RSRC2:SCRATCH_EN: 0
; COMPUTE_PGM_RSRC2:USER_SGPR: 6
; COMPUTE_PGM_RSRC2:TRAP_HANDLER: 0
; COMPUTE_PGM_RSRC2:TGID_X_EN: 1
; COMPUTE_PGM_RSRC2:TGID_Y_EN: 0
; COMPUTE_PGM_RSRC2:TGID_Z_EN: 0
; COMPUTE_PGM_RSRC2:TIDIG_COMP_CNT: 0
; COMPUTE_PGM_RSRC3_GFX90A:ACCUM_OFFSET: 2
; COMPUTE_PGM_RSRC3_GFX90A:TG_SPLIT: 0
	.section	.text._ZN5aiter19grouped_topk_kernelIfDv1_fLi1ELb0ELb0ELb0EEEvPT_PKS2_PfPimiiiif,"axG",@progbits,_ZN5aiter19grouped_topk_kernelIfDv1_fLi1ELb0ELb0ELb0EEEvPT_PKS2_PfPimiiiif,comdat
	.protected	_ZN5aiter19grouped_topk_kernelIfDv1_fLi1ELb0ELb0ELb0EEEvPT_PKS2_PfPimiiiif ; -- Begin function _ZN5aiter19grouped_topk_kernelIfDv1_fLi1ELb0ELb0ELb0EEEvPT_PKS2_PfPimiiiif
	.globl	_ZN5aiter19grouped_topk_kernelIfDv1_fLi1ELb0ELb0ELb0EEEvPT_PKS2_PfPimiiiif
	.p2align	8
	.type	_ZN5aiter19grouped_topk_kernelIfDv1_fLi1ELb0ELb0ELb0EEEvPT_PKS2_PfPimiiiif,@function
_ZN5aiter19grouped_topk_kernelIfDv1_fLi1ELb0ELb0ELb0EEEvPT_PKS2_PfPimiiiif: ; @_ZN5aiter19grouped_topk_kernelIfDv1_fLi1ELb0ELb0ELb0EEEvPT_PKS2_PfPimiiiif
; %bb.0:
	s_load_dwordx2 s[2:3], s[4:5], 0x28
	s_load_dwordx4 s[8:11], s[4:5], 0x10
	v_lshl_add_u32 v1, v0, 2, 0
	s_waitcnt lgkmcnt(0)
	v_cmp_gt_i32_e64 s[0:1], s2, v0
	s_and_saveexec_b64 s[12:13], s[0:1]
	s_cbranch_execz .LBB286_3
; %bb.1:
	s_load_dwordx2 s[14:15], s[4:5], 0x0
	s_load_dword s18, s[4:5], 0x4c
	s_mul_i32 s16, s6, s2
	s_ashr_i32 s17, s16, 31
	s_lshl_b64 s[16:17], s[16:17], 2
	s_waitcnt lgkmcnt(0)
	s_add_u32 s7, s14, s16
	s_addc_u32 s19, s15, s17
	s_and_b32 s16, s18, 0xffff
	v_lshl_add_u32 v4, v0, 2, 0
	s_lshl_b32 s17, s16, 2
	s_mov_b64 s[14:15], 0
	v_mov_b32_e32 v5, s19
	s_mov_b32 s18, 0xbfb8aa3b
	s_mov_b32 s19, 0x42ce8ed0
	;; [unrolled: 1-line block ×3, first 2 shown]
	v_mov_b32_e32 v6, 0x7f800000
	v_mov_b32_e32 v2, v0
.LBB286_2:                              ; =>This Inner Loop Header: Depth=1
	v_ashrrev_i32_e32 v3, 31, v2
	v_lshlrev_b64 v[8:9], 2, v[2:3]
	v_add_co_u32_e32 v8, vcc, s7, v8
	v_addc_co_u32_e32 v9, vcc, v5, v9, vcc
	global_load_dword v3, v[8:9], off
	v_add_u32_e32 v2, s16, v2
	v_cmp_le_i32_e32 vcc, s2, v2
	s_or_b64 s[14:15], vcc, s[14:15]
	s_waitcnt vmcnt(0)
	v_mul_f32_e32 v7, 0xbfb8aa3b, v3
	v_fma_f32 v8, v3, s18, -v7
	v_rndne_f32_e32 v9, v7
	v_fmac_f32_e32 v8, 0xb2a5705f, v3
	v_sub_f32_e32 v7, v7, v9
	v_add_f32_e32 v7, v7, v8
	v_cvt_i32_f32_e32 v9, v9
	v_exp_f32_e32 v7, v7
	v_cmp_nlt_f32_e32 vcc, s19, v3
	v_ldexp_f32 v7, v7, v9
	v_cndmask_b32_e32 v7, 0, v7, vcc
	v_cmp_ngt_f32_e32 vcc, s20, v3
	v_cndmask_b32_e32 v3, v6, v7, vcc
	v_add_f32_e32 v3, 1.0, v3
	v_div_scale_f32 v7, s[22:23], v3, v3, 1.0
	v_rcp_f32_e32 v8, v7
	v_div_scale_f32 v9, vcc, 1.0, v3, 1.0
	v_fma_f32 v10, -v7, v8, 1.0
	v_fmac_f32_e32 v8, v10, v8
	v_mul_f32_e32 v10, v9, v8
	v_fma_f32 v11, -v7, v10, v9
	v_fmac_f32_e32 v10, v11, v8
	v_fma_f32 v7, -v7, v10, v9
	v_div_fmas_f32 v7, v7, v8, v10
	v_div_fixup_f32 v3, v7, v3, 1.0
	ds_write_b32 v4, v3
	v_add_u32_e32 v4, s17, v4
	s_andn2_b64 exec, exec, s[14:15]
	s_cbranch_execnz .LBB286_2
.LBB286_3:
	s_or_b64 exec, exec, s[12:13]
	s_cmp_lt_i32 s3, 1
	s_waitcnt lgkmcnt(0)
	s_barrier
	s_cbranch_scc1 .LBB286_10
; %bb.4:
	s_add_u32 s12, s4, 64
	s_addc_u32 s13, s5, 0
	s_mov_b32 s7, 0
	v_mov_b32_e32 v4, 0xff800000
                                        ; implicit-def: $vgpr3
                                        ; implicit-def: $vgpr2
	s_branch .LBB286_6
.LBB286_5:                              ;   in Loop: Header=BB286_6 Depth=1
	s_or_b64 exec, exec, s[14:15]
	v_mov_b32_dpp v8, v6 quad_perm:[1,0,3,2] row_mask:0xf bank_mask:0xf
	v_cmp_lt_f32_e32 vcc, v6, v8
	v_cndmask_b32_e32 v6, v6, v8, vcc
	v_mov_b32_dpp v7, v5 quad_perm:[1,0,3,2] row_mask:0xf bank_mask:0xf
	v_cndmask_b32_e32 v5, v5, v7, vcc
	v_mov_b32_dpp v8, v6 quad_perm:[2,3,0,1] row_mask:0xf bank_mask:0xf
	v_cmp_gt_f32_e32 vcc, v8, v6
	v_cndmask_b32_e32 v6, v6, v8, vcc
	v_mov_b32_dpp v7, v5 quad_perm:[2,3,0,1] row_mask:0xf bank_mask:0xf
	v_cndmask_b32_e32 v5, v5, v7, vcc
	v_mov_b32_dpp v8, v6 row_half_mirror row_mask:0xf bank_mask:0xf
	v_cmp_gt_f32_e32 vcc, v8, v6
	v_cndmask_b32_e32 v6, v6, v8, vcc
	v_mov_b32_dpp v7, v5 row_half_mirror row_mask:0xf bank_mask:0xf
	v_cndmask_b32_e32 v5, v5, v7, vcc
	v_mov_b32_dpp v8, v6 row_mirror row_mask:0xf bank_mask:0xf
	v_cmp_gt_f32_e32 vcc, v8, v6
	v_cndmask_b32_e32 v6, v6, v8, vcc
	v_mov_b32_dpp v7, v5 row_mirror row_mask:0xf bank_mask:0xf
	v_cndmask_b32_e32 v5, v5, v7, vcc
	v_mov_b32_dpp v8, v6 row_bcast:15 row_mask:0xf bank_mask:0xf
	v_cmp_gt_f32_e32 vcc, v8, v6
	v_mov_b32_dpp v7, v5 row_bcast:15 row_mask:0xf bank_mask:0xf
	v_cndmask_b32_e32 v6, v6, v8, vcc
	v_cndmask_b32_e32 v5, v5, v7, vcc
	s_nop 0
	v_mov_b32_dpp v8, v6 row_bcast:31 row_mask:0xf bank_mask:0xf
	v_mov_b32_dpp v7, v5 row_bcast:31 row_mask:0xf bank_mask:0xf
	v_cmp_gt_f32_e32 vcc, v8, v6
	v_cndmask_b32_e32 v5, v5, v7, vcc
	v_readlane_b32 s15, v5, 63
	s_lshl_b32 s16, s15, 2
	s_add_i32 s16, s16, 0
	v_cndmask_b32_e32 v6, v6, v8, vcc
	v_mov_b32_e32 v5, s16
	v_readlane_b32 s14, v6, 63
	ds_write_b32 v5, v4
	v_mov_b32_e32 v5, s15
	v_cmp_eq_u32_e32 vcc, s7, v0
	v_cndmask_b32_e32 v2, v2, v5, vcc
	v_mov_b32_e32 v5, s14
	s_add_i32 s7, s7, 1
	s_cmp_eq_u32 s7, s3
	v_cndmask_b32_e32 v3, v3, v5, vcc
	s_cbranch_scc1 .LBB286_11
.LBB286_6:                              ; =>This Loop Header: Depth=1
                                        ;     Child Loop BB286_8 Depth 2
	v_mov_b32_e32 v5, s7
	v_mov_b32_e32 v6, 0xff800000
	s_and_saveexec_b64 s[14:15], s[0:1]
	s_cbranch_execz .LBB286_5
; %bb.7:                                ;   in Loop: Header=BB286_6 Depth=1
	s_load_dword s18, s[12:13], 0xc
	s_mov_b64 s[16:17], 0
	v_mov_b32_e32 v5, s7
	v_mov_b32_e32 v6, 0xff800000
	;; [unrolled: 1-line block ×3, first 2 shown]
	s_waitcnt lgkmcnt(0)
	s_and_b32 s18, s18, 0xffff
	s_lshl_b32 s19, s18, 2
	v_mov_b32_e32 v8, v0
.LBB286_8:                              ;   Parent Loop BB286_6 Depth=1
                                        ; =>  This Inner Loop Header: Depth=2
	ds_read_b32 v9, v7
	v_add_u32_e32 v7, s19, v7
	s_waitcnt lgkmcnt(0)
	v_cmp_gt_f32_e32 vcc, v9, v6
	v_cndmask_b32_e32 v5, v5, v8, vcc
	v_add_u32_e32 v8, s18, v8
	v_cndmask_b32_e32 v6, v6, v9, vcc
	v_cmp_le_i32_e32 vcc, s2, v8
	s_or_b64 s[16:17], vcc, s[16:17]
	s_andn2_b64 exec, exec, s[16:17]
	s_cbranch_execnz .LBB286_8
; %bb.9:                                ;   in Loop: Header=BB286_6 Depth=1
	s_or_b64 exec, exec, s[16:17]
	s_branch .LBB286_5
.LBB286_10:
                                        ; implicit-def: $vgpr3
                                        ; implicit-def: $vgpr2
.LBB286_11:
	v_cmp_gt_i32_e32 vcc, s3, v0
	s_and_saveexec_b64 s[0:1], vcc
	s_cbranch_execz .LBB286_14
; %bb.12:
	s_load_dword s2, s[4:5], 0x38
	s_load_dwordx2 s[0:1], s[4:5], 0x20
	s_ashr_i32 s7, s6, 31
	s_load_dword s4, s[4:5], 0x4c
	v_mov_b32_e32 v4, s9
	s_waitcnt lgkmcnt(0)
	v_mul_f32_e32 v1, s2, v3
	s_mul_i32 s1, s6, s1
	s_mul_hi_u32 s2, s6, s0
	s_add_i32 s1, s2, s1
	s_mul_i32 s7, s7, s0
	s_add_i32 s5, s1, s7
	s_mul_i32 s2, s6, s0
	s_and_b32 s4, s4, 0xffff
	s_mov_b64 s[0:1], 0
	v_mov_b32_e32 v3, s5
	v_mov_b32_e32 v5, s11
.LBB286_13:                             ; =>This Inner Loop Header: Depth=1
	v_ashrrev_i32_e32 v7, 31, v0
	v_add_co_u32_e32 v6, vcc, s2, v0
	v_addc_co_u32_e32 v7, vcc, v3, v7, vcc
	v_add_u32_e32 v0, s4, v0
	v_cmp_le_i32_e32 vcc, s3, v0
	v_lshlrev_b64 v[6:7], 2, v[6:7]
	s_or_b64 s[0:1], vcc, s[0:1]
	v_add_co_u32_e32 v8, vcc, s8, v6
	v_addc_co_u32_e32 v9, vcc, v4, v7, vcc
	v_add_co_u32_e32 v6, vcc, s10, v6
	v_addc_co_u32_e32 v7, vcc, v5, v7, vcc
	global_store_dword v[8:9], v1, off
	global_store_dword v[6:7], v2, off
	s_andn2_b64 exec, exec, s[0:1]
	s_cbranch_execnz .LBB286_13
.LBB286_14:
	s_endpgm
	.section	.rodata,"a",@progbits
	.p2align	6, 0x0
	.amdhsa_kernel _ZN5aiter19grouped_topk_kernelIfDv1_fLi1ELb0ELb0ELb0EEEvPT_PKS2_PfPimiiiif
		.amdhsa_group_segment_fixed_size 0
		.amdhsa_private_segment_fixed_size 0
		.amdhsa_kernarg_size 320
		.amdhsa_user_sgpr_count 6
		.amdhsa_user_sgpr_private_segment_buffer 1
		.amdhsa_user_sgpr_dispatch_ptr 0
		.amdhsa_user_sgpr_queue_ptr 0
		.amdhsa_user_sgpr_kernarg_segment_ptr 1
		.amdhsa_user_sgpr_dispatch_id 0
		.amdhsa_user_sgpr_flat_scratch_init 0
		.amdhsa_user_sgpr_kernarg_preload_length 0
		.amdhsa_user_sgpr_kernarg_preload_offset 0
		.amdhsa_user_sgpr_private_segment_size 0
		.amdhsa_uses_dynamic_stack 0
		.amdhsa_system_sgpr_private_segment_wavefront_offset 0
		.amdhsa_system_sgpr_workgroup_id_x 1
		.amdhsa_system_sgpr_workgroup_id_y 0
		.amdhsa_system_sgpr_workgroup_id_z 0
		.amdhsa_system_sgpr_workgroup_info 0
		.amdhsa_system_vgpr_workitem_id 0
		.amdhsa_next_free_vgpr 12
		.amdhsa_next_free_sgpr 24
		.amdhsa_accum_offset 12
		.amdhsa_reserve_vcc 1
		.amdhsa_reserve_flat_scratch 0
		.amdhsa_float_round_mode_32 0
		.amdhsa_float_round_mode_16_64 0
		.amdhsa_float_denorm_mode_32 3
		.amdhsa_float_denorm_mode_16_64 3
		.amdhsa_dx10_clamp 1
		.amdhsa_ieee_mode 1
		.amdhsa_fp16_overflow 0
		.amdhsa_tg_split 0
		.amdhsa_exception_fp_ieee_invalid_op 0
		.amdhsa_exception_fp_denorm_src 0
		.amdhsa_exception_fp_ieee_div_zero 0
		.amdhsa_exception_fp_ieee_overflow 0
		.amdhsa_exception_fp_ieee_underflow 0
		.amdhsa_exception_fp_ieee_inexact 0
		.amdhsa_exception_int_div_zero 0
	.end_amdhsa_kernel
	.section	.text._ZN5aiter19grouped_topk_kernelIfDv1_fLi1ELb0ELb0ELb0EEEvPT_PKS2_PfPimiiiif,"axG",@progbits,_ZN5aiter19grouped_topk_kernelIfDv1_fLi1ELb0ELb0ELb0EEEvPT_PKS2_PfPimiiiif,comdat
.Lfunc_end286:
	.size	_ZN5aiter19grouped_topk_kernelIfDv1_fLi1ELb0ELb0ELb0EEEvPT_PKS2_PfPimiiiif, .Lfunc_end286-_ZN5aiter19grouped_topk_kernelIfDv1_fLi1ELb0ELb0ELb0EEEvPT_PKS2_PfPimiiiif
                                        ; -- End function
	.section	.AMDGPU.csdata,"",@progbits
; Kernel info:
; codeLenInByte = 940
; NumSgprs: 28
; NumVgprs: 12
; NumAgprs: 0
; TotalNumVgprs: 12
; ScratchSize: 0
; MemoryBound: 0
; FloatMode: 240
; IeeeMode: 1
; LDSByteSize: 0 bytes/workgroup (compile time only)
; SGPRBlocks: 3
; VGPRBlocks: 1
; NumSGPRsForWavesPerEU: 28
; NumVGPRsForWavesPerEU: 12
; AccumOffset: 12
; Occupancy: 8
; WaveLimiterHint : 0
; COMPUTE_PGM_RSRC2:SCRATCH_EN: 0
; COMPUTE_PGM_RSRC2:USER_SGPR: 6
; COMPUTE_PGM_RSRC2:TRAP_HANDLER: 0
; COMPUTE_PGM_RSRC2:TGID_X_EN: 1
; COMPUTE_PGM_RSRC2:TGID_Y_EN: 0
; COMPUTE_PGM_RSRC2:TGID_Z_EN: 0
; COMPUTE_PGM_RSRC2:TIDIG_COMP_CNT: 0
; COMPUTE_PGM_RSRC3_GFX90A:ACCUM_OFFSET: 2
; COMPUTE_PGM_RSRC3_GFX90A:TG_SPLIT: 0
	.section	.text._ZN5aiter19grouped_topk_kernelIN3c104HalfEDv1_fLi1ELb0ELb0ELb0EEEvPT_PKS4_PfPimiiiif,"axG",@progbits,_ZN5aiter19grouped_topk_kernelIN3c104HalfEDv1_fLi1ELb0ELb0ELb0EEEvPT_PKS4_PfPimiiiif,comdat
	.protected	_ZN5aiter19grouped_topk_kernelIN3c104HalfEDv1_fLi1ELb0ELb0ELb0EEEvPT_PKS4_PfPimiiiif ; -- Begin function _ZN5aiter19grouped_topk_kernelIN3c104HalfEDv1_fLi1ELb0ELb0ELb0EEEvPT_PKS4_PfPimiiiif
	.globl	_ZN5aiter19grouped_topk_kernelIN3c104HalfEDv1_fLi1ELb0ELb0ELb0EEEvPT_PKS4_PfPimiiiif
	.p2align	8
	.type	_ZN5aiter19grouped_topk_kernelIN3c104HalfEDv1_fLi1ELb0ELb0ELb0EEEvPT_PKS4_PfPimiiiif,@function
_ZN5aiter19grouped_topk_kernelIN3c104HalfEDv1_fLi1ELb0ELb0ELb0EEEvPT_PKS4_PfPimiiiif: ; @_ZN5aiter19grouped_topk_kernelIN3c104HalfEDv1_fLi1ELb0ELb0ELb0EEEvPT_PKS4_PfPimiiiif
; %bb.0:
	s_load_dwordx2 s[2:3], s[4:5], 0x28
	s_load_dwordx4 s[8:11], s[4:5], 0x10
	v_lshl_add_u32 v1, v0, 2, 0
	s_waitcnt lgkmcnt(0)
	v_cmp_gt_i32_e64 s[0:1], s2, v0
	s_and_saveexec_b64 s[12:13], s[0:1]
	s_cbranch_execz .LBB287_3
; %bb.1:
	s_load_dwordx2 s[14:15], s[4:5], 0x0
	s_load_dword s18, s[4:5], 0x4c
	s_mul_i32 s16, s6, s2
	s_ashr_i32 s17, s16, 31
	s_lshl_b64 s[16:17], s[16:17], 1
	s_waitcnt lgkmcnt(0)
	s_add_u32 s7, s14, s16
	s_addc_u32 s19, s15, s17
	s_and_b32 s16, s18, 0xffff
	v_lshl_add_u32 v4, v0, 2, 0
	s_lshl_b32 s17, s16, 2
	s_mov_b64 s[14:15], 0
	v_mov_b32_e32 v5, s19
	s_mov_b32 s18, 0x3fb8aa3b
	s_mov_b32 s19, 0x32a5705f
	;; [unrolled: 1-line block ×4, first 2 shown]
	v_mov_b32_e32 v6, 0x7f800000
	v_mov_b32_e32 v2, v0
.LBB287_2:                              ; =>This Inner Loop Header: Depth=1
	v_ashrrev_i32_e32 v3, 31, v2
	v_lshlrev_b64 v[8:9], 1, v[2:3]
	v_add_co_u32_e32 v8, vcc, s7, v8
	v_addc_co_u32_e32 v9, vcc, v5, v9, vcc
	global_load_ushort v3, v[8:9], off
	v_add_u32_e32 v2, s16, v2
	v_cmp_le_i32_e32 vcc, s2, v2
	s_or_b64 s[14:15], vcc, s[14:15]
	s_waitcnt vmcnt(0)
	v_cvt_f32_f16_e64 v7, -v3
	v_mul_f32_e32 v8, 0x3fb8aa3b, v7
	v_fma_mix_f32 v9, -v3, s18, -v8 op_sel_hi:[1,0,0]
	v_rndne_f32_e32 v10, v8
	v_fma_mix_f32 v3, -v3, s19, v9 op_sel_hi:[1,0,0]
	v_sub_f32_e32 v8, v8, v10
	v_add_f32_e32 v3, v8, v3
	v_cvt_i32_f32_e32 v9, v10
	v_exp_f32_e32 v3, v3
	v_cmp_ngt_f32_e32 vcc, s20, v7
	v_ldexp_f32 v3, v3, v9
	v_cndmask_b32_e32 v3, 0, v3, vcc
	v_cmp_nlt_f32_e32 vcc, s21, v7
	v_cndmask_b32_e32 v3, v6, v3, vcc
	v_add_f32_e32 v3, 1.0, v3
	v_div_scale_f32 v7, s[22:23], v3, v3, 1.0
	v_rcp_f32_e32 v8, v7
	v_div_scale_f32 v9, vcc, 1.0, v3, 1.0
	v_fma_f32 v10, -v7, v8, 1.0
	v_fmac_f32_e32 v8, v10, v8
	v_mul_f32_e32 v10, v9, v8
	v_fma_f32 v11, -v7, v10, v9
	v_fmac_f32_e32 v10, v11, v8
	v_fma_f32 v7, -v7, v10, v9
	v_div_fmas_f32 v7, v7, v8, v10
	v_div_fixup_f32 v3, v7, v3, 1.0
	ds_write_b32 v4, v3
	v_add_u32_e32 v4, s17, v4
	s_andn2_b64 exec, exec, s[14:15]
	s_cbranch_execnz .LBB287_2
.LBB287_3:
	s_or_b64 exec, exec, s[12:13]
	s_cmp_lt_i32 s3, 1
	s_waitcnt lgkmcnt(0)
	s_barrier
	s_cbranch_scc1 .LBB287_10
; %bb.4:
	s_add_u32 s12, s4, 64
	s_addc_u32 s13, s5, 0
	s_mov_b32 s7, 0
	v_mov_b32_e32 v4, 0xff800000
                                        ; implicit-def: $vgpr3
                                        ; implicit-def: $vgpr2
	s_branch .LBB287_6
.LBB287_5:                              ;   in Loop: Header=BB287_6 Depth=1
	s_or_b64 exec, exec, s[14:15]
	v_mov_b32_dpp v8, v6 quad_perm:[1,0,3,2] row_mask:0xf bank_mask:0xf
	v_cmp_lt_f32_e32 vcc, v6, v8
	v_cndmask_b32_e32 v6, v6, v8, vcc
	v_mov_b32_dpp v7, v5 quad_perm:[1,0,3,2] row_mask:0xf bank_mask:0xf
	v_cndmask_b32_e32 v5, v5, v7, vcc
	v_mov_b32_dpp v8, v6 quad_perm:[2,3,0,1] row_mask:0xf bank_mask:0xf
	v_cmp_gt_f32_e32 vcc, v8, v6
	v_cndmask_b32_e32 v6, v6, v8, vcc
	v_mov_b32_dpp v7, v5 quad_perm:[2,3,0,1] row_mask:0xf bank_mask:0xf
	v_cndmask_b32_e32 v5, v5, v7, vcc
	v_mov_b32_dpp v8, v6 row_half_mirror row_mask:0xf bank_mask:0xf
	v_cmp_gt_f32_e32 vcc, v8, v6
	v_cndmask_b32_e32 v6, v6, v8, vcc
	v_mov_b32_dpp v7, v5 row_half_mirror row_mask:0xf bank_mask:0xf
	v_cndmask_b32_e32 v5, v5, v7, vcc
	v_mov_b32_dpp v8, v6 row_mirror row_mask:0xf bank_mask:0xf
	v_cmp_gt_f32_e32 vcc, v8, v6
	v_cndmask_b32_e32 v6, v6, v8, vcc
	v_mov_b32_dpp v7, v5 row_mirror row_mask:0xf bank_mask:0xf
	v_cndmask_b32_e32 v5, v5, v7, vcc
	v_mov_b32_dpp v8, v6 row_bcast:15 row_mask:0xf bank_mask:0xf
	v_cmp_gt_f32_e32 vcc, v8, v6
	v_mov_b32_dpp v7, v5 row_bcast:15 row_mask:0xf bank_mask:0xf
	v_cndmask_b32_e32 v6, v6, v8, vcc
	v_cndmask_b32_e32 v5, v5, v7, vcc
	s_nop 0
	v_mov_b32_dpp v8, v6 row_bcast:31 row_mask:0xf bank_mask:0xf
	v_mov_b32_dpp v7, v5 row_bcast:31 row_mask:0xf bank_mask:0xf
	v_cmp_gt_f32_e32 vcc, v8, v6
	v_cndmask_b32_e32 v5, v5, v7, vcc
	v_readlane_b32 s15, v5, 63
	s_lshl_b32 s16, s15, 2
	s_add_i32 s16, s16, 0
	v_cndmask_b32_e32 v6, v6, v8, vcc
	v_mov_b32_e32 v5, s16
	v_readlane_b32 s14, v6, 63
	ds_write_b32 v5, v4
	v_mov_b32_e32 v5, s15
	v_cmp_eq_u32_e32 vcc, s7, v0
	v_cndmask_b32_e32 v2, v2, v5, vcc
	v_mov_b32_e32 v5, s14
	s_add_i32 s7, s7, 1
	s_cmp_eq_u32 s7, s3
	v_cndmask_b32_e32 v3, v3, v5, vcc
	s_cbranch_scc1 .LBB287_11
.LBB287_6:                              ; =>This Loop Header: Depth=1
                                        ;     Child Loop BB287_8 Depth 2
	v_mov_b32_e32 v5, s7
	v_mov_b32_e32 v6, 0xff800000
	s_and_saveexec_b64 s[14:15], s[0:1]
	s_cbranch_execz .LBB287_5
; %bb.7:                                ;   in Loop: Header=BB287_6 Depth=1
	s_load_dword s18, s[12:13], 0xc
	s_mov_b64 s[16:17], 0
	v_mov_b32_e32 v5, s7
	v_mov_b32_e32 v6, 0xff800000
	;; [unrolled: 1-line block ×3, first 2 shown]
	s_waitcnt lgkmcnt(0)
	s_and_b32 s18, s18, 0xffff
	s_lshl_b32 s19, s18, 2
	v_mov_b32_e32 v8, v0
.LBB287_8:                              ;   Parent Loop BB287_6 Depth=1
                                        ; =>  This Inner Loop Header: Depth=2
	ds_read_b32 v9, v7
	v_add_u32_e32 v7, s19, v7
	s_waitcnt lgkmcnt(0)
	v_cmp_gt_f32_e32 vcc, v9, v6
	v_cndmask_b32_e32 v5, v5, v8, vcc
	v_add_u32_e32 v8, s18, v8
	v_cndmask_b32_e32 v6, v6, v9, vcc
	v_cmp_le_i32_e32 vcc, s2, v8
	s_or_b64 s[16:17], vcc, s[16:17]
	s_andn2_b64 exec, exec, s[16:17]
	s_cbranch_execnz .LBB287_8
; %bb.9:                                ;   in Loop: Header=BB287_6 Depth=1
	s_or_b64 exec, exec, s[16:17]
	s_branch .LBB287_5
.LBB287_10:
                                        ; implicit-def: $vgpr3
                                        ; implicit-def: $vgpr2
.LBB287_11:
	v_cmp_gt_i32_e32 vcc, s3, v0
	s_and_saveexec_b64 s[0:1], vcc
	s_cbranch_execz .LBB287_14
; %bb.12:
	s_load_dword s2, s[4:5], 0x38
	s_load_dwordx2 s[0:1], s[4:5], 0x20
	s_ashr_i32 s7, s6, 31
	s_load_dword s4, s[4:5], 0x4c
	v_mov_b32_e32 v4, s9
	s_waitcnt lgkmcnt(0)
	v_mul_f32_e32 v1, s2, v3
	s_mul_i32 s1, s6, s1
	s_mul_hi_u32 s2, s6, s0
	s_add_i32 s1, s2, s1
	s_mul_i32 s7, s7, s0
	s_add_i32 s5, s1, s7
	s_mul_i32 s2, s6, s0
	s_and_b32 s4, s4, 0xffff
	s_mov_b64 s[0:1], 0
	v_mov_b32_e32 v3, s5
	v_mov_b32_e32 v5, s11
.LBB287_13:                             ; =>This Inner Loop Header: Depth=1
	v_ashrrev_i32_e32 v7, 31, v0
	v_add_co_u32_e32 v6, vcc, s2, v0
	v_addc_co_u32_e32 v7, vcc, v3, v7, vcc
	v_add_u32_e32 v0, s4, v0
	v_cmp_le_i32_e32 vcc, s3, v0
	v_lshlrev_b64 v[6:7], 2, v[6:7]
	s_or_b64 s[0:1], vcc, s[0:1]
	v_add_co_u32_e32 v8, vcc, s8, v6
	v_addc_co_u32_e32 v9, vcc, v4, v7, vcc
	v_add_co_u32_e32 v6, vcc, s10, v6
	v_addc_co_u32_e32 v7, vcc, v5, v7, vcc
	global_store_dword v[8:9], v1, off
	global_store_dword v[6:7], v2, off
	s_andn2_b64 exec, exec, s[0:1]
	s_cbranch_execnz .LBB287_13
.LBB287_14:
	s_endpgm
	.section	.rodata,"a",@progbits
	.p2align	6, 0x0
	.amdhsa_kernel _ZN5aiter19grouped_topk_kernelIN3c104HalfEDv1_fLi1ELb0ELb0ELb0EEEvPT_PKS4_PfPimiiiif
		.amdhsa_group_segment_fixed_size 0
		.amdhsa_private_segment_fixed_size 0
		.amdhsa_kernarg_size 320
		.amdhsa_user_sgpr_count 6
		.amdhsa_user_sgpr_private_segment_buffer 1
		.amdhsa_user_sgpr_dispatch_ptr 0
		.amdhsa_user_sgpr_queue_ptr 0
		.amdhsa_user_sgpr_kernarg_segment_ptr 1
		.amdhsa_user_sgpr_dispatch_id 0
		.amdhsa_user_sgpr_flat_scratch_init 0
		.amdhsa_user_sgpr_kernarg_preload_length 0
		.amdhsa_user_sgpr_kernarg_preload_offset 0
		.amdhsa_user_sgpr_private_segment_size 0
		.amdhsa_uses_dynamic_stack 0
		.amdhsa_system_sgpr_private_segment_wavefront_offset 0
		.amdhsa_system_sgpr_workgroup_id_x 1
		.amdhsa_system_sgpr_workgroup_id_y 0
		.amdhsa_system_sgpr_workgroup_id_z 0
		.amdhsa_system_sgpr_workgroup_info 0
		.amdhsa_system_vgpr_workitem_id 0
		.amdhsa_next_free_vgpr 12
		.amdhsa_next_free_sgpr 24
		.amdhsa_accum_offset 12
		.amdhsa_reserve_vcc 1
		.amdhsa_reserve_flat_scratch 0
		.amdhsa_float_round_mode_32 0
		.amdhsa_float_round_mode_16_64 0
		.amdhsa_float_denorm_mode_32 3
		.amdhsa_float_denorm_mode_16_64 3
		.amdhsa_dx10_clamp 1
		.amdhsa_ieee_mode 1
		.amdhsa_fp16_overflow 0
		.amdhsa_tg_split 0
		.amdhsa_exception_fp_ieee_invalid_op 0
		.amdhsa_exception_fp_denorm_src 0
		.amdhsa_exception_fp_ieee_div_zero 0
		.amdhsa_exception_fp_ieee_overflow 0
		.amdhsa_exception_fp_ieee_underflow 0
		.amdhsa_exception_fp_ieee_inexact 0
		.amdhsa_exception_int_div_zero 0
	.end_amdhsa_kernel
	.section	.text._ZN5aiter19grouped_topk_kernelIN3c104HalfEDv1_fLi1ELb0ELb0ELb0EEEvPT_PKS4_PfPimiiiif,"axG",@progbits,_ZN5aiter19grouped_topk_kernelIN3c104HalfEDv1_fLi1ELb0ELb0ELb0EEEvPT_PKS4_PfPimiiiif,comdat
.Lfunc_end287:
	.size	_ZN5aiter19grouped_topk_kernelIN3c104HalfEDv1_fLi1ELb0ELb0ELb0EEEvPT_PKS4_PfPimiiiif, .Lfunc_end287-_ZN5aiter19grouped_topk_kernelIN3c104HalfEDv1_fLi1ELb0ELb0ELb0EEEvPT_PKS4_PfPimiiiif
                                        ; -- End function
	.section	.AMDGPU.csdata,"",@progbits
; Kernel info:
; codeLenInByte = 956
; NumSgprs: 28
; NumVgprs: 12
; NumAgprs: 0
; TotalNumVgprs: 12
; ScratchSize: 0
; MemoryBound: 0
; FloatMode: 240
; IeeeMode: 1
; LDSByteSize: 0 bytes/workgroup (compile time only)
; SGPRBlocks: 3
; VGPRBlocks: 1
; NumSGPRsForWavesPerEU: 28
; NumVGPRsForWavesPerEU: 12
; AccumOffset: 12
; Occupancy: 8
; WaveLimiterHint : 0
; COMPUTE_PGM_RSRC2:SCRATCH_EN: 0
; COMPUTE_PGM_RSRC2:USER_SGPR: 6
; COMPUTE_PGM_RSRC2:TRAP_HANDLER: 0
; COMPUTE_PGM_RSRC2:TGID_X_EN: 1
; COMPUTE_PGM_RSRC2:TGID_Y_EN: 0
; COMPUTE_PGM_RSRC2:TGID_Z_EN: 0
; COMPUTE_PGM_RSRC2:TIDIG_COMP_CNT: 0
; COMPUTE_PGM_RSRC3_GFX90A:ACCUM_OFFSET: 2
; COMPUTE_PGM_RSRC3_GFX90A:TG_SPLIT: 0
	.section	.text._ZN5aiter19grouped_topk_kernelIN3c108BFloat16EDv1_fLi1ELb0ELb0ELb0EEEvPT_PKS4_PfPimiiiif,"axG",@progbits,_ZN5aiter19grouped_topk_kernelIN3c108BFloat16EDv1_fLi1ELb0ELb0ELb0EEEvPT_PKS4_PfPimiiiif,comdat
	.protected	_ZN5aiter19grouped_topk_kernelIN3c108BFloat16EDv1_fLi1ELb0ELb0ELb0EEEvPT_PKS4_PfPimiiiif ; -- Begin function _ZN5aiter19grouped_topk_kernelIN3c108BFloat16EDv1_fLi1ELb0ELb0ELb0EEEvPT_PKS4_PfPimiiiif
	.globl	_ZN5aiter19grouped_topk_kernelIN3c108BFloat16EDv1_fLi1ELb0ELb0ELb0EEEvPT_PKS4_PfPimiiiif
	.p2align	8
	.type	_ZN5aiter19grouped_topk_kernelIN3c108BFloat16EDv1_fLi1ELb0ELb0ELb0EEEvPT_PKS4_PfPimiiiif,@function
_ZN5aiter19grouped_topk_kernelIN3c108BFloat16EDv1_fLi1ELb0ELb0ELb0EEEvPT_PKS4_PfPimiiiif: ; @_ZN5aiter19grouped_topk_kernelIN3c108BFloat16EDv1_fLi1ELb0ELb0ELb0EEEvPT_PKS4_PfPimiiiif
; %bb.0:
	s_load_dwordx2 s[2:3], s[4:5], 0x28
	s_load_dwordx4 s[8:11], s[4:5], 0x10
	v_lshl_add_u32 v1, v0, 2, 0
	s_waitcnt lgkmcnt(0)
	v_cmp_gt_i32_e64 s[0:1], s2, v0
	s_and_saveexec_b64 s[12:13], s[0:1]
	s_cbranch_execz .LBB288_3
; %bb.1:
	s_load_dwordx2 s[14:15], s[4:5], 0x0
	s_load_dword s18, s[4:5], 0x4c
	s_mul_i32 s16, s6, s2
	s_ashr_i32 s17, s16, 31
	s_lshl_b64 s[16:17], s[16:17], 1
	s_waitcnt lgkmcnt(0)
	s_add_u32 s7, s14, s16
	s_addc_u32 s19, s15, s17
	s_and_b32 s16, s18, 0xffff
	v_lshl_add_u32 v4, v0, 2, 0
	s_lshl_b32 s17, s16, 2
	s_mov_b64 s[14:15], 0
	v_mov_b32_e32 v5, s19
	s_mov_b32 s18, 0xbfb8aa3b
	s_mov_b32 s19, 0x42ce8ed0
	;; [unrolled: 1-line block ×3, first 2 shown]
	v_mov_b32_e32 v6, 0x7f800000
	v_mov_b32_e32 v2, v0
.LBB288_2:                              ; =>This Inner Loop Header: Depth=1
	v_ashrrev_i32_e32 v3, 31, v2
	v_lshlrev_b64 v[8:9], 1, v[2:3]
	v_add_co_u32_e32 v8, vcc, s7, v8
	v_addc_co_u32_e32 v9, vcc, v5, v9, vcc
	global_load_ushort v3, v[8:9], off
	v_add_u32_e32 v2, s16, v2
	v_cmp_le_i32_e32 vcc, s2, v2
	s_or_b64 s[14:15], vcc, s[14:15]
	s_waitcnt vmcnt(0)
	v_cvt_f32_u32_e32 v3, v3
	v_mul_f32_e32 v7, 0xbfb8aa3b, v3
	v_fma_f32 v8, v3, s18, -v7
	v_rndne_f32_e32 v9, v7
	v_fmac_f32_e32 v8, 0xb2a5705f, v3
	v_sub_f32_e32 v7, v7, v9
	v_add_f32_e32 v7, v7, v8
	v_cvt_i32_f32_e32 v9, v9
	v_exp_f32_e32 v7, v7
	v_cmp_nlt_f32_e32 vcc, s19, v3
	v_ldexp_f32 v7, v7, v9
	v_cndmask_b32_e32 v7, 0, v7, vcc
	v_cmp_ngt_f32_e32 vcc, s20, v3
	v_cndmask_b32_e32 v3, v6, v7, vcc
	v_add_f32_e32 v3, 1.0, v3
	v_div_scale_f32 v7, s[22:23], v3, v3, 1.0
	v_rcp_f32_e32 v8, v7
	v_div_scale_f32 v9, vcc, 1.0, v3, 1.0
	v_fma_f32 v10, -v7, v8, 1.0
	v_fmac_f32_e32 v8, v10, v8
	v_mul_f32_e32 v10, v9, v8
	v_fma_f32 v11, -v7, v10, v9
	v_fmac_f32_e32 v10, v11, v8
	v_fma_f32 v7, -v7, v10, v9
	v_div_fmas_f32 v7, v7, v8, v10
	v_div_fixup_f32 v3, v7, v3, 1.0
	ds_write_b32 v4, v3
	v_add_u32_e32 v4, s17, v4
	s_andn2_b64 exec, exec, s[14:15]
	s_cbranch_execnz .LBB288_2
.LBB288_3:
	s_or_b64 exec, exec, s[12:13]
	s_cmp_lt_i32 s3, 1
	s_waitcnt lgkmcnt(0)
	s_barrier
	s_cbranch_scc1 .LBB288_10
; %bb.4:
	s_add_u32 s12, s4, 64
	s_addc_u32 s13, s5, 0
	s_mov_b32 s7, 0
	v_mov_b32_e32 v4, 0xff800000
                                        ; implicit-def: $vgpr3
                                        ; implicit-def: $vgpr2
	s_branch .LBB288_6
.LBB288_5:                              ;   in Loop: Header=BB288_6 Depth=1
	s_or_b64 exec, exec, s[14:15]
	v_mov_b32_dpp v8, v6 quad_perm:[1,0,3,2] row_mask:0xf bank_mask:0xf
	v_cmp_lt_f32_e32 vcc, v6, v8
	v_cndmask_b32_e32 v6, v6, v8, vcc
	v_mov_b32_dpp v7, v5 quad_perm:[1,0,3,2] row_mask:0xf bank_mask:0xf
	v_cndmask_b32_e32 v5, v5, v7, vcc
	v_mov_b32_dpp v8, v6 quad_perm:[2,3,0,1] row_mask:0xf bank_mask:0xf
	v_cmp_gt_f32_e32 vcc, v8, v6
	v_cndmask_b32_e32 v6, v6, v8, vcc
	v_mov_b32_dpp v7, v5 quad_perm:[2,3,0,1] row_mask:0xf bank_mask:0xf
	v_cndmask_b32_e32 v5, v5, v7, vcc
	v_mov_b32_dpp v8, v6 row_half_mirror row_mask:0xf bank_mask:0xf
	v_cmp_gt_f32_e32 vcc, v8, v6
	v_cndmask_b32_e32 v6, v6, v8, vcc
	v_mov_b32_dpp v7, v5 row_half_mirror row_mask:0xf bank_mask:0xf
	v_cndmask_b32_e32 v5, v5, v7, vcc
	v_mov_b32_dpp v8, v6 row_mirror row_mask:0xf bank_mask:0xf
	v_cmp_gt_f32_e32 vcc, v8, v6
	v_cndmask_b32_e32 v6, v6, v8, vcc
	v_mov_b32_dpp v7, v5 row_mirror row_mask:0xf bank_mask:0xf
	v_cndmask_b32_e32 v5, v5, v7, vcc
	v_mov_b32_dpp v8, v6 row_bcast:15 row_mask:0xf bank_mask:0xf
	v_cmp_gt_f32_e32 vcc, v8, v6
	v_mov_b32_dpp v7, v5 row_bcast:15 row_mask:0xf bank_mask:0xf
	v_cndmask_b32_e32 v6, v6, v8, vcc
	v_cndmask_b32_e32 v5, v5, v7, vcc
	s_nop 0
	v_mov_b32_dpp v8, v6 row_bcast:31 row_mask:0xf bank_mask:0xf
	v_mov_b32_dpp v7, v5 row_bcast:31 row_mask:0xf bank_mask:0xf
	v_cmp_gt_f32_e32 vcc, v8, v6
	v_cndmask_b32_e32 v5, v5, v7, vcc
	v_readlane_b32 s15, v5, 63
	s_lshl_b32 s16, s15, 2
	s_add_i32 s16, s16, 0
	v_cndmask_b32_e32 v6, v6, v8, vcc
	v_mov_b32_e32 v5, s16
	v_readlane_b32 s14, v6, 63
	ds_write_b32 v5, v4
	v_mov_b32_e32 v5, s15
	v_cmp_eq_u32_e32 vcc, s7, v0
	v_cndmask_b32_e32 v2, v2, v5, vcc
	v_mov_b32_e32 v5, s14
	s_add_i32 s7, s7, 1
	s_cmp_eq_u32 s7, s3
	v_cndmask_b32_e32 v3, v3, v5, vcc
	s_cbranch_scc1 .LBB288_11
.LBB288_6:                              ; =>This Loop Header: Depth=1
                                        ;     Child Loop BB288_8 Depth 2
	v_mov_b32_e32 v5, s7
	v_mov_b32_e32 v6, 0xff800000
	s_and_saveexec_b64 s[14:15], s[0:1]
	s_cbranch_execz .LBB288_5
; %bb.7:                                ;   in Loop: Header=BB288_6 Depth=1
	s_load_dword s18, s[12:13], 0xc
	s_mov_b64 s[16:17], 0
	v_mov_b32_e32 v5, s7
	v_mov_b32_e32 v6, 0xff800000
	;; [unrolled: 1-line block ×3, first 2 shown]
	s_waitcnt lgkmcnt(0)
	s_and_b32 s18, s18, 0xffff
	s_lshl_b32 s19, s18, 2
	v_mov_b32_e32 v8, v0
.LBB288_8:                              ;   Parent Loop BB288_6 Depth=1
                                        ; =>  This Inner Loop Header: Depth=2
	ds_read_b32 v9, v7
	v_add_u32_e32 v7, s19, v7
	s_waitcnt lgkmcnt(0)
	v_cmp_gt_f32_e32 vcc, v9, v6
	v_cndmask_b32_e32 v5, v5, v8, vcc
	v_add_u32_e32 v8, s18, v8
	v_cndmask_b32_e32 v6, v6, v9, vcc
	v_cmp_le_i32_e32 vcc, s2, v8
	s_or_b64 s[16:17], vcc, s[16:17]
	s_andn2_b64 exec, exec, s[16:17]
	s_cbranch_execnz .LBB288_8
; %bb.9:                                ;   in Loop: Header=BB288_6 Depth=1
	s_or_b64 exec, exec, s[16:17]
	s_branch .LBB288_5
.LBB288_10:
                                        ; implicit-def: $vgpr3
                                        ; implicit-def: $vgpr2
.LBB288_11:
	v_cmp_gt_i32_e32 vcc, s3, v0
	s_and_saveexec_b64 s[0:1], vcc
	s_cbranch_execz .LBB288_14
; %bb.12:
	s_load_dword s2, s[4:5], 0x38
	s_load_dwordx2 s[0:1], s[4:5], 0x20
	s_ashr_i32 s7, s6, 31
	s_load_dword s4, s[4:5], 0x4c
	v_mov_b32_e32 v4, s9
	s_waitcnt lgkmcnt(0)
	v_mul_f32_e32 v1, s2, v3
	s_mul_i32 s1, s6, s1
	s_mul_hi_u32 s2, s6, s0
	s_add_i32 s1, s2, s1
	s_mul_i32 s7, s7, s0
	s_add_i32 s5, s1, s7
	s_mul_i32 s2, s6, s0
	s_and_b32 s4, s4, 0xffff
	s_mov_b64 s[0:1], 0
	v_mov_b32_e32 v3, s5
	v_mov_b32_e32 v5, s11
.LBB288_13:                             ; =>This Inner Loop Header: Depth=1
	v_ashrrev_i32_e32 v7, 31, v0
	v_add_co_u32_e32 v6, vcc, s2, v0
	v_addc_co_u32_e32 v7, vcc, v3, v7, vcc
	v_add_u32_e32 v0, s4, v0
	v_cmp_le_i32_e32 vcc, s3, v0
	v_lshlrev_b64 v[6:7], 2, v[6:7]
	s_or_b64 s[0:1], vcc, s[0:1]
	v_add_co_u32_e32 v8, vcc, s8, v6
	v_addc_co_u32_e32 v9, vcc, v4, v7, vcc
	v_add_co_u32_e32 v6, vcc, s10, v6
	v_addc_co_u32_e32 v7, vcc, v5, v7, vcc
	global_store_dword v[8:9], v1, off
	global_store_dword v[6:7], v2, off
	s_andn2_b64 exec, exec, s[0:1]
	s_cbranch_execnz .LBB288_13
.LBB288_14:
	s_endpgm
	.section	.rodata,"a",@progbits
	.p2align	6, 0x0
	.amdhsa_kernel _ZN5aiter19grouped_topk_kernelIN3c108BFloat16EDv1_fLi1ELb0ELb0ELb0EEEvPT_PKS4_PfPimiiiif
		.amdhsa_group_segment_fixed_size 0
		.amdhsa_private_segment_fixed_size 0
		.amdhsa_kernarg_size 320
		.amdhsa_user_sgpr_count 6
		.amdhsa_user_sgpr_private_segment_buffer 1
		.amdhsa_user_sgpr_dispatch_ptr 0
		.amdhsa_user_sgpr_queue_ptr 0
		.amdhsa_user_sgpr_kernarg_segment_ptr 1
		.amdhsa_user_sgpr_dispatch_id 0
		.amdhsa_user_sgpr_flat_scratch_init 0
		.amdhsa_user_sgpr_kernarg_preload_length 0
		.amdhsa_user_sgpr_kernarg_preload_offset 0
		.amdhsa_user_sgpr_private_segment_size 0
		.amdhsa_uses_dynamic_stack 0
		.amdhsa_system_sgpr_private_segment_wavefront_offset 0
		.amdhsa_system_sgpr_workgroup_id_x 1
		.amdhsa_system_sgpr_workgroup_id_y 0
		.amdhsa_system_sgpr_workgroup_id_z 0
		.amdhsa_system_sgpr_workgroup_info 0
		.amdhsa_system_vgpr_workitem_id 0
		.amdhsa_next_free_vgpr 12
		.amdhsa_next_free_sgpr 24
		.amdhsa_accum_offset 12
		.amdhsa_reserve_vcc 1
		.amdhsa_reserve_flat_scratch 0
		.amdhsa_float_round_mode_32 0
		.amdhsa_float_round_mode_16_64 0
		.amdhsa_float_denorm_mode_32 3
		.amdhsa_float_denorm_mode_16_64 3
		.amdhsa_dx10_clamp 1
		.amdhsa_ieee_mode 1
		.amdhsa_fp16_overflow 0
		.amdhsa_tg_split 0
		.amdhsa_exception_fp_ieee_invalid_op 0
		.amdhsa_exception_fp_denorm_src 0
		.amdhsa_exception_fp_ieee_div_zero 0
		.amdhsa_exception_fp_ieee_overflow 0
		.amdhsa_exception_fp_ieee_underflow 0
		.amdhsa_exception_fp_ieee_inexact 0
		.amdhsa_exception_int_div_zero 0
	.end_amdhsa_kernel
	.section	.text._ZN5aiter19grouped_topk_kernelIN3c108BFloat16EDv1_fLi1ELb0ELb0ELb0EEEvPT_PKS4_PfPimiiiif,"axG",@progbits,_ZN5aiter19grouped_topk_kernelIN3c108BFloat16EDv1_fLi1ELb0ELb0ELb0EEEvPT_PKS4_PfPimiiiif,comdat
.Lfunc_end288:
	.size	_ZN5aiter19grouped_topk_kernelIN3c108BFloat16EDv1_fLi1ELb0ELb0ELb0EEEvPT_PKS4_PfPimiiiif, .Lfunc_end288-_ZN5aiter19grouped_topk_kernelIN3c108BFloat16EDv1_fLi1ELb0ELb0ELb0EEEvPT_PKS4_PfPimiiiif
                                        ; -- End function
	.section	.AMDGPU.csdata,"",@progbits
; Kernel info:
; codeLenInByte = 944
; NumSgprs: 28
; NumVgprs: 12
; NumAgprs: 0
; TotalNumVgprs: 12
; ScratchSize: 0
; MemoryBound: 0
; FloatMode: 240
; IeeeMode: 1
; LDSByteSize: 0 bytes/workgroup (compile time only)
; SGPRBlocks: 3
; VGPRBlocks: 1
; NumSGPRsForWavesPerEU: 28
; NumVGPRsForWavesPerEU: 12
; AccumOffset: 12
; Occupancy: 8
; WaveLimiterHint : 0
; COMPUTE_PGM_RSRC2:SCRATCH_EN: 0
; COMPUTE_PGM_RSRC2:USER_SGPR: 6
; COMPUTE_PGM_RSRC2:TRAP_HANDLER: 0
; COMPUTE_PGM_RSRC2:TGID_X_EN: 1
; COMPUTE_PGM_RSRC2:TGID_Y_EN: 0
; COMPUTE_PGM_RSRC2:TGID_Z_EN: 0
; COMPUTE_PGM_RSRC2:TIDIG_COMP_CNT: 0
; COMPUTE_PGM_RSRC3_GFX90A:ACCUM_OFFSET: 2
; COMPUTE_PGM_RSRC3_GFX90A:TG_SPLIT: 0
	.text
	.p2alignl 6, 3212836864
	.fill 256, 4, 3212836864
	.type	__hip_cuid_1148335074b2fccf,@object ; @__hip_cuid_1148335074b2fccf
	.section	.bss,"aw",@nobits
	.globl	__hip_cuid_1148335074b2fccf
__hip_cuid_1148335074b2fccf:
	.byte	0                               ; 0x0
	.size	__hip_cuid_1148335074b2fccf, 1

	.ident	"AMD clang version 19.0.0git (https://github.com/RadeonOpenCompute/llvm-project roc-6.4.0 25133 c7fe45cf4b819c5991fe208aaa96edf142730f1d)"
	.section	".note.GNU-stack","",@progbits
	.addrsig
	.addrsig_sym __hip_cuid_1148335074b2fccf
	.amdgpu_metadata
---
amdhsa.kernels:
  - .agpr_count:     0
    .args:           []
    .group_segment_fixed_size: 0
    .kernarg_segment_align: 4
    .kernarg_segment_size: 0
    .language:       OpenCL C
    .language_version:
      - 2
      - 0
    .max_flat_workgroup_size: 1024
    .name:           _ZN7ck_tileL11flush_cacheEv
    .private_segment_fixed_size: 0
    .sgpr_count:     4
    .sgpr_spill_count: 0
    .symbol:         _ZN7ck_tileL11flush_cacheEv.kd
    .uniform_work_group_size: 1
    .uses_dynamic_stack: false
    .vgpr_count:     0
    .vgpr_spill_count: 0
    .wavefront_size: 64
  - .agpr_count:     0
    .args:
      - .actual_access:  read_only
        .address_space:  global
        .offset:         0
        .size:           8
        .value_kind:     global_buffer
      - .actual_access:  read_only
        .address_space:  global
        .offset:         8
        .size:           8
        .value_kind:     global_buffer
      - .actual_access:  write_only
        .address_space:  global
        .offset:         16
        .size:           8
        .value_kind:     global_buffer
      - .actual_access:  write_only
        .address_space:  global
        .offset:         24
        .size:           8
        .value_kind:     global_buffer
      - .offset:         32
        .size:           8
        .value_kind:     by_value
      - .offset:         40
        .size:           4
        .value_kind:     by_value
      - .offset:         44
        .size:           4
        .value_kind:     by_value
      - .offset:         48
        .size:           4
        .value_kind:     by_value
      - .offset:         52
        .size:           4
        .value_kind:     by_value
      - .offset:         56
        .size:           4
        .value_kind:     by_value
    .group_segment_fixed_size: 0
    .kernarg_segment_align: 8
    .kernarg_segment_size: 60
    .language:       OpenCL C
    .language_version:
      - 2
      - 0
    .max_flat_workgroup_size: 1024
    .name:           _ZN5aiter28grouped_topk_opt_sort_kernelIfDv4_fLi8ELb1ELb1ELb0EEEvPT_PKS2_PfPimiiiif
    .private_segment_fixed_size: 0
    .sgpr_count:     24
    .sgpr_spill_count: 0
    .symbol:         _ZN5aiter28grouped_topk_opt_sort_kernelIfDv4_fLi8ELb1ELb1ELb0EEEvPT_PKS2_PfPimiiiif.kd
    .uniform_work_group_size: 1
    .uses_dynamic_stack: false
    .vgpr_count:     28
    .vgpr_spill_count: 0
    .wavefront_size: 64
  - .agpr_count:     0
    .args:
      - .actual_access:  read_only
        .address_space:  global
        .offset:         0
        .size:           8
        .value_kind:     global_buffer
      - .actual_access:  read_only
        .address_space:  global
        .offset:         8
        .size:           8
        .value_kind:     global_buffer
      - .actual_access:  write_only
        .address_space:  global
        .offset:         16
        .size:           8
        .value_kind:     global_buffer
      - .actual_access:  write_only
        .address_space:  global
        .offset:         24
        .size:           8
        .value_kind:     global_buffer
      - .offset:         32
        .size:           8
        .value_kind:     by_value
      - .offset:         40
        .size:           4
        .value_kind:     by_value
      - .offset:         44
        .size:           4
        .value_kind:     by_value
      - .offset:         48
        .size:           4
        .value_kind:     by_value
      - .offset:         52
        .size:           4
        .value_kind:     by_value
      - .offset:         56
        .size:           4
        .value_kind:     by_value
    .group_segment_fixed_size: 0
    .kernarg_segment_align: 8
    .kernarg_segment_size: 60
    .language:       OpenCL C
    .language_version:
      - 2
      - 0
    .max_flat_workgroup_size: 1024
    .name:           _ZN5aiter28grouped_topk_opt_sort_kernelIN3c104HalfEDv4_fLi8ELb1ELb1ELb0EEEvPT_PKS4_PfPimiiiif
    .private_segment_fixed_size: 0
    .sgpr_count:     24
    .sgpr_spill_count: 0
    .symbol:         _ZN5aiter28grouped_topk_opt_sort_kernelIN3c104HalfEDv4_fLi8ELb1ELb1ELb0EEEvPT_PKS4_PfPimiiiif.kd
    .uniform_work_group_size: 1
    .uses_dynamic_stack: false
    .vgpr_count:     28
    .vgpr_spill_count: 0
    .wavefront_size: 64
  - .agpr_count:     0
    .args:
      - .actual_access:  read_only
        .address_space:  global
        .offset:         0
        .size:           8
        .value_kind:     global_buffer
      - .actual_access:  read_only
        .address_space:  global
        .offset:         8
        .size:           8
        .value_kind:     global_buffer
      - .actual_access:  write_only
        .address_space:  global
        .offset:         16
        .size:           8
        .value_kind:     global_buffer
      - .actual_access:  write_only
        .address_space:  global
        .offset:         24
        .size:           8
        .value_kind:     global_buffer
      - .offset:         32
        .size:           8
        .value_kind:     by_value
      - .offset:         40
        .size:           4
        .value_kind:     by_value
      - .offset:         44
        .size:           4
        .value_kind:     by_value
      - .offset:         48
        .size:           4
        .value_kind:     by_value
      - .offset:         52
        .size:           4
        .value_kind:     by_value
      - .offset:         56
        .size:           4
        .value_kind:     by_value
    .group_segment_fixed_size: 0
    .kernarg_segment_align: 8
    .kernarg_segment_size: 60
    .language:       OpenCL C
    .language_version:
      - 2
      - 0
    .max_flat_workgroup_size: 1024
    .name:           _ZN5aiter28grouped_topk_opt_sort_kernelIN3c108BFloat16EDv4_fLi8ELb1ELb1ELb0EEEvPT_PKS4_PfPimiiiif
    .private_segment_fixed_size: 0
    .sgpr_count:     24
    .sgpr_spill_count: 0
    .symbol:         _ZN5aiter28grouped_topk_opt_sort_kernelIN3c108BFloat16EDv4_fLi8ELb1ELb1ELb0EEEvPT_PKS4_PfPimiiiif.kd
    .uniform_work_group_size: 1
    .uses_dynamic_stack: false
    .vgpr_count:     28
    .vgpr_spill_count: 0
    .wavefront_size: 64
  - .agpr_count:     0
    .args:
      - .actual_access:  read_only
        .address_space:  global
        .offset:         0
        .size:           8
        .value_kind:     global_buffer
      - .actual_access:  read_only
        .address_space:  global
        .offset:         8
        .size:           8
        .value_kind:     global_buffer
      - .actual_access:  write_only
        .address_space:  global
        .offset:         16
        .size:           8
        .value_kind:     global_buffer
      - .actual_access:  write_only
        .address_space:  global
        .offset:         24
        .size:           8
        .value_kind:     global_buffer
      - .offset:         32
        .size:           8
        .value_kind:     by_value
      - .offset:         40
        .size:           4
        .value_kind:     by_value
      - .offset:         44
        .size:           4
        .value_kind:     by_value
      - .offset:         48
        .size:           4
        .value_kind:     by_value
      - .offset:         52
        .size:           4
        .value_kind:     by_value
      - .offset:         56
        .size:           4
        .value_kind:     by_value
      - .offset:         64
        .size:           4
        .value_kind:     hidden_block_count_x
      - .offset:         68
        .size:           4
        .value_kind:     hidden_block_count_y
      - .offset:         72
        .size:           4
        .value_kind:     hidden_block_count_z
      - .offset:         76
        .size:           2
        .value_kind:     hidden_group_size_x
      - .offset:         78
        .size:           2
        .value_kind:     hidden_group_size_y
      - .offset:         80
        .size:           2
        .value_kind:     hidden_group_size_z
      - .offset:         82
        .size:           2
        .value_kind:     hidden_remainder_x
      - .offset:         84
        .size:           2
        .value_kind:     hidden_remainder_y
      - .offset:         86
        .size:           2
        .value_kind:     hidden_remainder_z
      - .offset:         104
        .size:           8
        .value_kind:     hidden_global_offset_x
      - .offset:         112
        .size:           8
        .value_kind:     hidden_global_offset_y
      - .offset:         120
        .size:           8
        .value_kind:     hidden_global_offset_z
      - .offset:         128
        .size:           2
        .value_kind:     hidden_grid_dims
      - .offset:         184
        .size:           4
        .value_kind:     hidden_dynamic_lds_size
    .group_segment_fixed_size: 0
    .kernarg_segment_align: 8
    .kernarg_segment_size: 320
    .language:       OpenCL C
    .language_version:
      - 2
      - 0
    .max_flat_workgroup_size: 1024
    .name:           _ZN5aiter19grouped_topk_kernelIfDv4_fLi8ELb1ELb1ELb0EEEvPT_PKS2_PfPimiiiif
    .private_segment_fixed_size: 0
    .sgpr_count:     36
    .sgpr_spill_count: 0
    .symbol:         _ZN5aiter19grouped_topk_kernelIfDv4_fLi8ELb1ELb1ELb0EEEvPT_PKS2_PfPimiiiif.kd
    .uniform_work_group_size: 1
    .uses_dynamic_stack: false
    .vgpr_count:     37
    .vgpr_spill_count: 0
    .wavefront_size: 64
  - .agpr_count:     0
    .args:
      - .actual_access:  read_only
        .address_space:  global
        .offset:         0
        .size:           8
        .value_kind:     global_buffer
      - .actual_access:  read_only
        .address_space:  global
        .offset:         8
        .size:           8
        .value_kind:     global_buffer
      - .actual_access:  write_only
        .address_space:  global
        .offset:         16
        .size:           8
        .value_kind:     global_buffer
      - .actual_access:  write_only
        .address_space:  global
        .offset:         24
        .size:           8
        .value_kind:     global_buffer
      - .offset:         32
        .size:           8
        .value_kind:     by_value
      - .offset:         40
        .size:           4
        .value_kind:     by_value
      - .offset:         44
        .size:           4
        .value_kind:     by_value
      - .offset:         48
        .size:           4
        .value_kind:     by_value
      - .offset:         52
        .size:           4
        .value_kind:     by_value
      - .offset:         56
        .size:           4
        .value_kind:     by_value
      - .offset:         64
        .size:           4
        .value_kind:     hidden_block_count_x
      - .offset:         68
        .size:           4
        .value_kind:     hidden_block_count_y
      - .offset:         72
        .size:           4
        .value_kind:     hidden_block_count_z
      - .offset:         76
        .size:           2
        .value_kind:     hidden_group_size_x
      - .offset:         78
        .size:           2
        .value_kind:     hidden_group_size_y
      - .offset:         80
        .size:           2
        .value_kind:     hidden_group_size_z
      - .offset:         82
        .size:           2
        .value_kind:     hidden_remainder_x
      - .offset:         84
        .size:           2
        .value_kind:     hidden_remainder_y
      - .offset:         86
        .size:           2
        .value_kind:     hidden_remainder_z
      - .offset:         104
        .size:           8
        .value_kind:     hidden_global_offset_x
      - .offset:         112
        .size:           8
        .value_kind:     hidden_global_offset_y
      - .offset:         120
        .size:           8
        .value_kind:     hidden_global_offset_z
      - .offset:         128
        .size:           2
        .value_kind:     hidden_grid_dims
      - .offset:         184
        .size:           4
        .value_kind:     hidden_dynamic_lds_size
    .group_segment_fixed_size: 0
    .kernarg_segment_align: 8
    .kernarg_segment_size: 320
    .language:       OpenCL C
    .language_version:
      - 2
      - 0
    .max_flat_workgroup_size: 1024
    .name:           _ZN5aiter19grouped_topk_kernelIN3c104HalfEDv4_fLi8ELb1ELb1ELb0EEEvPT_PKS4_PfPimiiiif
    .private_segment_fixed_size: 0
    .sgpr_count:     39
    .sgpr_spill_count: 0
    .symbol:         _ZN5aiter19grouped_topk_kernelIN3c104HalfEDv4_fLi8ELb1ELb1ELb0EEEvPT_PKS4_PfPimiiiif.kd
    .uniform_work_group_size: 1
    .uses_dynamic_stack: false
    .vgpr_count:     38
    .vgpr_spill_count: 0
    .wavefront_size: 64
  - .agpr_count:     0
    .args:
      - .actual_access:  read_only
        .address_space:  global
        .offset:         0
        .size:           8
        .value_kind:     global_buffer
      - .actual_access:  read_only
        .address_space:  global
        .offset:         8
        .size:           8
        .value_kind:     global_buffer
      - .actual_access:  write_only
        .address_space:  global
        .offset:         16
        .size:           8
        .value_kind:     global_buffer
      - .actual_access:  write_only
        .address_space:  global
        .offset:         24
        .size:           8
        .value_kind:     global_buffer
      - .offset:         32
        .size:           8
        .value_kind:     by_value
      - .offset:         40
        .size:           4
        .value_kind:     by_value
      - .offset:         44
        .size:           4
        .value_kind:     by_value
      - .offset:         48
        .size:           4
        .value_kind:     by_value
      - .offset:         52
        .size:           4
        .value_kind:     by_value
      - .offset:         56
        .size:           4
        .value_kind:     by_value
      - .offset:         64
        .size:           4
        .value_kind:     hidden_block_count_x
      - .offset:         68
        .size:           4
        .value_kind:     hidden_block_count_y
      - .offset:         72
        .size:           4
        .value_kind:     hidden_block_count_z
      - .offset:         76
        .size:           2
        .value_kind:     hidden_group_size_x
      - .offset:         78
        .size:           2
        .value_kind:     hidden_group_size_y
      - .offset:         80
        .size:           2
        .value_kind:     hidden_group_size_z
      - .offset:         82
        .size:           2
        .value_kind:     hidden_remainder_x
      - .offset:         84
        .size:           2
        .value_kind:     hidden_remainder_y
      - .offset:         86
        .size:           2
        .value_kind:     hidden_remainder_z
      - .offset:         104
        .size:           8
        .value_kind:     hidden_global_offset_x
      - .offset:         112
        .size:           8
        .value_kind:     hidden_global_offset_y
      - .offset:         120
        .size:           8
        .value_kind:     hidden_global_offset_z
      - .offset:         128
        .size:           2
        .value_kind:     hidden_grid_dims
      - .offset:         184
        .size:           4
        .value_kind:     hidden_dynamic_lds_size
    .group_segment_fixed_size: 0
    .kernarg_segment_align: 8
    .kernarg_segment_size: 320
    .language:       OpenCL C
    .language_version:
      - 2
      - 0
    .max_flat_workgroup_size: 1024
    .name:           _ZN5aiter19grouped_topk_kernelIN3c108BFloat16EDv4_fLi8ELb1ELb1ELb0EEEvPT_PKS4_PfPimiiiif
    .private_segment_fixed_size: 0
    .sgpr_count:     38
    .sgpr_spill_count: 0
    .symbol:         _ZN5aiter19grouped_topk_kernelIN3c108BFloat16EDv4_fLi8ELb1ELb1ELb0EEEvPT_PKS4_PfPimiiiif.kd
    .uniform_work_group_size: 1
    .uses_dynamic_stack: false
    .vgpr_count:     38
    .vgpr_spill_count: 0
    .wavefront_size: 64
  - .agpr_count:     0
    .args:
      - .actual_access:  read_only
        .address_space:  global
        .offset:         0
        .size:           8
        .value_kind:     global_buffer
      - .actual_access:  read_only
        .address_space:  global
        .offset:         8
        .size:           8
        .value_kind:     global_buffer
      - .actual_access:  write_only
        .address_space:  global
        .offset:         16
        .size:           8
        .value_kind:     global_buffer
      - .actual_access:  write_only
        .address_space:  global
        .offset:         24
        .size:           8
        .value_kind:     global_buffer
      - .offset:         32
        .size:           8
        .value_kind:     by_value
      - .offset:         40
        .size:           4
        .value_kind:     by_value
      - .offset:         44
        .size:           4
        .value_kind:     by_value
      - .offset:         48
        .size:           4
        .value_kind:     by_value
      - .offset:         52
        .size:           4
        .value_kind:     by_value
      - .offset:         56
        .size:           4
        .value_kind:     by_value
      - .offset:         64
        .size:           4
        .value_kind:     hidden_block_count_x
      - .offset:         68
        .size:           4
        .value_kind:     hidden_block_count_y
      - .offset:         72
        .size:           4
        .value_kind:     hidden_block_count_z
      - .offset:         76
        .size:           2
        .value_kind:     hidden_group_size_x
      - .offset:         78
        .size:           2
        .value_kind:     hidden_group_size_y
      - .offset:         80
        .size:           2
        .value_kind:     hidden_group_size_z
      - .offset:         82
        .size:           2
        .value_kind:     hidden_remainder_x
      - .offset:         84
        .size:           2
        .value_kind:     hidden_remainder_y
      - .offset:         86
        .size:           2
        .value_kind:     hidden_remainder_z
      - .offset:         104
        .size:           8
        .value_kind:     hidden_global_offset_x
      - .offset:         112
        .size:           8
        .value_kind:     hidden_global_offset_y
      - .offset:         120
        .size:           8
        .value_kind:     hidden_global_offset_z
      - .offset:         128
        .size:           2
        .value_kind:     hidden_grid_dims
      - .offset:         184
        .size:           4
        .value_kind:     hidden_dynamic_lds_size
    .group_segment_fixed_size: 0
    .kernarg_segment_align: 8
    .kernarg_segment_size: 320
    .language:       OpenCL C
    .language_version:
      - 2
      - 0
    .max_flat_workgroup_size: 1024
    .name:           _ZN5aiter19grouped_topk_kernelIfDv4_fLi8ELb1ELb0ELb1EEEvPT_PKS2_PfPimiiiif
    .private_segment_fixed_size: 0
    .sgpr_count:     28
    .sgpr_spill_count: 0
    .symbol:         _ZN5aiter19grouped_topk_kernelIfDv4_fLi8ELb1ELb0ELb1EEEvPT_PKS2_PfPimiiiif.kd
    .uniform_work_group_size: 1
    .uses_dynamic_stack: false
    .vgpr_count:     19
    .vgpr_spill_count: 0
    .wavefront_size: 64
  - .agpr_count:     0
    .args:
      - .actual_access:  read_only
        .address_space:  global
        .offset:         0
        .size:           8
        .value_kind:     global_buffer
      - .actual_access:  read_only
        .address_space:  global
        .offset:         8
        .size:           8
        .value_kind:     global_buffer
      - .actual_access:  write_only
        .address_space:  global
        .offset:         16
        .size:           8
        .value_kind:     global_buffer
      - .actual_access:  write_only
        .address_space:  global
        .offset:         24
        .size:           8
        .value_kind:     global_buffer
      - .offset:         32
        .size:           8
        .value_kind:     by_value
      - .offset:         40
        .size:           4
        .value_kind:     by_value
      - .offset:         44
        .size:           4
        .value_kind:     by_value
      - .offset:         48
        .size:           4
        .value_kind:     by_value
      - .offset:         52
        .size:           4
        .value_kind:     by_value
      - .offset:         56
        .size:           4
        .value_kind:     by_value
      - .offset:         64
        .size:           4
        .value_kind:     hidden_block_count_x
      - .offset:         68
        .size:           4
        .value_kind:     hidden_block_count_y
      - .offset:         72
        .size:           4
        .value_kind:     hidden_block_count_z
      - .offset:         76
        .size:           2
        .value_kind:     hidden_group_size_x
      - .offset:         78
        .size:           2
        .value_kind:     hidden_group_size_y
      - .offset:         80
        .size:           2
        .value_kind:     hidden_group_size_z
      - .offset:         82
        .size:           2
        .value_kind:     hidden_remainder_x
      - .offset:         84
        .size:           2
        .value_kind:     hidden_remainder_y
      - .offset:         86
        .size:           2
        .value_kind:     hidden_remainder_z
      - .offset:         104
        .size:           8
        .value_kind:     hidden_global_offset_x
      - .offset:         112
        .size:           8
        .value_kind:     hidden_global_offset_y
      - .offset:         120
        .size:           8
        .value_kind:     hidden_global_offset_z
      - .offset:         128
        .size:           2
        .value_kind:     hidden_grid_dims
      - .offset:         184
        .size:           4
        .value_kind:     hidden_dynamic_lds_size
    .group_segment_fixed_size: 0
    .kernarg_segment_align: 8
    .kernarg_segment_size: 320
    .language:       OpenCL C
    .language_version:
      - 2
      - 0
    .max_flat_workgroup_size: 1024
    .name:           _ZN5aiter19grouped_topk_kernelIN3c104HalfEDv4_fLi8ELb1ELb0ELb1EEEvPT_PKS4_PfPimiiiif
    .private_segment_fixed_size: 0
    .sgpr_count:     28
    .sgpr_spill_count: 0
    .symbol:         _ZN5aiter19grouped_topk_kernelIN3c104HalfEDv4_fLi8ELb1ELb0ELb1EEEvPT_PKS4_PfPimiiiif.kd
    .uniform_work_group_size: 1
    .uses_dynamic_stack: false
    .vgpr_count:     19
    .vgpr_spill_count: 0
    .wavefront_size: 64
  - .agpr_count:     0
    .args:
      - .actual_access:  read_only
        .address_space:  global
        .offset:         0
        .size:           8
        .value_kind:     global_buffer
      - .actual_access:  read_only
        .address_space:  global
        .offset:         8
        .size:           8
        .value_kind:     global_buffer
      - .actual_access:  write_only
        .address_space:  global
        .offset:         16
        .size:           8
        .value_kind:     global_buffer
      - .actual_access:  write_only
        .address_space:  global
        .offset:         24
        .size:           8
        .value_kind:     global_buffer
      - .offset:         32
        .size:           8
        .value_kind:     by_value
      - .offset:         40
        .size:           4
        .value_kind:     by_value
      - .offset:         44
        .size:           4
        .value_kind:     by_value
      - .offset:         48
        .size:           4
        .value_kind:     by_value
      - .offset:         52
        .size:           4
        .value_kind:     by_value
      - .offset:         56
        .size:           4
        .value_kind:     by_value
      - .offset:         64
        .size:           4
        .value_kind:     hidden_block_count_x
      - .offset:         68
        .size:           4
        .value_kind:     hidden_block_count_y
      - .offset:         72
        .size:           4
        .value_kind:     hidden_block_count_z
      - .offset:         76
        .size:           2
        .value_kind:     hidden_group_size_x
      - .offset:         78
        .size:           2
        .value_kind:     hidden_group_size_y
      - .offset:         80
        .size:           2
        .value_kind:     hidden_group_size_z
      - .offset:         82
        .size:           2
        .value_kind:     hidden_remainder_x
      - .offset:         84
        .size:           2
        .value_kind:     hidden_remainder_y
      - .offset:         86
        .size:           2
        .value_kind:     hidden_remainder_z
      - .offset:         104
        .size:           8
        .value_kind:     hidden_global_offset_x
      - .offset:         112
        .size:           8
        .value_kind:     hidden_global_offset_y
      - .offset:         120
        .size:           8
        .value_kind:     hidden_global_offset_z
      - .offset:         128
        .size:           2
        .value_kind:     hidden_grid_dims
      - .offset:         184
        .size:           4
        .value_kind:     hidden_dynamic_lds_size
    .group_segment_fixed_size: 0
    .kernarg_segment_align: 8
    .kernarg_segment_size: 320
    .language:       OpenCL C
    .language_version:
      - 2
      - 0
    .max_flat_workgroup_size: 1024
    .name:           _ZN5aiter19grouped_topk_kernelIN3c108BFloat16EDv4_fLi8ELb1ELb0ELb1EEEvPT_PKS4_PfPimiiiif
    .private_segment_fixed_size: 0
    .sgpr_count:     28
    .sgpr_spill_count: 0
    .symbol:         _ZN5aiter19grouped_topk_kernelIN3c108BFloat16EDv4_fLi8ELb1ELb0ELb1EEEvPT_PKS4_PfPimiiiif.kd
    .uniform_work_group_size: 1
    .uses_dynamic_stack: false
    .vgpr_count:     19
    .vgpr_spill_count: 0
    .wavefront_size: 64
  - .agpr_count:     0
    .args:
      - .actual_access:  read_only
        .address_space:  global
        .offset:         0
        .size:           8
        .value_kind:     global_buffer
      - .actual_access:  read_only
        .address_space:  global
        .offset:         8
        .size:           8
        .value_kind:     global_buffer
      - .actual_access:  write_only
        .address_space:  global
        .offset:         16
        .size:           8
        .value_kind:     global_buffer
      - .actual_access:  write_only
        .address_space:  global
        .offset:         24
        .size:           8
        .value_kind:     global_buffer
      - .offset:         32
        .size:           8
        .value_kind:     by_value
      - .offset:         40
        .size:           4
        .value_kind:     by_value
      - .offset:         44
        .size:           4
        .value_kind:     by_value
      - .offset:         48
        .size:           4
        .value_kind:     by_value
      - .offset:         52
        .size:           4
        .value_kind:     by_value
      - .offset:         56
        .size:           4
        .value_kind:     by_value
      - .offset:         64
        .size:           4
        .value_kind:     hidden_block_count_x
      - .offset:         68
        .size:           4
        .value_kind:     hidden_block_count_y
      - .offset:         72
        .size:           4
        .value_kind:     hidden_block_count_z
      - .offset:         76
        .size:           2
        .value_kind:     hidden_group_size_x
      - .offset:         78
        .size:           2
        .value_kind:     hidden_group_size_y
      - .offset:         80
        .size:           2
        .value_kind:     hidden_group_size_z
      - .offset:         82
        .size:           2
        .value_kind:     hidden_remainder_x
      - .offset:         84
        .size:           2
        .value_kind:     hidden_remainder_y
      - .offset:         86
        .size:           2
        .value_kind:     hidden_remainder_z
      - .offset:         104
        .size:           8
        .value_kind:     hidden_global_offset_x
      - .offset:         112
        .size:           8
        .value_kind:     hidden_global_offset_y
      - .offset:         120
        .size:           8
        .value_kind:     hidden_global_offset_z
      - .offset:         128
        .size:           2
        .value_kind:     hidden_grid_dims
      - .offset:         184
        .size:           4
        .value_kind:     hidden_dynamic_lds_size
    .group_segment_fixed_size: 0
    .kernarg_segment_align: 8
    .kernarg_segment_size: 320
    .language:       OpenCL C
    .language_version:
      - 2
      - 0
    .max_flat_workgroup_size: 1024
    .name:           _ZN5aiter19grouped_topk_kernelIfDv4_fLi8ELb1ELb0ELb0EEEvPT_PKS2_PfPimiiiif
    .private_segment_fixed_size: 0
    .sgpr_count:     33
    .sgpr_spill_count: 0
    .symbol:         _ZN5aiter19grouped_topk_kernelIfDv4_fLi8ELb1ELb0ELb0EEEvPT_PKS2_PfPimiiiif.kd
    .uniform_work_group_size: 1
    .uses_dynamic_stack: false
    .vgpr_count:     31
    .vgpr_spill_count: 0
    .wavefront_size: 64
  - .agpr_count:     0
    .args:
      - .actual_access:  read_only
        .address_space:  global
        .offset:         0
        .size:           8
        .value_kind:     global_buffer
      - .actual_access:  read_only
        .address_space:  global
        .offset:         8
        .size:           8
        .value_kind:     global_buffer
      - .actual_access:  write_only
        .address_space:  global
        .offset:         16
        .size:           8
        .value_kind:     global_buffer
      - .actual_access:  write_only
        .address_space:  global
        .offset:         24
        .size:           8
        .value_kind:     global_buffer
      - .offset:         32
        .size:           8
        .value_kind:     by_value
      - .offset:         40
        .size:           4
        .value_kind:     by_value
      - .offset:         44
        .size:           4
        .value_kind:     by_value
      - .offset:         48
        .size:           4
        .value_kind:     by_value
      - .offset:         52
        .size:           4
        .value_kind:     by_value
      - .offset:         56
        .size:           4
        .value_kind:     by_value
      - .offset:         64
        .size:           4
        .value_kind:     hidden_block_count_x
      - .offset:         68
        .size:           4
        .value_kind:     hidden_block_count_y
      - .offset:         72
        .size:           4
        .value_kind:     hidden_block_count_z
      - .offset:         76
        .size:           2
        .value_kind:     hidden_group_size_x
      - .offset:         78
        .size:           2
        .value_kind:     hidden_group_size_y
      - .offset:         80
        .size:           2
        .value_kind:     hidden_group_size_z
      - .offset:         82
        .size:           2
        .value_kind:     hidden_remainder_x
      - .offset:         84
        .size:           2
        .value_kind:     hidden_remainder_y
      - .offset:         86
        .size:           2
        .value_kind:     hidden_remainder_z
      - .offset:         104
        .size:           8
        .value_kind:     hidden_global_offset_x
      - .offset:         112
        .size:           8
        .value_kind:     hidden_global_offset_y
      - .offset:         120
        .size:           8
        .value_kind:     hidden_global_offset_z
      - .offset:         128
        .size:           2
        .value_kind:     hidden_grid_dims
      - .offset:         184
        .size:           4
        .value_kind:     hidden_dynamic_lds_size
    .group_segment_fixed_size: 0
    .kernarg_segment_align: 8
    .kernarg_segment_size: 320
    .language:       OpenCL C
    .language_version:
      - 2
      - 0
    .max_flat_workgroup_size: 1024
    .name:           _ZN5aiter19grouped_topk_kernelIN3c104HalfEDv4_fLi8ELb1ELb0ELb0EEEvPT_PKS4_PfPimiiiif
    .private_segment_fixed_size: 0
    .sgpr_count:     35
    .sgpr_spill_count: 0
    .symbol:         _ZN5aiter19grouped_topk_kernelIN3c104HalfEDv4_fLi8ELb1ELb0ELb0EEEvPT_PKS4_PfPimiiiif.kd
    .uniform_work_group_size: 1
    .uses_dynamic_stack: false
    .vgpr_count:     32
    .vgpr_spill_count: 0
    .wavefront_size: 64
  - .agpr_count:     0
    .args:
      - .actual_access:  read_only
        .address_space:  global
        .offset:         0
        .size:           8
        .value_kind:     global_buffer
      - .actual_access:  read_only
        .address_space:  global
        .offset:         8
        .size:           8
        .value_kind:     global_buffer
      - .actual_access:  write_only
        .address_space:  global
        .offset:         16
        .size:           8
        .value_kind:     global_buffer
      - .actual_access:  write_only
        .address_space:  global
        .offset:         24
        .size:           8
        .value_kind:     global_buffer
      - .offset:         32
        .size:           8
        .value_kind:     by_value
      - .offset:         40
        .size:           4
        .value_kind:     by_value
      - .offset:         44
        .size:           4
        .value_kind:     by_value
      - .offset:         48
        .size:           4
        .value_kind:     by_value
      - .offset:         52
        .size:           4
        .value_kind:     by_value
      - .offset:         56
        .size:           4
        .value_kind:     by_value
      - .offset:         64
        .size:           4
        .value_kind:     hidden_block_count_x
      - .offset:         68
        .size:           4
        .value_kind:     hidden_block_count_y
      - .offset:         72
        .size:           4
        .value_kind:     hidden_block_count_z
      - .offset:         76
        .size:           2
        .value_kind:     hidden_group_size_x
      - .offset:         78
        .size:           2
        .value_kind:     hidden_group_size_y
      - .offset:         80
        .size:           2
        .value_kind:     hidden_group_size_z
      - .offset:         82
        .size:           2
        .value_kind:     hidden_remainder_x
      - .offset:         84
        .size:           2
        .value_kind:     hidden_remainder_y
      - .offset:         86
        .size:           2
        .value_kind:     hidden_remainder_z
      - .offset:         104
        .size:           8
        .value_kind:     hidden_global_offset_x
      - .offset:         112
        .size:           8
        .value_kind:     hidden_global_offset_y
      - .offset:         120
        .size:           8
        .value_kind:     hidden_global_offset_z
      - .offset:         128
        .size:           2
        .value_kind:     hidden_grid_dims
      - .offset:         184
        .size:           4
        .value_kind:     hidden_dynamic_lds_size
    .group_segment_fixed_size: 0
    .kernarg_segment_align: 8
    .kernarg_segment_size: 320
    .language:       OpenCL C
    .language_version:
      - 2
      - 0
    .max_flat_workgroup_size: 1024
    .name:           _ZN5aiter19grouped_topk_kernelIN3c108BFloat16EDv4_fLi8ELb1ELb0ELb0EEEvPT_PKS4_PfPimiiiif
    .private_segment_fixed_size: 0
    .sgpr_count:     34
    .sgpr_spill_count: 0
    .symbol:         _ZN5aiter19grouped_topk_kernelIN3c108BFloat16EDv4_fLi8ELb1ELb0ELb0EEEvPT_PKS4_PfPimiiiif.kd
    .uniform_work_group_size: 1
    .uses_dynamic_stack: false
    .vgpr_count:     32
    .vgpr_spill_count: 0
    .wavefront_size: 64
  - .agpr_count:     0
    .args:
      - .actual_access:  read_only
        .address_space:  global
        .offset:         0
        .size:           8
        .value_kind:     global_buffer
      - .actual_access:  read_only
        .address_space:  global
        .offset:         8
        .size:           8
        .value_kind:     global_buffer
      - .actual_access:  write_only
        .address_space:  global
        .offset:         16
        .size:           8
        .value_kind:     global_buffer
      - .actual_access:  write_only
        .address_space:  global
        .offset:         24
        .size:           8
        .value_kind:     global_buffer
      - .offset:         32
        .size:           8
        .value_kind:     by_value
      - .offset:         40
        .size:           4
        .value_kind:     by_value
      - .offset:         44
        .size:           4
        .value_kind:     by_value
      - .offset:         48
        .size:           4
        .value_kind:     by_value
      - .offset:         52
        .size:           4
        .value_kind:     by_value
      - .offset:         56
        .size:           4
        .value_kind:     by_value
    .group_segment_fixed_size: 0
    .kernarg_segment_align: 8
    .kernarg_segment_size: 60
    .language:       OpenCL C
    .language_version:
      - 2
      - 0
    .max_flat_workgroup_size: 1024
    .name:           _ZN5aiter28grouped_topk_opt_sort_kernelIfDv4_fLi8ELb0ELb1ELb0EEEvPT_PKS2_PfPimiiiif
    .private_segment_fixed_size: 0
    .sgpr_count:     24
    .sgpr_spill_count: 0
    .symbol:         _ZN5aiter28grouped_topk_opt_sort_kernelIfDv4_fLi8ELb0ELb1ELb0EEEvPT_PKS2_PfPimiiiif.kd
    .uniform_work_group_size: 1
    .uses_dynamic_stack: false
    .vgpr_count:     28
    .vgpr_spill_count: 0
    .wavefront_size: 64
  - .agpr_count:     0
    .args:
      - .actual_access:  read_only
        .address_space:  global
        .offset:         0
        .size:           8
        .value_kind:     global_buffer
      - .actual_access:  read_only
        .address_space:  global
        .offset:         8
        .size:           8
        .value_kind:     global_buffer
      - .actual_access:  write_only
        .address_space:  global
        .offset:         16
        .size:           8
        .value_kind:     global_buffer
      - .actual_access:  write_only
        .address_space:  global
        .offset:         24
        .size:           8
        .value_kind:     global_buffer
      - .offset:         32
        .size:           8
        .value_kind:     by_value
      - .offset:         40
        .size:           4
        .value_kind:     by_value
      - .offset:         44
        .size:           4
        .value_kind:     by_value
      - .offset:         48
        .size:           4
        .value_kind:     by_value
      - .offset:         52
        .size:           4
        .value_kind:     by_value
      - .offset:         56
        .size:           4
        .value_kind:     by_value
    .group_segment_fixed_size: 0
    .kernarg_segment_align: 8
    .kernarg_segment_size: 60
    .language:       OpenCL C
    .language_version:
      - 2
      - 0
    .max_flat_workgroup_size: 1024
    .name:           _ZN5aiter28grouped_topk_opt_sort_kernelIN3c104HalfEDv4_fLi8ELb0ELb1ELb0EEEvPT_PKS4_PfPimiiiif
    .private_segment_fixed_size: 0
    .sgpr_count:     24
    .sgpr_spill_count: 0
    .symbol:         _ZN5aiter28grouped_topk_opt_sort_kernelIN3c104HalfEDv4_fLi8ELb0ELb1ELb0EEEvPT_PKS4_PfPimiiiif.kd
    .uniform_work_group_size: 1
    .uses_dynamic_stack: false
    .vgpr_count:     28
    .vgpr_spill_count: 0
    .wavefront_size: 64
  - .agpr_count:     0
    .args:
      - .actual_access:  read_only
        .address_space:  global
        .offset:         0
        .size:           8
        .value_kind:     global_buffer
      - .actual_access:  read_only
        .address_space:  global
        .offset:         8
        .size:           8
        .value_kind:     global_buffer
      - .actual_access:  write_only
        .address_space:  global
        .offset:         16
        .size:           8
        .value_kind:     global_buffer
      - .actual_access:  write_only
        .address_space:  global
        .offset:         24
        .size:           8
        .value_kind:     global_buffer
      - .offset:         32
        .size:           8
        .value_kind:     by_value
      - .offset:         40
        .size:           4
        .value_kind:     by_value
      - .offset:         44
        .size:           4
        .value_kind:     by_value
      - .offset:         48
        .size:           4
        .value_kind:     by_value
      - .offset:         52
        .size:           4
        .value_kind:     by_value
      - .offset:         56
        .size:           4
        .value_kind:     by_value
    .group_segment_fixed_size: 0
    .kernarg_segment_align: 8
    .kernarg_segment_size: 60
    .language:       OpenCL C
    .language_version:
      - 2
      - 0
    .max_flat_workgroup_size: 1024
    .name:           _ZN5aiter28grouped_topk_opt_sort_kernelIN3c108BFloat16EDv4_fLi8ELb0ELb1ELb0EEEvPT_PKS4_PfPimiiiif
    .private_segment_fixed_size: 0
    .sgpr_count:     24
    .sgpr_spill_count: 0
    .symbol:         _ZN5aiter28grouped_topk_opt_sort_kernelIN3c108BFloat16EDv4_fLi8ELb0ELb1ELb0EEEvPT_PKS4_PfPimiiiif.kd
    .uniform_work_group_size: 1
    .uses_dynamic_stack: false
    .vgpr_count:     28
    .vgpr_spill_count: 0
    .wavefront_size: 64
  - .agpr_count:     0
    .args:
      - .actual_access:  read_only
        .address_space:  global
        .offset:         0
        .size:           8
        .value_kind:     global_buffer
      - .actual_access:  read_only
        .address_space:  global
        .offset:         8
        .size:           8
        .value_kind:     global_buffer
      - .actual_access:  write_only
        .address_space:  global
        .offset:         16
        .size:           8
        .value_kind:     global_buffer
      - .actual_access:  write_only
        .address_space:  global
        .offset:         24
        .size:           8
        .value_kind:     global_buffer
      - .offset:         32
        .size:           8
        .value_kind:     by_value
      - .offset:         40
        .size:           4
        .value_kind:     by_value
      - .offset:         44
        .size:           4
        .value_kind:     by_value
      - .offset:         48
        .size:           4
        .value_kind:     by_value
      - .offset:         52
        .size:           4
        .value_kind:     by_value
      - .offset:         56
        .size:           4
        .value_kind:     by_value
      - .offset:         64
        .size:           4
        .value_kind:     hidden_block_count_x
      - .offset:         68
        .size:           4
        .value_kind:     hidden_block_count_y
      - .offset:         72
        .size:           4
        .value_kind:     hidden_block_count_z
      - .offset:         76
        .size:           2
        .value_kind:     hidden_group_size_x
      - .offset:         78
        .size:           2
        .value_kind:     hidden_group_size_y
      - .offset:         80
        .size:           2
        .value_kind:     hidden_group_size_z
      - .offset:         82
        .size:           2
        .value_kind:     hidden_remainder_x
      - .offset:         84
        .size:           2
        .value_kind:     hidden_remainder_y
      - .offset:         86
        .size:           2
        .value_kind:     hidden_remainder_z
      - .offset:         104
        .size:           8
        .value_kind:     hidden_global_offset_x
      - .offset:         112
        .size:           8
        .value_kind:     hidden_global_offset_y
      - .offset:         120
        .size:           8
        .value_kind:     hidden_global_offset_z
      - .offset:         128
        .size:           2
        .value_kind:     hidden_grid_dims
      - .offset:         184
        .size:           4
        .value_kind:     hidden_dynamic_lds_size
    .group_segment_fixed_size: 0
    .kernarg_segment_align: 8
    .kernarg_segment_size: 320
    .language:       OpenCL C
    .language_version:
      - 2
      - 0
    .max_flat_workgroup_size: 1024
    .name:           _ZN5aiter19grouped_topk_kernelIfDv4_fLi8ELb0ELb1ELb0EEEvPT_PKS2_PfPimiiiif
    .private_segment_fixed_size: 0
    .sgpr_count:     36
    .sgpr_spill_count: 0
    .symbol:         _ZN5aiter19grouped_topk_kernelIfDv4_fLi8ELb0ELb1ELb0EEEvPT_PKS2_PfPimiiiif.kd
    .uniform_work_group_size: 1
    .uses_dynamic_stack: false
    .vgpr_count:     37
    .vgpr_spill_count: 0
    .wavefront_size: 64
  - .agpr_count:     0
    .args:
      - .actual_access:  read_only
        .address_space:  global
        .offset:         0
        .size:           8
        .value_kind:     global_buffer
      - .actual_access:  read_only
        .address_space:  global
        .offset:         8
        .size:           8
        .value_kind:     global_buffer
      - .actual_access:  write_only
        .address_space:  global
        .offset:         16
        .size:           8
        .value_kind:     global_buffer
      - .actual_access:  write_only
        .address_space:  global
        .offset:         24
        .size:           8
        .value_kind:     global_buffer
      - .offset:         32
        .size:           8
        .value_kind:     by_value
      - .offset:         40
        .size:           4
        .value_kind:     by_value
      - .offset:         44
        .size:           4
        .value_kind:     by_value
      - .offset:         48
        .size:           4
        .value_kind:     by_value
      - .offset:         52
        .size:           4
        .value_kind:     by_value
      - .offset:         56
        .size:           4
        .value_kind:     by_value
      - .offset:         64
        .size:           4
        .value_kind:     hidden_block_count_x
      - .offset:         68
        .size:           4
        .value_kind:     hidden_block_count_y
      - .offset:         72
        .size:           4
        .value_kind:     hidden_block_count_z
      - .offset:         76
        .size:           2
        .value_kind:     hidden_group_size_x
      - .offset:         78
        .size:           2
        .value_kind:     hidden_group_size_y
      - .offset:         80
        .size:           2
        .value_kind:     hidden_group_size_z
      - .offset:         82
        .size:           2
        .value_kind:     hidden_remainder_x
      - .offset:         84
        .size:           2
        .value_kind:     hidden_remainder_y
      - .offset:         86
        .size:           2
        .value_kind:     hidden_remainder_z
      - .offset:         104
        .size:           8
        .value_kind:     hidden_global_offset_x
      - .offset:         112
        .size:           8
        .value_kind:     hidden_global_offset_y
      - .offset:         120
        .size:           8
        .value_kind:     hidden_global_offset_z
      - .offset:         128
        .size:           2
        .value_kind:     hidden_grid_dims
      - .offset:         184
        .size:           4
        .value_kind:     hidden_dynamic_lds_size
    .group_segment_fixed_size: 0
    .kernarg_segment_align: 8
    .kernarg_segment_size: 320
    .language:       OpenCL C
    .language_version:
      - 2
      - 0
    .max_flat_workgroup_size: 1024
    .name:           _ZN5aiter19grouped_topk_kernelIN3c104HalfEDv4_fLi8ELb0ELb1ELb0EEEvPT_PKS4_PfPimiiiif
    .private_segment_fixed_size: 0
    .sgpr_count:     39
    .sgpr_spill_count: 0
    .symbol:         _ZN5aiter19grouped_topk_kernelIN3c104HalfEDv4_fLi8ELb0ELb1ELb0EEEvPT_PKS4_PfPimiiiif.kd
    .uniform_work_group_size: 1
    .uses_dynamic_stack: false
    .vgpr_count:     38
    .vgpr_spill_count: 0
    .wavefront_size: 64
  - .agpr_count:     0
    .args:
      - .actual_access:  read_only
        .address_space:  global
        .offset:         0
        .size:           8
        .value_kind:     global_buffer
      - .actual_access:  read_only
        .address_space:  global
        .offset:         8
        .size:           8
        .value_kind:     global_buffer
      - .actual_access:  write_only
        .address_space:  global
        .offset:         16
        .size:           8
        .value_kind:     global_buffer
      - .actual_access:  write_only
        .address_space:  global
        .offset:         24
        .size:           8
        .value_kind:     global_buffer
      - .offset:         32
        .size:           8
        .value_kind:     by_value
      - .offset:         40
        .size:           4
        .value_kind:     by_value
      - .offset:         44
        .size:           4
        .value_kind:     by_value
      - .offset:         48
        .size:           4
        .value_kind:     by_value
      - .offset:         52
        .size:           4
        .value_kind:     by_value
      - .offset:         56
        .size:           4
        .value_kind:     by_value
      - .offset:         64
        .size:           4
        .value_kind:     hidden_block_count_x
      - .offset:         68
        .size:           4
        .value_kind:     hidden_block_count_y
      - .offset:         72
        .size:           4
        .value_kind:     hidden_block_count_z
      - .offset:         76
        .size:           2
        .value_kind:     hidden_group_size_x
      - .offset:         78
        .size:           2
        .value_kind:     hidden_group_size_y
      - .offset:         80
        .size:           2
        .value_kind:     hidden_group_size_z
      - .offset:         82
        .size:           2
        .value_kind:     hidden_remainder_x
      - .offset:         84
        .size:           2
        .value_kind:     hidden_remainder_y
      - .offset:         86
        .size:           2
        .value_kind:     hidden_remainder_z
      - .offset:         104
        .size:           8
        .value_kind:     hidden_global_offset_x
      - .offset:         112
        .size:           8
        .value_kind:     hidden_global_offset_y
      - .offset:         120
        .size:           8
        .value_kind:     hidden_global_offset_z
      - .offset:         128
        .size:           2
        .value_kind:     hidden_grid_dims
      - .offset:         184
        .size:           4
        .value_kind:     hidden_dynamic_lds_size
    .group_segment_fixed_size: 0
    .kernarg_segment_align: 8
    .kernarg_segment_size: 320
    .language:       OpenCL C
    .language_version:
      - 2
      - 0
    .max_flat_workgroup_size: 1024
    .name:           _ZN5aiter19grouped_topk_kernelIN3c108BFloat16EDv4_fLi8ELb0ELb1ELb0EEEvPT_PKS4_PfPimiiiif
    .private_segment_fixed_size: 0
    .sgpr_count:     38
    .sgpr_spill_count: 0
    .symbol:         _ZN5aiter19grouped_topk_kernelIN3c108BFloat16EDv4_fLi8ELb0ELb1ELb0EEEvPT_PKS4_PfPimiiiif.kd
    .uniform_work_group_size: 1
    .uses_dynamic_stack: false
    .vgpr_count:     38
    .vgpr_spill_count: 0
    .wavefront_size: 64
  - .agpr_count:     0
    .args:
      - .actual_access:  read_only
        .address_space:  global
        .offset:         0
        .size:           8
        .value_kind:     global_buffer
      - .actual_access:  read_only
        .address_space:  global
        .offset:         8
        .size:           8
        .value_kind:     global_buffer
      - .actual_access:  write_only
        .address_space:  global
        .offset:         16
        .size:           8
        .value_kind:     global_buffer
      - .actual_access:  write_only
        .address_space:  global
        .offset:         24
        .size:           8
        .value_kind:     global_buffer
      - .offset:         32
        .size:           8
        .value_kind:     by_value
      - .offset:         40
        .size:           4
        .value_kind:     by_value
      - .offset:         44
        .size:           4
        .value_kind:     by_value
      - .offset:         48
        .size:           4
        .value_kind:     by_value
      - .offset:         52
        .size:           4
        .value_kind:     by_value
      - .offset:         56
        .size:           4
        .value_kind:     by_value
      - .offset:         64
        .size:           4
        .value_kind:     hidden_block_count_x
      - .offset:         68
        .size:           4
        .value_kind:     hidden_block_count_y
      - .offset:         72
        .size:           4
        .value_kind:     hidden_block_count_z
      - .offset:         76
        .size:           2
        .value_kind:     hidden_group_size_x
      - .offset:         78
        .size:           2
        .value_kind:     hidden_group_size_y
      - .offset:         80
        .size:           2
        .value_kind:     hidden_group_size_z
      - .offset:         82
        .size:           2
        .value_kind:     hidden_remainder_x
      - .offset:         84
        .size:           2
        .value_kind:     hidden_remainder_y
      - .offset:         86
        .size:           2
        .value_kind:     hidden_remainder_z
      - .offset:         104
        .size:           8
        .value_kind:     hidden_global_offset_x
      - .offset:         112
        .size:           8
        .value_kind:     hidden_global_offset_y
      - .offset:         120
        .size:           8
        .value_kind:     hidden_global_offset_z
      - .offset:         128
        .size:           2
        .value_kind:     hidden_grid_dims
      - .offset:         184
        .size:           4
        .value_kind:     hidden_dynamic_lds_size
    .group_segment_fixed_size: 0
    .kernarg_segment_align: 8
    .kernarg_segment_size: 320
    .language:       OpenCL C
    .language_version:
      - 2
      - 0
    .max_flat_workgroup_size: 1024
    .name:           _ZN5aiter19grouped_topk_kernelIfDv4_fLi8ELb0ELb0ELb1EEEvPT_PKS2_PfPimiiiif
    .private_segment_fixed_size: 0
    .sgpr_count:     28
    .sgpr_spill_count: 0
    .symbol:         _ZN5aiter19grouped_topk_kernelIfDv4_fLi8ELb0ELb0ELb1EEEvPT_PKS2_PfPimiiiif.kd
    .uniform_work_group_size: 1
    .uses_dynamic_stack: false
    .vgpr_count:     18
    .vgpr_spill_count: 0
    .wavefront_size: 64
  - .agpr_count:     0
    .args:
      - .actual_access:  read_only
        .address_space:  global
        .offset:         0
        .size:           8
        .value_kind:     global_buffer
      - .actual_access:  read_only
        .address_space:  global
        .offset:         8
        .size:           8
        .value_kind:     global_buffer
      - .actual_access:  write_only
        .address_space:  global
        .offset:         16
        .size:           8
        .value_kind:     global_buffer
      - .actual_access:  write_only
        .address_space:  global
        .offset:         24
        .size:           8
        .value_kind:     global_buffer
      - .offset:         32
        .size:           8
        .value_kind:     by_value
      - .offset:         40
        .size:           4
        .value_kind:     by_value
      - .offset:         44
        .size:           4
        .value_kind:     by_value
      - .offset:         48
        .size:           4
        .value_kind:     by_value
      - .offset:         52
        .size:           4
        .value_kind:     by_value
      - .offset:         56
        .size:           4
        .value_kind:     by_value
      - .offset:         64
        .size:           4
        .value_kind:     hidden_block_count_x
      - .offset:         68
        .size:           4
        .value_kind:     hidden_block_count_y
      - .offset:         72
        .size:           4
        .value_kind:     hidden_block_count_z
      - .offset:         76
        .size:           2
        .value_kind:     hidden_group_size_x
      - .offset:         78
        .size:           2
        .value_kind:     hidden_group_size_y
      - .offset:         80
        .size:           2
        .value_kind:     hidden_group_size_z
      - .offset:         82
        .size:           2
        .value_kind:     hidden_remainder_x
      - .offset:         84
        .size:           2
        .value_kind:     hidden_remainder_y
      - .offset:         86
        .size:           2
        .value_kind:     hidden_remainder_z
      - .offset:         104
        .size:           8
        .value_kind:     hidden_global_offset_x
      - .offset:         112
        .size:           8
        .value_kind:     hidden_global_offset_y
      - .offset:         120
        .size:           8
        .value_kind:     hidden_global_offset_z
      - .offset:         128
        .size:           2
        .value_kind:     hidden_grid_dims
      - .offset:         184
        .size:           4
        .value_kind:     hidden_dynamic_lds_size
    .group_segment_fixed_size: 0
    .kernarg_segment_align: 8
    .kernarg_segment_size: 320
    .language:       OpenCL C
    .language_version:
      - 2
      - 0
    .max_flat_workgroup_size: 1024
    .name:           _ZN5aiter19grouped_topk_kernelIN3c104HalfEDv4_fLi8ELb0ELb0ELb1EEEvPT_PKS4_PfPimiiiif
    .private_segment_fixed_size: 0
    .sgpr_count:     28
    .sgpr_spill_count: 0
    .symbol:         _ZN5aiter19grouped_topk_kernelIN3c104HalfEDv4_fLi8ELb0ELb0ELb1EEEvPT_PKS4_PfPimiiiif.kd
    .uniform_work_group_size: 1
    .uses_dynamic_stack: false
    .vgpr_count:     18
    .vgpr_spill_count: 0
    .wavefront_size: 64
  - .agpr_count:     0
    .args:
      - .actual_access:  read_only
        .address_space:  global
        .offset:         0
        .size:           8
        .value_kind:     global_buffer
      - .actual_access:  read_only
        .address_space:  global
        .offset:         8
        .size:           8
        .value_kind:     global_buffer
      - .actual_access:  write_only
        .address_space:  global
        .offset:         16
        .size:           8
        .value_kind:     global_buffer
      - .actual_access:  write_only
        .address_space:  global
        .offset:         24
        .size:           8
        .value_kind:     global_buffer
      - .offset:         32
        .size:           8
        .value_kind:     by_value
      - .offset:         40
        .size:           4
        .value_kind:     by_value
      - .offset:         44
        .size:           4
        .value_kind:     by_value
      - .offset:         48
        .size:           4
        .value_kind:     by_value
      - .offset:         52
        .size:           4
        .value_kind:     by_value
      - .offset:         56
        .size:           4
        .value_kind:     by_value
      - .offset:         64
        .size:           4
        .value_kind:     hidden_block_count_x
      - .offset:         68
        .size:           4
        .value_kind:     hidden_block_count_y
      - .offset:         72
        .size:           4
        .value_kind:     hidden_block_count_z
      - .offset:         76
        .size:           2
        .value_kind:     hidden_group_size_x
      - .offset:         78
        .size:           2
        .value_kind:     hidden_group_size_y
      - .offset:         80
        .size:           2
        .value_kind:     hidden_group_size_z
      - .offset:         82
        .size:           2
        .value_kind:     hidden_remainder_x
      - .offset:         84
        .size:           2
        .value_kind:     hidden_remainder_y
      - .offset:         86
        .size:           2
        .value_kind:     hidden_remainder_z
      - .offset:         104
        .size:           8
        .value_kind:     hidden_global_offset_x
      - .offset:         112
        .size:           8
        .value_kind:     hidden_global_offset_y
      - .offset:         120
        .size:           8
        .value_kind:     hidden_global_offset_z
      - .offset:         128
        .size:           2
        .value_kind:     hidden_grid_dims
      - .offset:         184
        .size:           4
        .value_kind:     hidden_dynamic_lds_size
    .group_segment_fixed_size: 0
    .kernarg_segment_align: 8
    .kernarg_segment_size: 320
    .language:       OpenCL C
    .language_version:
      - 2
      - 0
    .max_flat_workgroup_size: 1024
    .name:           _ZN5aiter19grouped_topk_kernelIN3c108BFloat16EDv4_fLi8ELb0ELb0ELb1EEEvPT_PKS4_PfPimiiiif
    .private_segment_fixed_size: 0
    .sgpr_count:     28
    .sgpr_spill_count: 0
    .symbol:         _ZN5aiter19grouped_topk_kernelIN3c108BFloat16EDv4_fLi8ELb0ELb0ELb1EEEvPT_PKS4_PfPimiiiif.kd
    .uniform_work_group_size: 1
    .uses_dynamic_stack: false
    .vgpr_count:     18
    .vgpr_spill_count: 0
    .wavefront_size: 64
  - .agpr_count:     0
    .args:
      - .actual_access:  read_only
        .address_space:  global
        .offset:         0
        .size:           8
        .value_kind:     global_buffer
      - .actual_access:  read_only
        .address_space:  global
        .offset:         8
        .size:           8
        .value_kind:     global_buffer
      - .actual_access:  write_only
        .address_space:  global
        .offset:         16
        .size:           8
        .value_kind:     global_buffer
      - .actual_access:  write_only
        .address_space:  global
        .offset:         24
        .size:           8
        .value_kind:     global_buffer
      - .offset:         32
        .size:           8
        .value_kind:     by_value
      - .offset:         40
        .size:           4
        .value_kind:     by_value
      - .offset:         44
        .size:           4
        .value_kind:     by_value
      - .offset:         48
        .size:           4
        .value_kind:     by_value
      - .offset:         52
        .size:           4
        .value_kind:     by_value
      - .offset:         56
        .size:           4
        .value_kind:     by_value
      - .offset:         64
        .size:           4
        .value_kind:     hidden_block_count_x
      - .offset:         68
        .size:           4
        .value_kind:     hidden_block_count_y
      - .offset:         72
        .size:           4
        .value_kind:     hidden_block_count_z
      - .offset:         76
        .size:           2
        .value_kind:     hidden_group_size_x
      - .offset:         78
        .size:           2
        .value_kind:     hidden_group_size_y
      - .offset:         80
        .size:           2
        .value_kind:     hidden_group_size_z
      - .offset:         82
        .size:           2
        .value_kind:     hidden_remainder_x
      - .offset:         84
        .size:           2
        .value_kind:     hidden_remainder_y
      - .offset:         86
        .size:           2
        .value_kind:     hidden_remainder_z
      - .offset:         104
        .size:           8
        .value_kind:     hidden_global_offset_x
      - .offset:         112
        .size:           8
        .value_kind:     hidden_global_offset_y
      - .offset:         120
        .size:           8
        .value_kind:     hidden_global_offset_z
      - .offset:         128
        .size:           2
        .value_kind:     hidden_grid_dims
      - .offset:         184
        .size:           4
        .value_kind:     hidden_dynamic_lds_size
    .group_segment_fixed_size: 0
    .kernarg_segment_align: 8
    .kernarg_segment_size: 320
    .language:       OpenCL C
    .language_version:
      - 2
      - 0
    .max_flat_workgroup_size: 1024
    .name:           _ZN5aiter19grouped_topk_kernelIfDv4_fLi8ELb0ELb0ELb0EEEvPT_PKS2_PfPimiiiif
    .private_segment_fixed_size: 0
    .sgpr_count:     33
    .sgpr_spill_count: 0
    .symbol:         _ZN5aiter19grouped_topk_kernelIfDv4_fLi8ELb0ELb0ELb0EEEvPT_PKS2_PfPimiiiif.kd
    .uniform_work_group_size: 1
    .uses_dynamic_stack: false
    .vgpr_count:     31
    .vgpr_spill_count: 0
    .wavefront_size: 64
  - .agpr_count:     0
    .args:
      - .actual_access:  read_only
        .address_space:  global
        .offset:         0
        .size:           8
        .value_kind:     global_buffer
      - .actual_access:  read_only
        .address_space:  global
        .offset:         8
        .size:           8
        .value_kind:     global_buffer
      - .actual_access:  write_only
        .address_space:  global
        .offset:         16
        .size:           8
        .value_kind:     global_buffer
      - .actual_access:  write_only
        .address_space:  global
        .offset:         24
        .size:           8
        .value_kind:     global_buffer
      - .offset:         32
        .size:           8
        .value_kind:     by_value
      - .offset:         40
        .size:           4
        .value_kind:     by_value
      - .offset:         44
        .size:           4
        .value_kind:     by_value
      - .offset:         48
        .size:           4
        .value_kind:     by_value
      - .offset:         52
        .size:           4
        .value_kind:     by_value
      - .offset:         56
        .size:           4
        .value_kind:     by_value
      - .offset:         64
        .size:           4
        .value_kind:     hidden_block_count_x
      - .offset:         68
        .size:           4
        .value_kind:     hidden_block_count_y
      - .offset:         72
        .size:           4
        .value_kind:     hidden_block_count_z
      - .offset:         76
        .size:           2
        .value_kind:     hidden_group_size_x
      - .offset:         78
        .size:           2
        .value_kind:     hidden_group_size_y
      - .offset:         80
        .size:           2
        .value_kind:     hidden_group_size_z
      - .offset:         82
        .size:           2
        .value_kind:     hidden_remainder_x
      - .offset:         84
        .size:           2
        .value_kind:     hidden_remainder_y
      - .offset:         86
        .size:           2
        .value_kind:     hidden_remainder_z
      - .offset:         104
        .size:           8
        .value_kind:     hidden_global_offset_x
      - .offset:         112
        .size:           8
        .value_kind:     hidden_global_offset_y
      - .offset:         120
        .size:           8
        .value_kind:     hidden_global_offset_z
      - .offset:         128
        .size:           2
        .value_kind:     hidden_grid_dims
      - .offset:         184
        .size:           4
        .value_kind:     hidden_dynamic_lds_size
    .group_segment_fixed_size: 0
    .kernarg_segment_align: 8
    .kernarg_segment_size: 320
    .language:       OpenCL C
    .language_version:
      - 2
      - 0
    .max_flat_workgroup_size: 1024
    .name:           _ZN5aiter19grouped_topk_kernelIN3c104HalfEDv4_fLi8ELb0ELb0ELb0EEEvPT_PKS4_PfPimiiiif
    .private_segment_fixed_size: 0
    .sgpr_count:     35
    .sgpr_spill_count: 0
    .symbol:         _ZN5aiter19grouped_topk_kernelIN3c104HalfEDv4_fLi8ELb0ELb0ELb0EEEvPT_PKS4_PfPimiiiif.kd
    .uniform_work_group_size: 1
    .uses_dynamic_stack: false
    .vgpr_count:     32
    .vgpr_spill_count: 0
    .wavefront_size: 64
  - .agpr_count:     0
    .args:
      - .actual_access:  read_only
        .address_space:  global
        .offset:         0
        .size:           8
        .value_kind:     global_buffer
      - .actual_access:  read_only
        .address_space:  global
        .offset:         8
        .size:           8
        .value_kind:     global_buffer
      - .actual_access:  write_only
        .address_space:  global
        .offset:         16
        .size:           8
        .value_kind:     global_buffer
      - .actual_access:  write_only
        .address_space:  global
        .offset:         24
        .size:           8
        .value_kind:     global_buffer
      - .offset:         32
        .size:           8
        .value_kind:     by_value
      - .offset:         40
        .size:           4
        .value_kind:     by_value
      - .offset:         44
        .size:           4
        .value_kind:     by_value
      - .offset:         48
        .size:           4
        .value_kind:     by_value
      - .offset:         52
        .size:           4
        .value_kind:     by_value
      - .offset:         56
        .size:           4
        .value_kind:     by_value
      - .offset:         64
        .size:           4
        .value_kind:     hidden_block_count_x
      - .offset:         68
        .size:           4
        .value_kind:     hidden_block_count_y
      - .offset:         72
        .size:           4
        .value_kind:     hidden_block_count_z
      - .offset:         76
        .size:           2
        .value_kind:     hidden_group_size_x
      - .offset:         78
        .size:           2
        .value_kind:     hidden_group_size_y
      - .offset:         80
        .size:           2
        .value_kind:     hidden_group_size_z
      - .offset:         82
        .size:           2
        .value_kind:     hidden_remainder_x
      - .offset:         84
        .size:           2
        .value_kind:     hidden_remainder_y
      - .offset:         86
        .size:           2
        .value_kind:     hidden_remainder_z
      - .offset:         104
        .size:           8
        .value_kind:     hidden_global_offset_x
      - .offset:         112
        .size:           8
        .value_kind:     hidden_global_offset_y
      - .offset:         120
        .size:           8
        .value_kind:     hidden_global_offset_z
      - .offset:         128
        .size:           2
        .value_kind:     hidden_grid_dims
      - .offset:         184
        .size:           4
        .value_kind:     hidden_dynamic_lds_size
    .group_segment_fixed_size: 0
    .kernarg_segment_align: 8
    .kernarg_segment_size: 320
    .language:       OpenCL C
    .language_version:
      - 2
      - 0
    .max_flat_workgroup_size: 1024
    .name:           _ZN5aiter19grouped_topk_kernelIN3c108BFloat16EDv4_fLi8ELb0ELb0ELb0EEEvPT_PKS4_PfPimiiiif
    .private_segment_fixed_size: 0
    .sgpr_count:     34
    .sgpr_spill_count: 0
    .symbol:         _ZN5aiter19grouped_topk_kernelIN3c108BFloat16EDv4_fLi8ELb0ELb0ELb0EEEvPT_PKS4_PfPimiiiif.kd
    .uniform_work_group_size: 1
    .uses_dynamic_stack: false
    .vgpr_count:     32
    .vgpr_spill_count: 0
    .wavefront_size: 64
  - .agpr_count:     0
    .args:
      - .actual_access:  read_only
        .address_space:  global
        .offset:         0
        .size:           8
        .value_kind:     global_buffer
      - .actual_access:  read_only
        .address_space:  global
        .offset:         8
        .size:           8
        .value_kind:     global_buffer
      - .actual_access:  read_only
        .address_space:  global
        .offset:         16
        .size:           8
        .value_kind:     global_buffer
      - .actual_access:  read_only
        .address_space:  global
        .offset:         24
        .size:           8
        .value_kind:     global_buffer
      - .offset:         32
        .size:           8
        .value_kind:     by_value
      - .offset:         40
        .size:           4
        .value_kind:     by_value
      - .offset:         44
        .size:           4
        .value_kind:     by_value
      - .offset:         48
        .size:           4
        .value_kind:     by_value
      - .offset:         52
        .size:           4
        .value_kind:     by_value
      - .offset:         56
        .size:           4
        .value_kind:     by_value
    .group_segment_fixed_size: 0
    .kernarg_segment_align: 8
    .kernarg_segment_size: 60
    .language:       OpenCL C
    .language_version:
      - 2
      - 0
    .max_flat_workgroup_size: 1024
    .name:           _ZN5aiter28grouped_topk_opt_sort_kernelIfDv4_fLi4ELb1ELb1ELb0EEEvPT_PKS2_PfPimiiiif
    .private_segment_fixed_size: 0
    .sgpr_count:     13
    .sgpr_spill_count: 0
    .symbol:         _ZN5aiter28grouped_topk_opt_sort_kernelIfDv4_fLi4ELb1ELb1ELb0EEEvPT_PKS2_PfPimiiiif.kd
    .uniform_work_group_size: 1
    .uses_dynamic_stack: false
    .vgpr_count:     23
    .vgpr_spill_count: 0
    .wavefront_size: 64
  - .agpr_count:     0
    .args:
      - .actual_access:  read_only
        .address_space:  global
        .offset:         0
        .size:           8
        .value_kind:     global_buffer
      - .actual_access:  read_only
        .address_space:  global
        .offset:         8
        .size:           8
        .value_kind:     global_buffer
      - .actual_access:  read_only
        .address_space:  global
        .offset:         16
        .size:           8
        .value_kind:     global_buffer
      - .actual_access:  read_only
        .address_space:  global
        .offset:         24
        .size:           8
        .value_kind:     global_buffer
      - .offset:         32
        .size:           8
        .value_kind:     by_value
      - .offset:         40
        .size:           4
        .value_kind:     by_value
      - .offset:         44
        .size:           4
        .value_kind:     by_value
      - .offset:         48
        .size:           4
        .value_kind:     by_value
      - .offset:         52
        .size:           4
        .value_kind:     by_value
      - .offset:         56
        .size:           4
        .value_kind:     by_value
    .group_segment_fixed_size: 0
    .kernarg_segment_align: 8
    .kernarg_segment_size: 60
    .language:       OpenCL C
    .language_version:
      - 2
      - 0
    .max_flat_workgroup_size: 1024
    .name:           _ZN5aiter28grouped_topk_opt_sort_kernelIN3c104HalfEDv4_fLi4ELb1ELb1ELb0EEEvPT_PKS4_PfPimiiiif
    .private_segment_fixed_size: 0
    .sgpr_count:     13
    .sgpr_spill_count: 0
    .symbol:         _ZN5aiter28grouped_topk_opt_sort_kernelIN3c104HalfEDv4_fLi4ELb1ELb1ELb0EEEvPT_PKS4_PfPimiiiif.kd
    .uniform_work_group_size: 1
    .uses_dynamic_stack: false
    .vgpr_count:     23
    .vgpr_spill_count: 0
    .wavefront_size: 64
  - .agpr_count:     0
    .args:
      - .actual_access:  read_only
        .address_space:  global
        .offset:         0
        .size:           8
        .value_kind:     global_buffer
      - .actual_access:  read_only
        .address_space:  global
        .offset:         8
        .size:           8
        .value_kind:     global_buffer
      - .actual_access:  read_only
        .address_space:  global
        .offset:         16
        .size:           8
        .value_kind:     global_buffer
      - .actual_access:  read_only
        .address_space:  global
        .offset:         24
        .size:           8
        .value_kind:     global_buffer
      - .offset:         32
        .size:           8
        .value_kind:     by_value
      - .offset:         40
        .size:           4
        .value_kind:     by_value
      - .offset:         44
        .size:           4
        .value_kind:     by_value
      - .offset:         48
        .size:           4
        .value_kind:     by_value
      - .offset:         52
        .size:           4
        .value_kind:     by_value
      - .offset:         56
        .size:           4
        .value_kind:     by_value
    .group_segment_fixed_size: 0
    .kernarg_segment_align: 8
    .kernarg_segment_size: 60
    .language:       OpenCL C
    .language_version:
      - 2
      - 0
    .max_flat_workgroup_size: 1024
    .name:           _ZN5aiter28grouped_topk_opt_sort_kernelIN3c108BFloat16EDv4_fLi4ELb1ELb1ELb0EEEvPT_PKS4_PfPimiiiif
    .private_segment_fixed_size: 0
    .sgpr_count:     13
    .sgpr_spill_count: 0
    .symbol:         _ZN5aiter28grouped_topk_opt_sort_kernelIN3c108BFloat16EDv4_fLi4ELb1ELb1ELb0EEEvPT_PKS4_PfPimiiiif.kd
    .uniform_work_group_size: 1
    .uses_dynamic_stack: false
    .vgpr_count:     23
    .vgpr_spill_count: 0
    .wavefront_size: 64
  - .agpr_count:     0
    .args:
      - .actual_access:  read_only
        .address_space:  global
        .offset:         0
        .size:           8
        .value_kind:     global_buffer
      - .actual_access:  read_only
        .address_space:  global
        .offset:         8
        .size:           8
        .value_kind:     global_buffer
      - .actual_access:  write_only
        .address_space:  global
        .offset:         16
        .size:           8
        .value_kind:     global_buffer
      - .actual_access:  write_only
        .address_space:  global
        .offset:         24
        .size:           8
        .value_kind:     global_buffer
      - .offset:         32
        .size:           8
        .value_kind:     by_value
      - .offset:         40
        .size:           4
        .value_kind:     by_value
      - .offset:         44
        .size:           4
        .value_kind:     by_value
      - .offset:         48
        .size:           4
        .value_kind:     by_value
      - .offset:         52
        .size:           4
        .value_kind:     by_value
      - .offset:         56
        .size:           4
        .value_kind:     by_value
      - .offset:         64
        .size:           4
        .value_kind:     hidden_block_count_x
      - .offset:         68
        .size:           4
        .value_kind:     hidden_block_count_y
      - .offset:         72
        .size:           4
        .value_kind:     hidden_block_count_z
      - .offset:         76
        .size:           2
        .value_kind:     hidden_group_size_x
      - .offset:         78
        .size:           2
        .value_kind:     hidden_group_size_y
      - .offset:         80
        .size:           2
        .value_kind:     hidden_group_size_z
      - .offset:         82
        .size:           2
        .value_kind:     hidden_remainder_x
      - .offset:         84
        .size:           2
        .value_kind:     hidden_remainder_y
      - .offset:         86
        .size:           2
        .value_kind:     hidden_remainder_z
      - .offset:         104
        .size:           8
        .value_kind:     hidden_global_offset_x
      - .offset:         112
        .size:           8
        .value_kind:     hidden_global_offset_y
      - .offset:         120
        .size:           8
        .value_kind:     hidden_global_offset_z
      - .offset:         128
        .size:           2
        .value_kind:     hidden_grid_dims
      - .offset:         184
        .size:           4
        .value_kind:     hidden_dynamic_lds_size
    .group_segment_fixed_size: 0
    .kernarg_segment_align: 8
    .kernarg_segment_size: 320
    .language:       OpenCL C
    .language_version:
      - 2
      - 0
    .max_flat_workgroup_size: 1024
    .name:           _ZN5aiter19grouped_topk_kernelIfDv4_fLi4ELb1ELb1ELb0EEEvPT_PKS2_PfPimiiiif
    .private_segment_fixed_size: 0
    .sgpr_count:     36
    .sgpr_spill_count: 0
    .symbol:         _ZN5aiter19grouped_topk_kernelIfDv4_fLi4ELb1ELb1ELb0EEEvPT_PKS2_PfPimiiiif.kd
    .uniform_work_group_size: 1
    .uses_dynamic_stack: false
    .vgpr_count:     37
    .vgpr_spill_count: 0
    .wavefront_size: 64
  - .agpr_count:     0
    .args:
      - .actual_access:  read_only
        .address_space:  global
        .offset:         0
        .size:           8
        .value_kind:     global_buffer
      - .actual_access:  read_only
        .address_space:  global
        .offset:         8
        .size:           8
        .value_kind:     global_buffer
      - .actual_access:  write_only
        .address_space:  global
        .offset:         16
        .size:           8
        .value_kind:     global_buffer
      - .actual_access:  write_only
        .address_space:  global
        .offset:         24
        .size:           8
        .value_kind:     global_buffer
      - .offset:         32
        .size:           8
        .value_kind:     by_value
      - .offset:         40
        .size:           4
        .value_kind:     by_value
      - .offset:         44
        .size:           4
        .value_kind:     by_value
      - .offset:         48
        .size:           4
        .value_kind:     by_value
      - .offset:         52
        .size:           4
        .value_kind:     by_value
      - .offset:         56
        .size:           4
        .value_kind:     by_value
      - .offset:         64
        .size:           4
        .value_kind:     hidden_block_count_x
      - .offset:         68
        .size:           4
        .value_kind:     hidden_block_count_y
      - .offset:         72
        .size:           4
        .value_kind:     hidden_block_count_z
      - .offset:         76
        .size:           2
        .value_kind:     hidden_group_size_x
      - .offset:         78
        .size:           2
        .value_kind:     hidden_group_size_y
      - .offset:         80
        .size:           2
        .value_kind:     hidden_group_size_z
      - .offset:         82
        .size:           2
        .value_kind:     hidden_remainder_x
      - .offset:         84
        .size:           2
        .value_kind:     hidden_remainder_y
      - .offset:         86
        .size:           2
        .value_kind:     hidden_remainder_z
      - .offset:         104
        .size:           8
        .value_kind:     hidden_global_offset_x
      - .offset:         112
        .size:           8
        .value_kind:     hidden_global_offset_y
      - .offset:         120
        .size:           8
        .value_kind:     hidden_global_offset_z
      - .offset:         128
        .size:           2
        .value_kind:     hidden_grid_dims
      - .offset:         184
        .size:           4
        .value_kind:     hidden_dynamic_lds_size
    .group_segment_fixed_size: 0
    .kernarg_segment_align: 8
    .kernarg_segment_size: 320
    .language:       OpenCL C
    .language_version:
      - 2
      - 0
    .max_flat_workgroup_size: 1024
    .name:           _ZN5aiter19grouped_topk_kernelIN3c104HalfEDv4_fLi4ELb1ELb1ELb0EEEvPT_PKS4_PfPimiiiif
    .private_segment_fixed_size: 0
    .sgpr_count:     39
    .sgpr_spill_count: 0
    .symbol:         _ZN5aiter19grouped_topk_kernelIN3c104HalfEDv4_fLi4ELb1ELb1ELb0EEEvPT_PKS4_PfPimiiiif.kd
    .uniform_work_group_size: 1
    .uses_dynamic_stack: false
    .vgpr_count:     38
    .vgpr_spill_count: 0
    .wavefront_size: 64
  - .agpr_count:     0
    .args:
      - .actual_access:  read_only
        .address_space:  global
        .offset:         0
        .size:           8
        .value_kind:     global_buffer
      - .actual_access:  read_only
        .address_space:  global
        .offset:         8
        .size:           8
        .value_kind:     global_buffer
      - .actual_access:  write_only
        .address_space:  global
        .offset:         16
        .size:           8
        .value_kind:     global_buffer
      - .actual_access:  write_only
        .address_space:  global
        .offset:         24
        .size:           8
        .value_kind:     global_buffer
      - .offset:         32
        .size:           8
        .value_kind:     by_value
      - .offset:         40
        .size:           4
        .value_kind:     by_value
      - .offset:         44
        .size:           4
        .value_kind:     by_value
      - .offset:         48
        .size:           4
        .value_kind:     by_value
      - .offset:         52
        .size:           4
        .value_kind:     by_value
      - .offset:         56
        .size:           4
        .value_kind:     by_value
      - .offset:         64
        .size:           4
        .value_kind:     hidden_block_count_x
      - .offset:         68
        .size:           4
        .value_kind:     hidden_block_count_y
      - .offset:         72
        .size:           4
        .value_kind:     hidden_block_count_z
      - .offset:         76
        .size:           2
        .value_kind:     hidden_group_size_x
      - .offset:         78
        .size:           2
        .value_kind:     hidden_group_size_y
      - .offset:         80
        .size:           2
        .value_kind:     hidden_group_size_z
      - .offset:         82
        .size:           2
        .value_kind:     hidden_remainder_x
      - .offset:         84
        .size:           2
        .value_kind:     hidden_remainder_y
      - .offset:         86
        .size:           2
        .value_kind:     hidden_remainder_z
      - .offset:         104
        .size:           8
        .value_kind:     hidden_global_offset_x
      - .offset:         112
        .size:           8
        .value_kind:     hidden_global_offset_y
      - .offset:         120
        .size:           8
        .value_kind:     hidden_global_offset_z
      - .offset:         128
        .size:           2
        .value_kind:     hidden_grid_dims
      - .offset:         184
        .size:           4
        .value_kind:     hidden_dynamic_lds_size
    .group_segment_fixed_size: 0
    .kernarg_segment_align: 8
    .kernarg_segment_size: 320
    .language:       OpenCL C
    .language_version:
      - 2
      - 0
    .max_flat_workgroup_size: 1024
    .name:           _ZN5aiter19grouped_topk_kernelIN3c108BFloat16EDv4_fLi4ELb1ELb1ELb0EEEvPT_PKS4_PfPimiiiif
    .private_segment_fixed_size: 0
    .sgpr_count:     38
    .sgpr_spill_count: 0
    .symbol:         _ZN5aiter19grouped_topk_kernelIN3c108BFloat16EDv4_fLi4ELb1ELb1ELb0EEEvPT_PKS4_PfPimiiiif.kd
    .uniform_work_group_size: 1
    .uses_dynamic_stack: false
    .vgpr_count:     38
    .vgpr_spill_count: 0
    .wavefront_size: 64
  - .agpr_count:     0
    .args:
      - .actual_access:  read_only
        .address_space:  global
        .offset:         0
        .size:           8
        .value_kind:     global_buffer
      - .actual_access:  read_only
        .address_space:  global
        .offset:         8
        .size:           8
        .value_kind:     global_buffer
      - .actual_access:  write_only
        .address_space:  global
        .offset:         16
        .size:           8
        .value_kind:     global_buffer
      - .actual_access:  write_only
        .address_space:  global
        .offset:         24
        .size:           8
        .value_kind:     global_buffer
      - .offset:         32
        .size:           8
        .value_kind:     by_value
      - .offset:         40
        .size:           4
        .value_kind:     by_value
      - .offset:         44
        .size:           4
        .value_kind:     by_value
      - .offset:         48
        .size:           4
        .value_kind:     by_value
      - .offset:         52
        .size:           4
        .value_kind:     by_value
      - .offset:         56
        .size:           4
        .value_kind:     by_value
      - .offset:         64
        .size:           4
        .value_kind:     hidden_block_count_x
      - .offset:         68
        .size:           4
        .value_kind:     hidden_block_count_y
      - .offset:         72
        .size:           4
        .value_kind:     hidden_block_count_z
      - .offset:         76
        .size:           2
        .value_kind:     hidden_group_size_x
      - .offset:         78
        .size:           2
        .value_kind:     hidden_group_size_y
      - .offset:         80
        .size:           2
        .value_kind:     hidden_group_size_z
      - .offset:         82
        .size:           2
        .value_kind:     hidden_remainder_x
      - .offset:         84
        .size:           2
        .value_kind:     hidden_remainder_y
      - .offset:         86
        .size:           2
        .value_kind:     hidden_remainder_z
      - .offset:         104
        .size:           8
        .value_kind:     hidden_global_offset_x
      - .offset:         112
        .size:           8
        .value_kind:     hidden_global_offset_y
      - .offset:         120
        .size:           8
        .value_kind:     hidden_global_offset_z
      - .offset:         128
        .size:           2
        .value_kind:     hidden_grid_dims
      - .offset:         184
        .size:           4
        .value_kind:     hidden_dynamic_lds_size
    .group_segment_fixed_size: 0
    .kernarg_segment_align: 8
    .kernarg_segment_size: 320
    .language:       OpenCL C
    .language_version:
      - 2
      - 0
    .max_flat_workgroup_size: 1024
    .name:           _ZN5aiter19grouped_topk_kernelIfDv4_fLi4ELb1ELb0ELb1EEEvPT_PKS2_PfPimiiiif
    .private_segment_fixed_size: 0
    .sgpr_count:     28
    .sgpr_spill_count: 0
    .symbol:         _ZN5aiter19grouped_topk_kernelIfDv4_fLi4ELb1ELb0ELb1EEEvPT_PKS2_PfPimiiiif.kd
    .uniform_work_group_size: 1
    .uses_dynamic_stack: false
    .vgpr_count:     19
    .vgpr_spill_count: 0
    .wavefront_size: 64
  - .agpr_count:     0
    .args:
      - .actual_access:  read_only
        .address_space:  global
        .offset:         0
        .size:           8
        .value_kind:     global_buffer
      - .actual_access:  read_only
        .address_space:  global
        .offset:         8
        .size:           8
        .value_kind:     global_buffer
      - .actual_access:  write_only
        .address_space:  global
        .offset:         16
        .size:           8
        .value_kind:     global_buffer
      - .actual_access:  write_only
        .address_space:  global
        .offset:         24
        .size:           8
        .value_kind:     global_buffer
      - .offset:         32
        .size:           8
        .value_kind:     by_value
      - .offset:         40
        .size:           4
        .value_kind:     by_value
      - .offset:         44
        .size:           4
        .value_kind:     by_value
      - .offset:         48
        .size:           4
        .value_kind:     by_value
      - .offset:         52
        .size:           4
        .value_kind:     by_value
      - .offset:         56
        .size:           4
        .value_kind:     by_value
      - .offset:         64
        .size:           4
        .value_kind:     hidden_block_count_x
      - .offset:         68
        .size:           4
        .value_kind:     hidden_block_count_y
      - .offset:         72
        .size:           4
        .value_kind:     hidden_block_count_z
      - .offset:         76
        .size:           2
        .value_kind:     hidden_group_size_x
      - .offset:         78
        .size:           2
        .value_kind:     hidden_group_size_y
      - .offset:         80
        .size:           2
        .value_kind:     hidden_group_size_z
      - .offset:         82
        .size:           2
        .value_kind:     hidden_remainder_x
      - .offset:         84
        .size:           2
        .value_kind:     hidden_remainder_y
      - .offset:         86
        .size:           2
        .value_kind:     hidden_remainder_z
      - .offset:         104
        .size:           8
        .value_kind:     hidden_global_offset_x
      - .offset:         112
        .size:           8
        .value_kind:     hidden_global_offset_y
      - .offset:         120
        .size:           8
        .value_kind:     hidden_global_offset_z
      - .offset:         128
        .size:           2
        .value_kind:     hidden_grid_dims
      - .offset:         184
        .size:           4
        .value_kind:     hidden_dynamic_lds_size
    .group_segment_fixed_size: 0
    .kernarg_segment_align: 8
    .kernarg_segment_size: 320
    .language:       OpenCL C
    .language_version:
      - 2
      - 0
    .max_flat_workgroup_size: 1024
    .name:           _ZN5aiter19grouped_topk_kernelIN3c104HalfEDv4_fLi4ELb1ELb0ELb1EEEvPT_PKS4_PfPimiiiif
    .private_segment_fixed_size: 0
    .sgpr_count:     28
    .sgpr_spill_count: 0
    .symbol:         _ZN5aiter19grouped_topk_kernelIN3c104HalfEDv4_fLi4ELb1ELb0ELb1EEEvPT_PKS4_PfPimiiiif.kd
    .uniform_work_group_size: 1
    .uses_dynamic_stack: false
    .vgpr_count:     19
    .vgpr_spill_count: 0
    .wavefront_size: 64
  - .agpr_count:     0
    .args:
      - .actual_access:  read_only
        .address_space:  global
        .offset:         0
        .size:           8
        .value_kind:     global_buffer
      - .actual_access:  read_only
        .address_space:  global
        .offset:         8
        .size:           8
        .value_kind:     global_buffer
      - .actual_access:  write_only
        .address_space:  global
        .offset:         16
        .size:           8
        .value_kind:     global_buffer
      - .actual_access:  write_only
        .address_space:  global
        .offset:         24
        .size:           8
        .value_kind:     global_buffer
      - .offset:         32
        .size:           8
        .value_kind:     by_value
      - .offset:         40
        .size:           4
        .value_kind:     by_value
      - .offset:         44
        .size:           4
        .value_kind:     by_value
      - .offset:         48
        .size:           4
        .value_kind:     by_value
      - .offset:         52
        .size:           4
        .value_kind:     by_value
      - .offset:         56
        .size:           4
        .value_kind:     by_value
      - .offset:         64
        .size:           4
        .value_kind:     hidden_block_count_x
      - .offset:         68
        .size:           4
        .value_kind:     hidden_block_count_y
      - .offset:         72
        .size:           4
        .value_kind:     hidden_block_count_z
      - .offset:         76
        .size:           2
        .value_kind:     hidden_group_size_x
      - .offset:         78
        .size:           2
        .value_kind:     hidden_group_size_y
      - .offset:         80
        .size:           2
        .value_kind:     hidden_group_size_z
      - .offset:         82
        .size:           2
        .value_kind:     hidden_remainder_x
      - .offset:         84
        .size:           2
        .value_kind:     hidden_remainder_y
      - .offset:         86
        .size:           2
        .value_kind:     hidden_remainder_z
      - .offset:         104
        .size:           8
        .value_kind:     hidden_global_offset_x
      - .offset:         112
        .size:           8
        .value_kind:     hidden_global_offset_y
      - .offset:         120
        .size:           8
        .value_kind:     hidden_global_offset_z
      - .offset:         128
        .size:           2
        .value_kind:     hidden_grid_dims
      - .offset:         184
        .size:           4
        .value_kind:     hidden_dynamic_lds_size
    .group_segment_fixed_size: 0
    .kernarg_segment_align: 8
    .kernarg_segment_size: 320
    .language:       OpenCL C
    .language_version:
      - 2
      - 0
    .max_flat_workgroup_size: 1024
    .name:           _ZN5aiter19grouped_topk_kernelIN3c108BFloat16EDv4_fLi4ELb1ELb0ELb1EEEvPT_PKS4_PfPimiiiif
    .private_segment_fixed_size: 0
    .sgpr_count:     28
    .sgpr_spill_count: 0
    .symbol:         _ZN5aiter19grouped_topk_kernelIN3c108BFloat16EDv4_fLi4ELb1ELb0ELb1EEEvPT_PKS4_PfPimiiiif.kd
    .uniform_work_group_size: 1
    .uses_dynamic_stack: false
    .vgpr_count:     19
    .vgpr_spill_count: 0
    .wavefront_size: 64
  - .agpr_count:     0
    .args:
      - .actual_access:  read_only
        .address_space:  global
        .offset:         0
        .size:           8
        .value_kind:     global_buffer
      - .actual_access:  read_only
        .address_space:  global
        .offset:         8
        .size:           8
        .value_kind:     global_buffer
      - .actual_access:  write_only
        .address_space:  global
        .offset:         16
        .size:           8
        .value_kind:     global_buffer
      - .actual_access:  write_only
        .address_space:  global
        .offset:         24
        .size:           8
        .value_kind:     global_buffer
      - .offset:         32
        .size:           8
        .value_kind:     by_value
      - .offset:         40
        .size:           4
        .value_kind:     by_value
      - .offset:         44
        .size:           4
        .value_kind:     by_value
      - .offset:         48
        .size:           4
        .value_kind:     by_value
      - .offset:         52
        .size:           4
        .value_kind:     by_value
      - .offset:         56
        .size:           4
        .value_kind:     by_value
      - .offset:         64
        .size:           4
        .value_kind:     hidden_block_count_x
      - .offset:         68
        .size:           4
        .value_kind:     hidden_block_count_y
      - .offset:         72
        .size:           4
        .value_kind:     hidden_block_count_z
      - .offset:         76
        .size:           2
        .value_kind:     hidden_group_size_x
      - .offset:         78
        .size:           2
        .value_kind:     hidden_group_size_y
      - .offset:         80
        .size:           2
        .value_kind:     hidden_group_size_z
      - .offset:         82
        .size:           2
        .value_kind:     hidden_remainder_x
      - .offset:         84
        .size:           2
        .value_kind:     hidden_remainder_y
      - .offset:         86
        .size:           2
        .value_kind:     hidden_remainder_z
      - .offset:         104
        .size:           8
        .value_kind:     hidden_global_offset_x
      - .offset:         112
        .size:           8
        .value_kind:     hidden_global_offset_y
      - .offset:         120
        .size:           8
        .value_kind:     hidden_global_offset_z
      - .offset:         128
        .size:           2
        .value_kind:     hidden_grid_dims
      - .offset:         184
        .size:           4
        .value_kind:     hidden_dynamic_lds_size
    .group_segment_fixed_size: 0
    .kernarg_segment_align: 8
    .kernarg_segment_size: 320
    .language:       OpenCL C
    .language_version:
      - 2
      - 0
    .max_flat_workgroup_size: 1024
    .name:           _ZN5aiter19grouped_topk_kernelIfDv4_fLi4ELb1ELb0ELb0EEEvPT_PKS2_PfPimiiiif
    .private_segment_fixed_size: 0
    .sgpr_count:     32
    .sgpr_spill_count: 0
    .symbol:         _ZN5aiter19grouped_topk_kernelIfDv4_fLi4ELb1ELb0ELb0EEEvPT_PKS2_PfPimiiiif.kd
    .uniform_work_group_size: 1
    .uses_dynamic_stack: false
    .vgpr_count:     31
    .vgpr_spill_count: 0
    .wavefront_size: 64
  - .agpr_count:     0
    .args:
      - .actual_access:  read_only
        .address_space:  global
        .offset:         0
        .size:           8
        .value_kind:     global_buffer
      - .actual_access:  read_only
        .address_space:  global
        .offset:         8
        .size:           8
        .value_kind:     global_buffer
      - .actual_access:  write_only
        .address_space:  global
        .offset:         16
        .size:           8
        .value_kind:     global_buffer
      - .actual_access:  write_only
        .address_space:  global
        .offset:         24
        .size:           8
        .value_kind:     global_buffer
      - .offset:         32
        .size:           8
        .value_kind:     by_value
      - .offset:         40
        .size:           4
        .value_kind:     by_value
      - .offset:         44
        .size:           4
        .value_kind:     by_value
      - .offset:         48
        .size:           4
        .value_kind:     by_value
      - .offset:         52
        .size:           4
        .value_kind:     by_value
      - .offset:         56
        .size:           4
        .value_kind:     by_value
      - .offset:         64
        .size:           4
        .value_kind:     hidden_block_count_x
      - .offset:         68
        .size:           4
        .value_kind:     hidden_block_count_y
      - .offset:         72
        .size:           4
        .value_kind:     hidden_block_count_z
      - .offset:         76
        .size:           2
        .value_kind:     hidden_group_size_x
      - .offset:         78
        .size:           2
        .value_kind:     hidden_group_size_y
      - .offset:         80
        .size:           2
        .value_kind:     hidden_group_size_z
      - .offset:         82
        .size:           2
        .value_kind:     hidden_remainder_x
      - .offset:         84
        .size:           2
        .value_kind:     hidden_remainder_y
      - .offset:         86
        .size:           2
        .value_kind:     hidden_remainder_z
      - .offset:         104
        .size:           8
        .value_kind:     hidden_global_offset_x
      - .offset:         112
        .size:           8
        .value_kind:     hidden_global_offset_y
      - .offset:         120
        .size:           8
        .value_kind:     hidden_global_offset_z
      - .offset:         128
        .size:           2
        .value_kind:     hidden_grid_dims
      - .offset:         184
        .size:           4
        .value_kind:     hidden_dynamic_lds_size
    .group_segment_fixed_size: 0
    .kernarg_segment_align: 8
    .kernarg_segment_size: 320
    .language:       OpenCL C
    .language_version:
      - 2
      - 0
    .max_flat_workgroup_size: 1024
    .name:           _ZN5aiter19grouped_topk_kernelIN3c104HalfEDv4_fLi4ELb1ELb0ELb0EEEvPT_PKS4_PfPimiiiif
    .private_segment_fixed_size: 0
    .sgpr_count:     34
    .sgpr_spill_count: 0
    .symbol:         _ZN5aiter19grouped_topk_kernelIN3c104HalfEDv4_fLi4ELb1ELb0ELb0EEEvPT_PKS4_PfPimiiiif.kd
    .uniform_work_group_size: 1
    .uses_dynamic_stack: false
    .vgpr_count:     32
    .vgpr_spill_count: 0
    .wavefront_size: 64
  - .agpr_count:     0
    .args:
      - .actual_access:  read_only
        .address_space:  global
        .offset:         0
        .size:           8
        .value_kind:     global_buffer
      - .actual_access:  read_only
        .address_space:  global
        .offset:         8
        .size:           8
        .value_kind:     global_buffer
      - .actual_access:  write_only
        .address_space:  global
        .offset:         16
        .size:           8
        .value_kind:     global_buffer
      - .actual_access:  write_only
        .address_space:  global
        .offset:         24
        .size:           8
        .value_kind:     global_buffer
      - .offset:         32
        .size:           8
        .value_kind:     by_value
      - .offset:         40
        .size:           4
        .value_kind:     by_value
      - .offset:         44
        .size:           4
        .value_kind:     by_value
      - .offset:         48
        .size:           4
        .value_kind:     by_value
      - .offset:         52
        .size:           4
        .value_kind:     by_value
      - .offset:         56
        .size:           4
        .value_kind:     by_value
      - .offset:         64
        .size:           4
        .value_kind:     hidden_block_count_x
      - .offset:         68
        .size:           4
        .value_kind:     hidden_block_count_y
      - .offset:         72
        .size:           4
        .value_kind:     hidden_block_count_z
      - .offset:         76
        .size:           2
        .value_kind:     hidden_group_size_x
      - .offset:         78
        .size:           2
        .value_kind:     hidden_group_size_y
      - .offset:         80
        .size:           2
        .value_kind:     hidden_group_size_z
      - .offset:         82
        .size:           2
        .value_kind:     hidden_remainder_x
      - .offset:         84
        .size:           2
        .value_kind:     hidden_remainder_y
      - .offset:         86
        .size:           2
        .value_kind:     hidden_remainder_z
      - .offset:         104
        .size:           8
        .value_kind:     hidden_global_offset_x
      - .offset:         112
        .size:           8
        .value_kind:     hidden_global_offset_y
      - .offset:         120
        .size:           8
        .value_kind:     hidden_global_offset_z
      - .offset:         128
        .size:           2
        .value_kind:     hidden_grid_dims
      - .offset:         184
        .size:           4
        .value_kind:     hidden_dynamic_lds_size
    .group_segment_fixed_size: 0
    .kernarg_segment_align: 8
    .kernarg_segment_size: 320
    .language:       OpenCL C
    .language_version:
      - 2
      - 0
    .max_flat_workgroup_size: 1024
    .name:           _ZN5aiter19grouped_topk_kernelIN3c108BFloat16EDv4_fLi4ELb1ELb0ELb0EEEvPT_PKS4_PfPimiiiif
    .private_segment_fixed_size: 0
    .sgpr_count:     33
    .sgpr_spill_count: 0
    .symbol:         _ZN5aiter19grouped_topk_kernelIN3c108BFloat16EDv4_fLi4ELb1ELb0ELb0EEEvPT_PKS4_PfPimiiiif.kd
    .uniform_work_group_size: 1
    .uses_dynamic_stack: false
    .vgpr_count:     32
    .vgpr_spill_count: 0
    .wavefront_size: 64
  - .agpr_count:     0
    .args:
      - .actual_access:  read_only
        .address_space:  global
        .offset:         0
        .size:           8
        .value_kind:     global_buffer
      - .actual_access:  read_only
        .address_space:  global
        .offset:         8
        .size:           8
        .value_kind:     global_buffer
      - .actual_access:  read_only
        .address_space:  global
        .offset:         16
        .size:           8
        .value_kind:     global_buffer
      - .actual_access:  read_only
        .address_space:  global
        .offset:         24
        .size:           8
        .value_kind:     global_buffer
      - .offset:         32
        .size:           8
        .value_kind:     by_value
      - .offset:         40
        .size:           4
        .value_kind:     by_value
      - .offset:         44
        .size:           4
        .value_kind:     by_value
      - .offset:         48
        .size:           4
        .value_kind:     by_value
      - .offset:         52
        .size:           4
        .value_kind:     by_value
      - .offset:         56
        .size:           4
        .value_kind:     by_value
    .group_segment_fixed_size: 0
    .kernarg_segment_align: 8
    .kernarg_segment_size: 60
    .language:       OpenCL C
    .language_version:
      - 2
      - 0
    .max_flat_workgroup_size: 1024
    .name:           _ZN5aiter28grouped_topk_opt_sort_kernelIfDv4_fLi4ELb0ELb1ELb0EEEvPT_PKS2_PfPimiiiif
    .private_segment_fixed_size: 0
    .sgpr_count:     13
    .sgpr_spill_count: 0
    .symbol:         _ZN5aiter28grouped_topk_opt_sort_kernelIfDv4_fLi4ELb0ELb1ELb0EEEvPT_PKS2_PfPimiiiif.kd
    .uniform_work_group_size: 1
    .uses_dynamic_stack: false
    .vgpr_count:     23
    .vgpr_spill_count: 0
    .wavefront_size: 64
  - .agpr_count:     0
    .args:
      - .actual_access:  read_only
        .address_space:  global
        .offset:         0
        .size:           8
        .value_kind:     global_buffer
      - .actual_access:  read_only
        .address_space:  global
        .offset:         8
        .size:           8
        .value_kind:     global_buffer
      - .actual_access:  read_only
        .address_space:  global
        .offset:         16
        .size:           8
        .value_kind:     global_buffer
      - .actual_access:  read_only
        .address_space:  global
        .offset:         24
        .size:           8
        .value_kind:     global_buffer
      - .offset:         32
        .size:           8
        .value_kind:     by_value
      - .offset:         40
        .size:           4
        .value_kind:     by_value
      - .offset:         44
        .size:           4
        .value_kind:     by_value
      - .offset:         48
        .size:           4
        .value_kind:     by_value
      - .offset:         52
        .size:           4
        .value_kind:     by_value
      - .offset:         56
        .size:           4
        .value_kind:     by_value
    .group_segment_fixed_size: 0
    .kernarg_segment_align: 8
    .kernarg_segment_size: 60
    .language:       OpenCL C
    .language_version:
      - 2
      - 0
    .max_flat_workgroup_size: 1024
    .name:           _ZN5aiter28grouped_topk_opt_sort_kernelIN3c104HalfEDv4_fLi4ELb0ELb1ELb0EEEvPT_PKS4_PfPimiiiif
    .private_segment_fixed_size: 0
    .sgpr_count:     13
    .sgpr_spill_count: 0
    .symbol:         _ZN5aiter28grouped_topk_opt_sort_kernelIN3c104HalfEDv4_fLi4ELb0ELb1ELb0EEEvPT_PKS4_PfPimiiiif.kd
    .uniform_work_group_size: 1
    .uses_dynamic_stack: false
    .vgpr_count:     23
    .vgpr_spill_count: 0
    .wavefront_size: 64
  - .agpr_count:     0
    .args:
      - .actual_access:  read_only
        .address_space:  global
        .offset:         0
        .size:           8
        .value_kind:     global_buffer
      - .actual_access:  read_only
        .address_space:  global
        .offset:         8
        .size:           8
        .value_kind:     global_buffer
      - .actual_access:  read_only
        .address_space:  global
        .offset:         16
        .size:           8
        .value_kind:     global_buffer
      - .actual_access:  read_only
        .address_space:  global
        .offset:         24
        .size:           8
        .value_kind:     global_buffer
      - .offset:         32
        .size:           8
        .value_kind:     by_value
      - .offset:         40
        .size:           4
        .value_kind:     by_value
      - .offset:         44
        .size:           4
        .value_kind:     by_value
      - .offset:         48
        .size:           4
        .value_kind:     by_value
      - .offset:         52
        .size:           4
        .value_kind:     by_value
      - .offset:         56
        .size:           4
        .value_kind:     by_value
    .group_segment_fixed_size: 0
    .kernarg_segment_align: 8
    .kernarg_segment_size: 60
    .language:       OpenCL C
    .language_version:
      - 2
      - 0
    .max_flat_workgroup_size: 1024
    .name:           _ZN5aiter28grouped_topk_opt_sort_kernelIN3c108BFloat16EDv4_fLi4ELb0ELb1ELb0EEEvPT_PKS4_PfPimiiiif
    .private_segment_fixed_size: 0
    .sgpr_count:     13
    .sgpr_spill_count: 0
    .symbol:         _ZN5aiter28grouped_topk_opt_sort_kernelIN3c108BFloat16EDv4_fLi4ELb0ELb1ELb0EEEvPT_PKS4_PfPimiiiif.kd
    .uniform_work_group_size: 1
    .uses_dynamic_stack: false
    .vgpr_count:     23
    .vgpr_spill_count: 0
    .wavefront_size: 64
  - .agpr_count:     0
    .args:
      - .actual_access:  read_only
        .address_space:  global
        .offset:         0
        .size:           8
        .value_kind:     global_buffer
      - .actual_access:  read_only
        .address_space:  global
        .offset:         8
        .size:           8
        .value_kind:     global_buffer
      - .actual_access:  write_only
        .address_space:  global
        .offset:         16
        .size:           8
        .value_kind:     global_buffer
      - .actual_access:  write_only
        .address_space:  global
        .offset:         24
        .size:           8
        .value_kind:     global_buffer
      - .offset:         32
        .size:           8
        .value_kind:     by_value
      - .offset:         40
        .size:           4
        .value_kind:     by_value
      - .offset:         44
        .size:           4
        .value_kind:     by_value
      - .offset:         48
        .size:           4
        .value_kind:     by_value
      - .offset:         52
        .size:           4
        .value_kind:     by_value
      - .offset:         56
        .size:           4
        .value_kind:     by_value
      - .offset:         64
        .size:           4
        .value_kind:     hidden_block_count_x
      - .offset:         68
        .size:           4
        .value_kind:     hidden_block_count_y
      - .offset:         72
        .size:           4
        .value_kind:     hidden_block_count_z
      - .offset:         76
        .size:           2
        .value_kind:     hidden_group_size_x
      - .offset:         78
        .size:           2
        .value_kind:     hidden_group_size_y
      - .offset:         80
        .size:           2
        .value_kind:     hidden_group_size_z
      - .offset:         82
        .size:           2
        .value_kind:     hidden_remainder_x
      - .offset:         84
        .size:           2
        .value_kind:     hidden_remainder_y
      - .offset:         86
        .size:           2
        .value_kind:     hidden_remainder_z
      - .offset:         104
        .size:           8
        .value_kind:     hidden_global_offset_x
      - .offset:         112
        .size:           8
        .value_kind:     hidden_global_offset_y
      - .offset:         120
        .size:           8
        .value_kind:     hidden_global_offset_z
      - .offset:         128
        .size:           2
        .value_kind:     hidden_grid_dims
      - .offset:         184
        .size:           4
        .value_kind:     hidden_dynamic_lds_size
    .group_segment_fixed_size: 0
    .kernarg_segment_align: 8
    .kernarg_segment_size: 320
    .language:       OpenCL C
    .language_version:
      - 2
      - 0
    .max_flat_workgroup_size: 1024
    .name:           _ZN5aiter19grouped_topk_kernelIfDv4_fLi4ELb0ELb1ELb0EEEvPT_PKS2_PfPimiiiif
    .private_segment_fixed_size: 0
    .sgpr_count:     36
    .sgpr_spill_count: 0
    .symbol:         _ZN5aiter19grouped_topk_kernelIfDv4_fLi4ELb0ELb1ELb0EEEvPT_PKS2_PfPimiiiif.kd
    .uniform_work_group_size: 1
    .uses_dynamic_stack: false
    .vgpr_count:     37
    .vgpr_spill_count: 0
    .wavefront_size: 64
  - .agpr_count:     0
    .args:
      - .actual_access:  read_only
        .address_space:  global
        .offset:         0
        .size:           8
        .value_kind:     global_buffer
      - .actual_access:  read_only
        .address_space:  global
        .offset:         8
        .size:           8
        .value_kind:     global_buffer
      - .actual_access:  write_only
        .address_space:  global
        .offset:         16
        .size:           8
        .value_kind:     global_buffer
      - .actual_access:  write_only
        .address_space:  global
        .offset:         24
        .size:           8
        .value_kind:     global_buffer
      - .offset:         32
        .size:           8
        .value_kind:     by_value
      - .offset:         40
        .size:           4
        .value_kind:     by_value
      - .offset:         44
        .size:           4
        .value_kind:     by_value
      - .offset:         48
        .size:           4
        .value_kind:     by_value
      - .offset:         52
        .size:           4
        .value_kind:     by_value
      - .offset:         56
        .size:           4
        .value_kind:     by_value
      - .offset:         64
        .size:           4
        .value_kind:     hidden_block_count_x
      - .offset:         68
        .size:           4
        .value_kind:     hidden_block_count_y
      - .offset:         72
        .size:           4
        .value_kind:     hidden_block_count_z
      - .offset:         76
        .size:           2
        .value_kind:     hidden_group_size_x
      - .offset:         78
        .size:           2
        .value_kind:     hidden_group_size_y
      - .offset:         80
        .size:           2
        .value_kind:     hidden_group_size_z
      - .offset:         82
        .size:           2
        .value_kind:     hidden_remainder_x
      - .offset:         84
        .size:           2
        .value_kind:     hidden_remainder_y
      - .offset:         86
        .size:           2
        .value_kind:     hidden_remainder_z
      - .offset:         104
        .size:           8
        .value_kind:     hidden_global_offset_x
      - .offset:         112
        .size:           8
        .value_kind:     hidden_global_offset_y
      - .offset:         120
        .size:           8
        .value_kind:     hidden_global_offset_z
      - .offset:         128
        .size:           2
        .value_kind:     hidden_grid_dims
      - .offset:         184
        .size:           4
        .value_kind:     hidden_dynamic_lds_size
    .group_segment_fixed_size: 0
    .kernarg_segment_align: 8
    .kernarg_segment_size: 320
    .language:       OpenCL C
    .language_version:
      - 2
      - 0
    .max_flat_workgroup_size: 1024
    .name:           _ZN5aiter19grouped_topk_kernelIN3c104HalfEDv4_fLi4ELb0ELb1ELb0EEEvPT_PKS4_PfPimiiiif
    .private_segment_fixed_size: 0
    .sgpr_count:     39
    .sgpr_spill_count: 0
    .symbol:         _ZN5aiter19grouped_topk_kernelIN3c104HalfEDv4_fLi4ELb0ELb1ELb0EEEvPT_PKS4_PfPimiiiif.kd
    .uniform_work_group_size: 1
    .uses_dynamic_stack: false
    .vgpr_count:     38
    .vgpr_spill_count: 0
    .wavefront_size: 64
  - .agpr_count:     0
    .args:
      - .actual_access:  read_only
        .address_space:  global
        .offset:         0
        .size:           8
        .value_kind:     global_buffer
      - .actual_access:  read_only
        .address_space:  global
        .offset:         8
        .size:           8
        .value_kind:     global_buffer
      - .actual_access:  write_only
        .address_space:  global
        .offset:         16
        .size:           8
        .value_kind:     global_buffer
      - .actual_access:  write_only
        .address_space:  global
        .offset:         24
        .size:           8
        .value_kind:     global_buffer
      - .offset:         32
        .size:           8
        .value_kind:     by_value
      - .offset:         40
        .size:           4
        .value_kind:     by_value
      - .offset:         44
        .size:           4
        .value_kind:     by_value
      - .offset:         48
        .size:           4
        .value_kind:     by_value
      - .offset:         52
        .size:           4
        .value_kind:     by_value
      - .offset:         56
        .size:           4
        .value_kind:     by_value
      - .offset:         64
        .size:           4
        .value_kind:     hidden_block_count_x
      - .offset:         68
        .size:           4
        .value_kind:     hidden_block_count_y
      - .offset:         72
        .size:           4
        .value_kind:     hidden_block_count_z
      - .offset:         76
        .size:           2
        .value_kind:     hidden_group_size_x
      - .offset:         78
        .size:           2
        .value_kind:     hidden_group_size_y
      - .offset:         80
        .size:           2
        .value_kind:     hidden_group_size_z
      - .offset:         82
        .size:           2
        .value_kind:     hidden_remainder_x
      - .offset:         84
        .size:           2
        .value_kind:     hidden_remainder_y
      - .offset:         86
        .size:           2
        .value_kind:     hidden_remainder_z
      - .offset:         104
        .size:           8
        .value_kind:     hidden_global_offset_x
      - .offset:         112
        .size:           8
        .value_kind:     hidden_global_offset_y
      - .offset:         120
        .size:           8
        .value_kind:     hidden_global_offset_z
      - .offset:         128
        .size:           2
        .value_kind:     hidden_grid_dims
      - .offset:         184
        .size:           4
        .value_kind:     hidden_dynamic_lds_size
    .group_segment_fixed_size: 0
    .kernarg_segment_align: 8
    .kernarg_segment_size: 320
    .language:       OpenCL C
    .language_version:
      - 2
      - 0
    .max_flat_workgroup_size: 1024
    .name:           _ZN5aiter19grouped_topk_kernelIN3c108BFloat16EDv4_fLi4ELb0ELb1ELb0EEEvPT_PKS4_PfPimiiiif
    .private_segment_fixed_size: 0
    .sgpr_count:     38
    .sgpr_spill_count: 0
    .symbol:         _ZN5aiter19grouped_topk_kernelIN3c108BFloat16EDv4_fLi4ELb0ELb1ELb0EEEvPT_PKS4_PfPimiiiif.kd
    .uniform_work_group_size: 1
    .uses_dynamic_stack: false
    .vgpr_count:     38
    .vgpr_spill_count: 0
    .wavefront_size: 64
  - .agpr_count:     0
    .args:
      - .actual_access:  read_only
        .address_space:  global
        .offset:         0
        .size:           8
        .value_kind:     global_buffer
      - .actual_access:  read_only
        .address_space:  global
        .offset:         8
        .size:           8
        .value_kind:     global_buffer
      - .actual_access:  write_only
        .address_space:  global
        .offset:         16
        .size:           8
        .value_kind:     global_buffer
      - .actual_access:  write_only
        .address_space:  global
        .offset:         24
        .size:           8
        .value_kind:     global_buffer
      - .offset:         32
        .size:           8
        .value_kind:     by_value
      - .offset:         40
        .size:           4
        .value_kind:     by_value
      - .offset:         44
        .size:           4
        .value_kind:     by_value
      - .offset:         48
        .size:           4
        .value_kind:     by_value
      - .offset:         52
        .size:           4
        .value_kind:     by_value
      - .offset:         56
        .size:           4
        .value_kind:     by_value
      - .offset:         64
        .size:           4
        .value_kind:     hidden_block_count_x
      - .offset:         68
        .size:           4
        .value_kind:     hidden_block_count_y
      - .offset:         72
        .size:           4
        .value_kind:     hidden_block_count_z
      - .offset:         76
        .size:           2
        .value_kind:     hidden_group_size_x
      - .offset:         78
        .size:           2
        .value_kind:     hidden_group_size_y
      - .offset:         80
        .size:           2
        .value_kind:     hidden_group_size_z
      - .offset:         82
        .size:           2
        .value_kind:     hidden_remainder_x
      - .offset:         84
        .size:           2
        .value_kind:     hidden_remainder_y
      - .offset:         86
        .size:           2
        .value_kind:     hidden_remainder_z
      - .offset:         104
        .size:           8
        .value_kind:     hidden_global_offset_x
      - .offset:         112
        .size:           8
        .value_kind:     hidden_global_offset_y
      - .offset:         120
        .size:           8
        .value_kind:     hidden_global_offset_z
      - .offset:         128
        .size:           2
        .value_kind:     hidden_grid_dims
      - .offset:         184
        .size:           4
        .value_kind:     hidden_dynamic_lds_size
    .group_segment_fixed_size: 0
    .kernarg_segment_align: 8
    .kernarg_segment_size: 320
    .language:       OpenCL C
    .language_version:
      - 2
      - 0
    .max_flat_workgroup_size: 1024
    .name:           _ZN5aiter19grouped_topk_kernelIfDv4_fLi4ELb0ELb0ELb1EEEvPT_PKS2_PfPimiiiif
    .private_segment_fixed_size: 0
    .sgpr_count:     28
    .sgpr_spill_count: 0
    .symbol:         _ZN5aiter19grouped_topk_kernelIfDv4_fLi4ELb0ELb0ELb1EEEvPT_PKS2_PfPimiiiif.kd
    .uniform_work_group_size: 1
    .uses_dynamic_stack: false
    .vgpr_count:     18
    .vgpr_spill_count: 0
    .wavefront_size: 64
  - .agpr_count:     0
    .args:
      - .actual_access:  read_only
        .address_space:  global
        .offset:         0
        .size:           8
        .value_kind:     global_buffer
      - .actual_access:  read_only
        .address_space:  global
        .offset:         8
        .size:           8
        .value_kind:     global_buffer
      - .actual_access:  write_only
        .address_space:  global
        .offset:         16
        .size:           8
        .value_kind:     global_buffer
      - .actual_access:  write_only
        .address_space:  global
        .offset:         24
        .size:           8
        .value_kind:     global_buffer
      - .offset:         32
        .size:           8
        .value_kind:     by_value
      - .offset:         40
        .size:           4
        .value_kind:     by_value
      - .offset:         44
        .size:           4
        .value_kind:     by_value
      - .offset:         48
        .size:           4
        .value_kind:     by_value
      - .offset:         52
        .size:           4
        .value_kind:     by_value
      - .offset:         56
        .size:           4
        .value_kind:     by_value
      - .offset:         64
        .size:           4
        .value_kind:     hidden_block_count_x
      - .offset:         68
        .size:           4
        .value_kind:     hidden_block_count_y
      - .offset:         72
        .size:           4
        .value_kind:     hidden_block_count_z
      - .offset:         76
        .size:           2
        .value_kind:     hidden_group_size_x
      - .offset:         78
        .size:           2
        .value_kind:     hidden_group_size_y
      - .offset:         80
        .size:           2
        .value_kind:     hidden_group_size_z
      - .offset:         82
        .size:           2
        .value_kind:     hidden_remainder_x
      - .offset:         84
        .size:           2
        .value_kind:     hidden_remainder_y
      - .offset:         86
        .size:           2
        .value_kind:     hidden_remainder_z
      - .offset:         104
        .size:           8
        .value_kind:     hidden_global_offset_x
      - .offset:         112
        .size:           8
        .value_kind:     hidden_global_offset_y
      - .offset:         120
        .size:           8
        .value_kind:     hidden_global_offset_z
      - .offset:         128
        .size:           2
        .value_kind:     hidden_grid_dims
      - .offset:         184
        .size:           4
        .value_kind:     hidden_dynamic_lds_size
    .group_segment_fixed_size: 0
    .kernarg_segment_align: 8
    .kernarg_segment_size: 320
    .language:       OpenCL C
    .language_version:
      - 2
      - 0
    .max_flat_workgroup_size: 1024
    .name:           _ZN5aiter19grouped_topk_kernelIN3c104HalfEDv4_fLi4ELb0ELb0ELb1EEEvPT_PKS4_PfPimiiiif
    .private_segment_fixed_size: 0
    .sgpr_count:     28
    .sgpr_spill_count: 0
    .symbol:         _ZN5aiter19grouped_topk_kernelIN3c104HalfEDv4_fLi4ELb0ELb0ELb1EEEvPT_PKS4_PfPimiiiif.kd
    .uniform_work_group_size: 1
    .uses_dynamic_stack: false
    .vgpr_count:     18
    .vgpr_spill_count: 0
    .wavefront_size: 64
  - .agpr_count:     0
    .args:
      - .actual_access:  read_only
        .address_space:  global
        .offset:         0
        .size:           8
        .value_kind:     global_buffer
      - .actual_access:  read_only
        .address_space:  global
        .offset:         8
        .size:           8
        .value_kind:     global_buffer
      - .actual_access:  write_only
        .address_space:  global
        .offset:         16
        .size:           8
        .value_kind:     global_buffer
      - .actual_access:  write_only
        .address_space:  global
        .offset:         24
        .size:           8
        .value_kind:     global_buffer
      - .offset:         32
        .size:           8
        .value_kind:     by_value
      - .offset:         40
        .size:           4
        .value_kind:     by_value
      - .offset:         44
        .size:           4
        .value_kind:     by_value
      - .offset:         48
        .size:           4
        .value_kind:     by_value
      - .offset:         52
        .size:           4
        .value_kind:     by_value
      - .offset:         56
        .size:           4
        .value_kind:     by_value
      - .offset:         64
        .size:           4
        .value_kind:     hidden_block_count_x
      - .offset:         68
        .size:           4
        .value_kind:     hidden_block_count_y
      - .offset:         72
        .size:           4
        .value_kind:     hidden_block_count_z
      - .offset:         76
        .size:           2
        .value_kind:     hidden_group_size_x
      - .offset:         78
        .size:           2
        .value_kind:     hidden_group_size_y
      - .offset:         80
        .size:           2
        .value_kind:     hidden_group_size_z
      - .offset:         82
        .size:           2
        .value_kind:     hidden_remainder_x
      - .offset:         84
        .size:           2
        .value_kind:     hidden_remainder_y
      - .offset:         86
        .size:           2
        .value_kind:     hidden_remainder_z
      - .offset:         104
        .size:           8
        .value_kind:     hidden_global_offset_x
      - .offset:         112
        .size:           8
        .value_kind:     hidden_global_offset_y
      - .offset:         120
        .size:           8
        .value_kind:     hidden_global_offset_z
      - .offset:         128
        .size:           2
        .value_kind:     hidden_grid_dims
      - .offset:         184
        .size:           4
        .value_kind:     hidden_dynamic_lds_size
    .group_segment_fixed_size: 0
    .kernarg_segment_align: 8
    .kernarg_segment_size: 320
    .language:       OpenCL C
    .language_version:
      - 2
      - 0
    .max_flat_workgroup_size: 1024
    .name:           _ZN5aiter19grouped_topk_kernelIN3c108BFloat16EDv4_fLi4ELb0ELb0ELb1EEEvPT_PKS4_PfPimiiiif
    .private_segment_fixed_size: 0
    .sgpr_count:     28
    .sgpr_spill_count: 0
    .symbol:         _ZN5aiter19grouped_topk_kernelIN3c108BFloat16EDv4_fLi4ELb0ELb0ELb1EEEvPT_PKS4_PfPimiiiif.kd
    .uniform_work_group_size: 1
    .uses_dynamic_stack: false
    .vgpr_count:     18
    .vgpr_spill_count: 0
    .wavefront_size: 64
  - .agpr_count:     0
    .args:
      - .actual_access:  read_only
        .address_space:  global
        .offset:         0
        .size:           8
        .value_kind:     global_buffer
      - .actual_access:  read_only
        .address_space:  global
        .offset:         8
        .size:           8
        .value_kind:     global_buffer
      - .actual_access:  write_only
        .address_space:  global
        .offset:         16
        .size:           8
        .value_kind:     global_buffer
      - .actual_access:  write_only
        .address_space:  global
        .offset:         24
        .size:           8
        .value_kind:     global_buffer
      - .offset:         32
        .size:           8
        .value_kind:     by_value
      - .offset:         40
        .size:           4
        .value_kind:     by_value
      - .offset:         44
        .size:           4
        .value_kind:     by_value
      - .offset:         48
        .size:           4
        .value_kind:     by_value
      - .offset:         52
        .size:           4
        .value_kind:     by_value
      - .offset:         56
        .size:           4
        .value_kind:     by_value
      - .offset:         64
        .size:           4
        .value_kind:     hidden_block_count_x
      - .offset:         68
        .size:           4
        .value_kind:     hidden_block_count_y
      - .offset:         72
        .size:           4
        .value_kind:     hidden_block_count_z
      - .offset:         76
        .size:           2
        .value_kind:     hidden_group_size_x
      - .offset:         78
        .size:           2
        .value_kind:     hidden_group_size_y
      - .offset:         80
        .size:           2
        .value_kind:     hidden_group_size_z
      - .offset:         82
        .size:           2
        .value_kind:     hidden_remainder_x
      - .offset:         84
        .size:           2
        .value_kind:     hidden_remainder_y
      - .offset:         86
        .size:           2
        .value_kind:     hidden_remainder_z
      - .offset:         104
        .size:           8
        .value_kind:     hidden_global_offset_x
      - .offset:         112
        .size:           8
        .value_kind:     hidden_global_offset_y
      - .offset:         120
        .size:           8
        .value_kind:     hidden_global_offset_z
      - .offset:         128
        .size:           2
        .value_kind:     hidden_grid_dims
      - .offset:         184
        .size:           4
        .value_kind:     hidden_dynamic_lds_size
    .group_segment_fixed_size: 0
    .kernarg_segment_align: 8
    .kernarg_segment_size: 320
    .language:       OpenCL C
    .language_version:
      - 2
      - 0
    .max_flat_workgroup_size: 1024
    .name:           _ZN5aiter19grouped_topk_kernelIfDv4_fLi4ELb0ELb0ELb0EEEvPT_PKS2_PfPimiiiif
    .private_segment_fixed_size: 0
    .sgpr_count:     32
    .sgpr_spill_count: 0
    .symbol:         _ZN5aiter19grouped_topk_kernelIfDv4_fLi4ELb0ELb0ELb0EEEvPT_PKS2_PfPimiiiif.kd
    .uniform_work_group_size: 1
    .uses_dynamic_stack: false
    .vgpr_count:     31
    .vgpr_spill_count: 0
    .wavefront_size: 64
  - .agpr_count:     0
    .args:
      - .actual_access:  read_only
        .address_space:  global
        .offset:         0
        .size:           8
        .value_kind:     global_buffer
      - .actual_access:  read_only
        .address_space:  global
        .offset:         8
        .size:           8
        .value_kind:     global_buffer
      - .actual_access:  write_only
        .address_space:  global
        .offset:         16
        .size:           8
        .value_kind:     global_buffer
      - .actual_access:  write_only
        .address_space:  global
        .offset:         24
        .size:           8
        .value_kind:     global_buffer
      - .offset:         32
        .size:           8
        .value_kind:     by_value
      - .offset:         40
        .size:           4
        .value_kind:     by_value
      - .offset:         44
        .size:           4
        .value_kind:     by_value
      - .offset:         48
        .size:           4
        .value_kind:     by_value
      - .offset:         52
        .size:           4
        .value_kind:     by_value
      - .offset:         56
        .size:           4
        .value_kind:     by_value
      - .offset:         64
        .size:           4
        .value_kind:     hidden_block_count_x
      - .offset:         68
        .size:           4
        .value_kind:     hidden_block_count_y
      - .offset:         72
        .size:           4
        .value_kind:     hidden_block_count_z
      - .offset:         76
        .size:           2
        .value_kind:     hidden_group_size_x
      - .offset:         78
        .size:           2
        .value_kind:     hidden_group_size_y
      - .offset:         80
        .size:           2
        .value_kind:     hidden_group_size_z
      - .offset:         82
        .size:           2
        .value_kind:     hidden_remainder_x
      - .offset:         84
        .size:           2
        .value_kind:     hidden_remainder_y
      - .offset:         86
        .size:           2
        .value_kind:     hidden_remainder_z
      - .offset:         104
        .size:           8
        .value_kind:     hidden_global_offset_x
      - .offset:         112
        .size:           8
        .value_kind:     hidden_global_offset_y
      - .offset:         120
        .size:           8
        .value_kind:     hidden_global_offset_z
      - .offset:         128
        .size:           2
        .value_kind:     hidden_grid_dims
      - .offset:         184
        .size:           4
        .value_kind:     hidden_dynamic_lds_size
    .group_segment_fixed_size: 0
    .kernarg_segment_align: 8
    .kernarg_segment_size: 320
    .language:       OpenCL C
    .language_version:
      - 2
      - 0
    .max_flat_workgroup_size: 1024
    .name:           _ZN5aiter19grouped_topk_kernelIN3c104HalfEDv4_fLi4ELb0ELb0ELb0EEEvPT_PKS4_PfPimiiiif
    .private_segment_fixed_size: 0
    .sgpr_count:     34
    .sgpr_spill_count: 0
    .symbol:         _ZN5aiter19grouped_topk_kernelIN3c104HalfEDv4_fLi4ELb0ELb0ELb0EEEvPT_PKS4_PfPimiiiif.kd
    .uniform_work_group_size: 1
    .uses_dynamic_stack: false
    .vgpr_count:     32
    .vgpr_spill_count: 0
    .wavefront_size: 64
  - .agpr_count:     0
    .args:
      - .actual_access:  read_only
        .address_space:  global
        .offset:         0
        .size:           8
        .value_kind:     global_buffer
      - .actual_access:  read_only
        .address_space:  global
        .offset:         8
        .size:           8
        .value_kind:     global_buffer
      - .actual_access:  write_only
        .address_space:  global
        .offset:         16
        .size:           8
        .value_kind:     global_buffer
      - .actual_access:  write_only
        .address_space:  global
        .offset:         24
        .size:           8
        .value_kind:     global_buffer
      - .offset:         32
        .size:           8
        .value_kind:     by_value
      - .offset:         40
        .size:           4
        .value_kind:     by_value
      - .offset:         44
        .size:           4
        .value_kind:     by_value
      - .offset:         48
        .size:           4
        .value_kind:     by_value
      - .offset:         52
        .size:           4
        .value_kind:     by_value
      - .offset:         56
        .size:           4
        .value_kind:     by_value
      - .offset:         64
        .size:           4
        .value_kind:     hidden_block_count_x
      - .offset:         68
        .size:           4
        .value_kind:     hidden_block_count_y
      - .offset:         72
        .size:           4
        .value_kind:     hidden_block_count_z
      - .offset:         76
        .size:           2
        .value_kind:     hidden_group_size_x
      - .offset:         78
        .size:           2
        .value_kind:     hidden_group_size_y
      - .offset:         80
        .size:           2
        .value_kind:     hidden_group_size_z
      - .offset:         82
        .size:           2
        .value_kind:     hidden_remainder_x
      - .offset:         84
        .size:           2
        .value_kind:     hidden_remainder_y
      - .offset:         86
        .size:           2
        .value_kind:     hidden_remainder_z
      - .offset:         104
        .size:           8
        .value_kind:     hidden_global_offset_x
      - .offset:         112
        .size:           8
        .value_kind:     hidden_global_offset_y
      - .offset:         120
        .size:           8
        .value_kind:     hidden_global_offset_z
      - .offset:         128
        .size:           2
        .value_kind:     hidden_grid_dims
      - .offset:         184
        .size:           4
        .value_kind:     hidden_dynamic_lds_size
    .group_segment_fixed_size: 0
    .kernarg_segment_align: 8
    .kernarg_segment_size: 320
    .language:       OpenCL C
    .language_version:
      - 2
      - 0
    .max_flat_workgroup_size: 1024
    .name:           _ZN5aiter19grouped_topk_kernelIN3c108BFloat16EDv4_fLi4ELb0ELb0ELb0EEEvPT_PKS4_PfPimiiiif
    .private_segment_fixed_size: 0
    .sgpr_count:     33
    .sgpr_spill_count: 0
    .symbol:         _ZN5aiter19grouped_topk_kernelIN3c108BFloat16EDv4_fLi4ELb0ELb0ELb0EEEvPT_PKS4_PfPimiiiif.kd
    .uniform_work_group_size: 1
    .uses_dynamic_stack: false
    .vgpr_count:     32
    .vgpr_spill_count: 0
    .wavefront_size: 64
  - .agpr_count:     0
    .args:
      - .actual_access:  read_only
        .address_space:  global
        .offset:         0
        .size:           8
        .value_kind:     global_buffer
      - .actual_access:  read_only
        .address_space:  global
        .offset:         8
        .size:           8
        .value_kind:     global_buffer
      - .actual_access:  read_only
        .address_space:  global
        .offset:         16
        .size:           8
        .value_kind:     global_buffer
      - .actual_access:  read_only
        .address_space:  global
        .offset:         24
        .size:           8
        .value_kind:     global_buffer
      - .offset:         32
        .size:           8
        .value_kind:     by_value
      - .offset:         40
        .size:           4
        .value_kind:     by_value
      - .offset:         44
        .size:           4
        .value_kind:     by_value
      - .offset:         48
        .size:           4
        .value_kind:     by_value
      - .offset:         52
        .size:           4
        .value_kind:     by_value
      - .offset:         56
        .size:           4
        .value_kind:     by_value
    .group_segment_fixed_size: 0
    .kernarg_segment_align: 8
    .kernarg_segment_size: 60
    .language:       OpenCL C
    .language_version:
      - 2
      - 0
    .max_flat_workgroup_size: 1024
    .name:           _ZN5aiter28grouped_topk_opt_sort_kernelIfDv4_fLi2ELb1ELb1ELb0EEEvPT_PKS2_PfPimiiiif
    .private_segment_fixed_size: 0
    .sgpr_count:     13
    .sgpr_spill_count: 0
    .symbol:         _ZN5aiter28grouped_topk_opt_sort_kernelIfDv4_fLi2ELb1ELb1ELb0EEEvPT_PKS2_PfPimiiiif.kd
    .uniform_work_group_size: 1
    .uses_dynamic_stack: false
    .vgpr_count:     20
    .vgpr_spill_count: 0
    .wavefront_size: 64
  - .agpr_count:     0
    .args:
      - .actual_access:  read_only
        .address_space:  global
        .offset:         0
        .size:           8
        .value_kind:     global_buffer
      - .actual_access:  read_only
        .address_space:  global
        .offset:         8
        .size:           8
        .value_kind:     global_buffer
      - .actual_access:  read_only
        .address_space:  global
        .offset:         16
        .size:           8
        .value_kind:     global_buffer
      - .actual_access:  read_only
        .address_space:  global
        .offset:         24
        .size:           8
        .value_kind:     global_buffer
      - .offset:         32
        .size:           8
        .value_kind:     by_value
      - .offset:         40
        .size:           4
        .value_kind:     by_value
      - .offset:         44
        .size:           4
        .value_kind:     by_value
      - .offset:         48
        .size:           4
        .value_kind:     by_value
      - .offset:         52
        .size:           4
        .value_kind:     by_value
      - .offset:         56
        .size:           4
        .value_kind:     by_value
    .group_segment_fixed_size: 0
    .kernarg_segment_align: 8
    .kernarg_segment_size: 60
    .language:       OpenCL C
    .language_version:
      - 2
      - 0
    .max_flat_workgroup_size: 1024
    .name:           _ZN5aiter28grouped_topk_opt_sort_kernelIN3c104HalfEDv4_fLi2ELb1ELb1ELb0EEEvPT_PKS4_PfPimiiiif
    .private_segment_fixed_size: 0
    .sgpr_count:     13
    .sgpr_spill_count: 0
    .symbol:         _ZN5aiter28grouped_topk_opt_sort_kernelIN3c104HalfEDv4_fLi2ELb1ELb1ELb0EEEvPT_PKS4_PfPimiiiif.kd
    .uniform_work_group_size: 1
    .uses_dynamic_stack: false
    .vgpr_count:     19
    .vgpr_spill_count: 0
    .wavefront_size: 64
  - .agpr_count:     0
    .args:
      - .actual_access:  read_only
        .address_space:  global
        .offset:         0
        .size:           8
        .value_kind:     global_buffer
      - .actual_access:  read_only
        .address_space:  global
        .offset:         8
        .size:           8
        .value_kind:     global_buffer
      - .actual_access:  read_only
        .address_space:  global
        .offset:         16
        .size:           8
        .value_kind:     global_buffer
      - .actual_access:  read_only
        .address_space:  global
        .offset:         24
        .size:           8
        .value_kind:     global_buffer
      - .offset:         32
        .size:           8
        .value_kind:     by_value
      - .offset:         40
        .size:           4
        .value_kind:     by_value
      - .offset:         44
        .size:           4
        .value_kind:     by_value
      - .offset:         48
        .size:           4
        .value_kind:     by_value
      - .offset:         52
        .size:           4
        .value_kind:     by_value
      - .offset:         56
        .size:           4
        .value_kind:     by_value
    .group_segment_fixed_size: 0
    .kernarg_segment_align: 8
    .kernarg_segment_size: 60
    .language:       OpenCL C
    .language_version:
      - 2
      - 0
    .max_flat_workgroup_size: 1024
    .name:           _ZN5aiter28grouped_topk_opt_sort_kernelIN3c108BFloat16EDv4_fLi2ELb1ELb1ELb0EEEvPT_PKS4_PfPimiiiif
    .private_segment_fixed_size: 0
    .sgpr_count:     13
    .sgpr_spill_count: 0
    .symbol:         _ZN5aiter28grouped_topk_opt_sort_kernelIN3c108BFloat16EDv4_fLi2ELb1ELb1ELb0EEEvPT_PKS4_PfPimiiiif.kd
    .uniform_work_group_size: 1
    .uses_dynamic_stack: false
    .vgpr_count:     19
    .vgpr_spill_count: 0
    .wavefront_size: 64
  - .agpr_count:     0
    .args:
      - .actual_access:  read_only
        .address_space:  global
        .offset:         0
        .size:           8
        .value_kind:     global_buffer
      - .actual_access:  read_only
        .address_space:  global
        .offset:         8
        .size:           8
        .value_kind:     global_buffer
      - .actual_access:  write_only
        .address_space:  global
        .offset:         16
        .size:           8
        .value_kind:     global_buffer
      - .actual_access:  write_only
        .address_space:  global
        .offset:         24
        .size:           8
        .value_kind:     global_buffer
      - .offset:         32
        .size:           8
        .value_kind:     by_value
      - .offset:         40
        .size:           4
        .value_kind:     by_value
      - .offset:         44
        .size:           4
        .value_kind:     by_value
      - .offset:         48
        .size:           4
        .value_kind:     by_value
      - .offset:         52
        .size:           4
        .value_kind:     by_value
      - .offset:         56
        .size:           4
        .value_kind:     by_value
      - .offset:         64
        .size:           4
        .value_kind:     hidden_block_count_x
      - .offset:         68
        .size:           4
        .value_kind:     hidden_block_count_y
      - .offset:         72
        .size:           4
        .value_kind:     hidden_block_count_z
      - .offset:         76
        .size:           2
        .value_kind:     hidden_group_size_x
      - .offset:         78
        .size:           2
        .value_kind:     hidden_group_size_y
      - .offset:         80
        .size:           2
        .value_kind:     hidden_group_size_z
      - .offset:         82
        .size:           2
        .value_kind:     hidden_remainder_x
      - .offset:         84
        .size:           2
        .value_kind:     hidden_remainder_y
      - .offset:         86
        .size:           2
        .value_kind:     hidden_remainder_z
      - .offset:         104
        .size:           8
        .value_kind:     hidden_global_offset_x
      - .offset:         112
        .size:           8
        .value_kind:     hidden_global_offset_y
      - .offset:         120
        .size:           8
        .value_kind:     hidden_global_offset_z
      - .offset:         128
        .size:           2
        .value_kind:     hidden_grid_dims
      - .offset:         184
        .size:           4
        .value_kind:     hidden_dynamic_lds_size
    .group_segment_fixed_size: 0
    .kernarg_segment_align: 8
    .kernarg_segment_size: 320
    .language:       OpenCL C
    .language_version:
      - 2
      - 0
    .max_flat_workgroup_size: 1024
    .name:           _ZN5aiter19grouped_topk_kernelIfDv4_fLi2ELb1ELb1ELb0EEEvPT_PKS2_PfPimiiiif
    .private_segment_fixed_size: 0
    .sgpr_count:     36
    .sgpr_spill_count: 0
    .symbol:         _ZN5aiter19grouped_topk_kernelIfDv4_fLi2ELb1ELb1ELb0EEEvPT_PKS2_PfPimiiiif.kd
    .uniform_work_group_size: 1
    .uses_dynamic_stack: false
    .vgpr_count:     37
    .vgpr_spill_count: 0
    .wavefront_size: 64
  - .agpr_count:     0
    .args:
      - .actual_access:  read_only
        .address_space:  global
        .offset:         0
        .size:           8
        .value_kind:     global_buffer
      - .actual_access:  read_only
        .address_space:  global
        .offset:         8
        .size:           8
        .value_kind:     global_buffer
      - .actual_access:  write_only
        .address_space:  global
        .offset:         16
        .size:           8
        .value_kind:     global_buffer
      - .actual_access:  write_only
        .address_space:  global
        .offset:         24
        .size:           8
        .value_kind:     global_buffer
      - .offset:         32
        .size:           8
        .value_kind:     by_value
      - .offset:         40
        .size:           4
        .value_kind:     by_value
      - .offset:         44
        .size:           4
        .value_kind:     by_value
      - .offset:         48
        .size:           4
        .value_kind:     by_value
      - .offset:         52
        .size:           4
        .value_kind:     by_value
      - .offset:         56
        .size:           4
        .value_kind:     by_value
      - .offset:         64
        .size:           4
        .value_kind:     hidden_block_count_x
      - .offset:         68
        .size:           4
        .value_kind:     hidden_block_count_y
      - .offset:         72
        .size:           4
        .value_kind:     hidden_block_count_z
      - .offset:         76
        .size:           2
        .value_kind:     hidden_group_size_x
      - .offset:         78
        .size:           2
        .value_kind:     hidden_group_size_y
      - .offset:         80
        .size:           2
        .value_kind:     hidden_group_size_z
      - .offset:         82
        .size:           2
        .value_kind:     hidden_remainder_x
      - .offset:         84
        .size:           2
        .value_kind:     hidden_remainder_y
      - .offset:         86
        .size:           2
        .value_kind:     hidden_remainder_z
      - .offset:         104
        .size:           8
        .value_kind:     hidden_global_offset_x
      - .offset:         112
        .size:           8
        .value_kind:     hidden_global_offset_y
      - .offset:         120
        .size:           8
        .value_kind:     hidden_global_offset_z
      - .offset:         128
        .size:           2
        .value_kind:     hidden_grid_dims
      - .offset:         184
        .size:           4
        .value_kind:     hidden_dynamic_lds_size
    .group_segment_fixed_size: 0
    .kernarg_segment_align: 8
    .kernarg_segment_size: 320
    .language:       OpenCL C
    .language_version:
      - 2
      - 0
    .max_flat_workgroup_size: 1024
    .name:           _ZN5aiter19grouped_topk_kernelIN3c104HalfEDv4_fLi2ELb1ELb1ELb0EEEvPT_PKS4_PfPimiiiif
    .private_segment_fixed_size: 0
    .sgpr_count:     39
    .sgpr_spill_count: 0
    .symbol:         _ZN5aiter19grouped_topk_kernelIN3c104HalfEDv4_fLi2ELb1ELb1ELb0EEEvPT_PKS4_PfPimiiiif.kd
    .uniform_work_group_size: 1
    .uses_dynamic_stack: false
    .vgpr_count:     38
    .vgpr_spill_count: 0
    .wavefront_size: 64
  - .agpr_count:     0
    .args:
      - .actual_access:  read_only
        .address_space:  global
        .offset:         0
        .size:           8
        .value_kind:     global_buffer
      - .actual_access:  read_only
        .address_space:  global
        .offset:         8
        .size:           8
        .value_kind:     global_buffer
      - .actual_access:  write_only
        .address_space:  global
        .offset:         16
        .size:           8
        .value_kind:     global_buffer
      - .actual_access:  write_only
        .address_space:  global
        .offset:         24
        .size:           8
        .value_kind:     global_buffer
      - .offset:         32
        .size:           8
        .value_kind:     by_value
      - .offset:         40
        .size:           4
        .value_kind:     by_value
      - .offset:         44
        .size:           4
        .value_kind:     by_value
      - .offset:         48
        .size:           4
        .value_kind:     by_value
      - .offset:         52
        .size:           4
        .value_kind:     by_value
      - .offset:         56
        .size:           4
        .value_kind:     by_value
      - .offset:         64
        .size:           4
        .value_kind:     hidden_block_count_x
      - .offset:         68
        .size:           4
        .value_kind:     hidden_block_count_y
      - .offset:         72
        .size:           4
        .value_kind:     hidden_block_count_z
      - .offset:         76
        .size:           2
        .value_kind:     hidden_group_size_x
      - .offset:         78
        .size:           2
        .value_kind:     hidden_group_size_y
      - .offset:         80
        .size:           2
        .value_kind:     hidden_group_size_z
      - .offset:         82
        .size:           2
        .value_kind:     hidden_remainder_x
      - .offset:         84
        .size:           2
        .value_kind:     hidden_remainder_y
      - .offset:         86
        .size:           2
        .value_kind:     hidden_remainder_z
      - .offset:         104
        .size:           8
        .value_kind:     hidden_global_offset_x
      - .offset:         112
        .size:           8
        .value_kind:     hidden_global_offset_y
      - .offset:         120
        .size:           8
        .value_kind:     hidden_global_offset_z
      - .offset:         128
        .size:           2
        .value_kind:     hidden_grid_dims
      - .offset:         184
        .size:           4
        .value_kind:     hidden_dynamic_lds_size
    .group_segment_fixed_size: 0
    .kernarg_segment_align: 8
    .kernarg_segment_size: 320
    .language:       OpenCL C
    .language_version:
      - 2
      - 0
    .max_flat_workgroup_size: 1024
    .name:           _ZN5aiter19grouped_topk_kernelIN3c108BFloat16EDv4_fLi2ELb1ELb1ELb0EEEvPT_PKS4_PfPimiiiif
    .private_segment_fixed_size: 0
    .sgpr_count:     38
    .sgpr_spill_count: 0
    .symbol:         _ZN5aiter19grouped_topk_kernelIN3c108BFloat16EDv4_fLi2ELb1ELb1ELb0EEEvPT_PKS4_PfPimiiiif.kd
    .uniform_work_group_size: 1
    .uses_dynamic_stack: false
    .vgpr_count:     38
    .vgpr_spill_count: 0
    .wavefront_size: 64
  - .agpr_count:     0
    .args:
      - .actual_access:  read_only
        .address_space:  global
        .offset:         0
        .size:           8
        .value_kind:     global_buffer
      - .actual_access:  read_only
        .address_space:  global
        .offset:         8
        .size:           8
        .value_kind:     global_buffer
      - .actual_access:  write_only
        .address_space:  global
        .offset:         16
        .size:           8
        .value_kind:     global_buffer
      - .actual_access:  write_only
        .address_space:  global
        .offset:         24
        .size:           8
        .value_kind:     global_buffer
      - .offset:         32
        .size:           8
        .value_kind:     by_value
      - .offset:         40
        .size:           4
        .value_kind:     by_value
      - .offset:         44
        .size:           4
        .value_kind:     by_value
      - .offset:         48
        .size:           4
        .value_kind:     by_value
      - .offset:         52
        .size:           4
        .value_kind:     by_value
      - .offset:         56
        .size:           4
        .value_kind:     by_value
      - .offset:         64
        .size:           4
        .value_kind:     hidden_block_count_x
      - .offset:         68
        .size:           4
        .value_kind:     hidden_block_count_y
      - .offset:         72
        .size:           4
        .value_kind:     hidden_block_count_z
      - .offset:         76
        .size:           2
        .value_kind:     hidden_group_size_x
      - .offset:         78
        .size:           2
        .value_kind:     hidden_group_size_y
      - .offset:         80
        .size:           2
        .value_kind:     hidden_group_size_z
      - .offset:         82
        .size:           2
        .value_kind:     hidden_remainder_x
      - .offset:         84
        .size:           2
        .value_kind:     hidden_remainder_y
      - .offset:         86
        .size:           2
        .value_kind:     hidden_remainder_z
      - .offset:         104
        .size:           8
        .value_kind:     hidden_global_offset_x
      - .offset:         112
        .size:           8
        .value_kind:     hidden_global_offset_y
      - .offset:         120
        .size:           8
        .value_kind:     hidden_global_offset_z
      - .offset:         128
        .size:           2
        .value_kind:     hidden_grid_dims
      - .offset:         184
        .size:           4
        .value_kind:     hidden_dynamic_lds_size
    .group_segment_fixed_size: 0
    .kernarg_segment_align: 8
    .kernarg_segment_size: 320
    .language:       OpenCL C
    .language_version:
      - 2
      - 0
    .max_flat_workgroup_size: 1024
    .name:           _ZN5aiter19grouped_topk_kernelIfDv4_fLi2ELb1ELb0ELb1EEEvPT_PKS2_PfPimiiiif
    .private_segment_fixed_size: 0
    .sgpr_count:     28
    .sgpr_spill_count: 0
    .symbol:         _ZN5aiter19grouped_topk_kernelIfDv4_fLi2ELb1ELb0ELb1EEEvPT_PKS2_PfPimiiiif.kd
    .uniform_work_group_size: 1
    .uses_dynamic_stack: false
    .vgpr_count:     19
    .vgpr_spill_count: 0
    .wavefront_size: 64
  - .agpr_count:     0
    .args:
      - .actual_access:  read_only
        .address_space:  global
        .offset:         0
        .size:           8
        .value_kind:     global_buffer
      - .actual_access:  read_only
        .address_space:  global
        .offset:         8
        .size:           8
        .value_kind:     global_buffer
      - .actual_access:  write_only
        .address_space:  global
        .offset:         16
        .size:           8
        .value_kind:     global_buffer
      - .actual_access:  write_only
        .address_space:  global
        .offset:         24
        .size:           8
        .value_kind:     global_buffer
      - .offset:         32
        .size:           8
        .value_kind:     by_value
      - .offset:         40
        .size:           4
        .value_kind:     by_value
      - .offset:         44
        .size:           4
        .value_kind:     by_value
      - .offset:         48
        .size:           4
        .value_kind:     by_value
      - .offset:         52
        .size:           4
        .value_kind:     by_value
      - .offset:         56
        .size:           4
        .value_kind:     by_value
      - .offset:         64
        .size:           4
        .value_kind:     hidden_block_count_x
      - .offset:         68
        .size:           4
        .value_kind:     hidden_block_count_y
      - .offset:         72
        .size:           4
        .value_kind:     hidden_block_count_z
      - .offset:         76
        .size:           2
        .value_kind:     hidden_group_size_x
      - .offset:         78
        .size:           2
        .value_kind:     hidden_group_size_y
      - .offset:         80
        .size:           2
        .value_kind:     hidden_group_size_z
      - .offset:         82
        .size:           2
        .value_kind:     hidden_remainder_x
      - .offset:         84
        .size:           2
        .value_kind:     hidden_remainder_y
      - .offset:         86
        .size:           2
        .value_kind:     hidden_remainder_z
      - .offset:         104
        .size:           8
        .value_kind:     hidden_global_offset_x
      - .offset:         112
        .size:           8
        .value_kind:     hidden_global_offset_y
      - .offset:         120
        .size:           8
        .value_kind:     hidden_global_offset_z
      - .offset:         128
        .size:           2
        .value_kind:     hidden_grid_dims
      - .offset:         184
        .size:           4
        .value_kind:     hidden_dynamic_lds_size
    .group_segment_fixed_size: 0
    .kernarg_segment_align: 8
    .kernarg_segment_size: 320
    .language:       OpenCL C
    .language_version:
      - 2
      - 0
    .max_flat_workgroup_size: 1024
    .name:           _ZN5aiter19grouped_topk_kernelIN3c104HalfEDv4_fLi2ELb1ELb0ELb1EEEvPT_PKS4_PfPimiiiif
    .private_segment_fixed_size: 0
    .sgpr_count:     28
    .sgpr_spill_count: 0
    .symbol:         _ZN5aiter19grouped_topk_kernelIN3c104HalfEDv4_fLi2ELb1ELb0ELb1EEEvPT_PKS4_PfPimiiiif.kd
    .uniform_work_group_size: 1
    .uses_dynamic_stack: false
    .vgpr_count:     19
    .vgpr_spill_count: 0
    .wavefront_size: 64
  - .agpr_count:     0
    .args:
      - .actual_access:  read_only
        .address_space:  global
        .offset:         0
        .size:           8
        .value_kind:     global_buffer
      - .actual_access:  read_only
        .address_space:  global
        .offset:         8
        .size:           8
        .value_kind:     global_buffer
      - .actual_access:  write_only
        .address_space:  global
        .offset:         16
        .size:           8
        .value_kind:     global_buffer
      - .actual_access:  write_only
        .address_space:  global
        .offset:         24
        .size:           8
        .value_kind:     global_buffer
      - .offset:         32
        .size:           8
        .value_kind:     by_value
      - .offset:         40
        .size:           4
        .value_kind:     by_value
      - .offset:         44
        .size:           4
        .value_kind:     by_value
      - .offset:         48
        .size:           4
        .value_kind:     by_value
      - .offset:         52
        .size:           4
        .value_kind:     by_value
      - .offset:         56
        .size:           4
        .value_kind:     by_value
      - .offset:         64
        .size:           4
        .value_kind:     hidden_block_count_x
      - .offset:         68
        .size:           4
        .value_kind:     hidden_block_count_y
      - .offset:         72
        .size:           4
        .value_kind:     hidden_block_count_z
      - .offset:         76
        .size:           2
        .value_kind:     hidden_group_size_x
      - .offset:         78
        .size:           2
        .value_kind:     hidden_group_size_y
      - .offset:         80
        .size:           2
        .value_kind:     hidden_group_size_z
      - .offset:         82
        .size:           2
        .value_kind:     hidden_remainder_x
      - .offset:         84
        .size:           2
        .value_kind:     hidden_remainder_y
      - .offset:         86
        .size:           2
        .value_kind:     hidden_remainder_z
      - .offset:         104
        .size:           8
        .value_kind:     hidden_global_offset_x
      - .offset:         112
        .size:           8
        .value_kind:     hidden_global_offset_y
      - .offset:         120
        .size:           8
        .value_kind:     hidden_global_offset_z
      - .offset:         128
        .size:           2
        .value_kind:     hidden_grid_dims
      - .offset:         184
        .size:           4
        .value_kind:     hidden_dynamic_lds_size
    .group_segment_fixed_size: 0
    .kernarg_segment_align: 8
    .kernarg_segment_size: 320
    .language:       OpenCL C
    .language_version:
      - 2
      - 0
    .max_flat_workgroup_size: 1024
    .name:           _ZN5aiter19grouped_topk_kernelIN3c108BFloat16EDv4_fLi2ELb1ELb0ELb1EEEvPT_PKS4_PfPimiiiif
    .private_segment_fixed_size: 0
    .sgpr_count:     28
    .sgpr_spill_count: 0
    .symbol:         _ZN5aiter19grouped_topk_kernelIN3c108BFloat16EDv4_fLi2ELb1ELb0ELb1EEEvPT_PKS4_PfPimiiiif.kd
    .uniform_work_group_size: 1
    .uses_dynamic_stack: false
    .vgpr_count:     19
    .vgpr_spill_count: 0
    .wavefront_size: 64
  - .agpr_count:     0
    .args:
      - .actual_access:  read_only
        .address_space:  global
        .offset:         0
        .size:           8
        .value_kind:     global_buffer
      - .actual_access:  read_only
        .address_space:  global
        .offset:         8
        .size:           8
        .value_kind:     global_buffer
      - .actual_access:  write_only
        .address_space:  global
        .offset:         16
        .size:           8
        .value_kind:     global_buffer
      - .actual_access:  write_only
        .address_space:  global
        .offset:         24
        .size:           8
        .value_kind:     global_buffer
      - .offset:         32
        .size:           8
        .value_kind:     by_value
      - .offset:         40
        .size:           4
        .value_kind:     by_value
      - .offset:         44
        .size:           4
        .value_kind:     by_value
      - .offset:         48
        .size:           4
        .value_kind:     by_value
      - .offset:         52
        .size:           4
        .value_kind:     by_value
      - .offset:         56
        .size:           4
        .value_kind:     by_value
      - .offset:         64
        .size:           4
        .value_kind:     hidden_block_count_x
      - .offset:         68
        .size:           4
        .value_kind:     hidden_block_count_y
      - .offset:         72
        .size:           4
        .value_kind:     hidden_block_count_z
      - .offset:         76
        .size:           2
        .value_kind:     hidden_group_size_x
      - .offset:         78
        .size:           2
        .value_kind:     hidden_group_size_y
      - .offset:         80
        .size:           2
        .value_kind:     hidden_group_size_z
      - .offset:         82
        .size:           2
        .value_kind:     hidden_remainder_x
      - .offset:         84
        .size:           2
        .value_kind:     hidden_remainder_y
      - .offset:         86
        .size:           2
        .value_kind:     hidden_remainder_z
      - .offset:         104
        .size:           8
        .value_kind:     hidden_global_offset_x
      - .offset:         112
        .size:           8
        .value_kind:     hidden_global_offset_y
      - .offset:         120
        .size:           8
        .value_kind:     hidden_global_offset_z
      - .offset:         128
        .size:           2
        .value_kind:     hidden_grid_dims
      - .offset:         184
        .size:           4
        .value_kind:     hidden_dynamic_lds_size
    .group_segment_fixed_size: 0
    .kernarg_segment_align: 8
    .kernarg_segment_size: 320
    .language:       OpenCL C
    .language_version:
      - 2
      - 0
    .max_flat_workgroup_size: 1024
    .name:           _ZN5aiter19grouped_topk_kernelIfDv4_fLi2ELb1ELb0ELb0EEEvPT_PKS2_PfPimiiiif
    .private_segment_fixed_size: 0
    .sgpr_count:     32
    .sgpr_spill_count: 0
    .symbol:         _ZN5aiter19grouped_topk_kernelIfDv4_fLi2ELb1ELb0ELb0EEEvPT_PKS2_PfPimiiiif.kd
    .uniform_work_group_size: 1
    .uses_dynamic_stack: false
    .vgpr_count:     31
    .vgpr_spill_count: 0
    .wavefront_size: 64
  - .agpr_count:     0
    .args:
      - .actual_access:  read_only
        .address_space:  global
        .offset:         0
        .size:           8
        .value_kind:     global_buffer
      - .actual_access:  read_only
        .address_space:  global
        .offset:         8
        .size:           8
        .value_kind:     global_buffer
      - .actual_access:  write_only
        .address_space:  global
        .offset:         16
        .size:           8
        .value_kind:     global_buffer
      - .actual_access:  write_only
        .address_space:  global
        .offset:         24
        .size:           8
        .value_kind:     global_buffer
      - .offset:         32
        .size:           8
        .value_kind:     by_value
      - .offset:         40
        .size:           4
        .value_kind:     by_value
      - .offset:         44
        .size:           4
        .value_kind:     by_value
      - .offset:         48
        .size:           4
        .value_kind:     by_value
      - .offset:         52
        .size:           4
        .value_kind:     by_value
      - .offset:         56
        .size:           4
        .value_kind:     by_value
      - .offset:         64
        .size:           4
        .value_kind:     hidden_block_count_x
      - .offset:         68
        .size:           4
        .value_kind:     hidden_block_count_y
      - .offset:         72
        .size:           4
        .value_kind:     hidden_block_count_z
      - .offset:         76
        .size:           2
        .value_kind:     hidden_group_size_x
      - .offset:         78
        .size:           2
        .value_kind:     hidden_group_size_y
      - .offset:         80
        .size:           2
        .value_kind:     hidden_group_size_z
      - .offset:         82
        .size:           2
        .value_kind:     hidden_remainder_x
      - .offset:         84
        .size:           2
        .value_kind:     hidden_remainder_y
      - .offset:         86
        .size:           2
        .value_kind:     hidden_remainder_z
      - .offset:         104
        .size:           8
        .value_kind:     hidden_global_offset_x
      - .offset:         112
        .size:           8
        .value_kind:     hidden_global_offset_y
      - .offset:         120
        .size:           8
        .value_kind:     hidden_global_offset_z
      - .offset:         128
        .size:           2
        .value_kind:     hidden_grid_dims
      - .offset:         184
        .size:           4
        .value_kind:     hidden_dynamic_lds_size
    .group_segment_fixed_size: 0
    .kernarg_segment_align: 8
    .kernarg_segment_size: 320
    .language:       OpenCL C
    .language_version:
      - 2
      - 0
    .max_flat_workgroup_size: 1024
    .name:           _ZN5aiter19grouped_topk_kernelIN3c104HalfEDv4_fLi2ELb1ELb0ELb0EEEvPT_PKS4_PfPimiiiif
    .private_segment_fixed_size: 0
    .sgpr_count:     34
    .sgpr_spill_count: 0
    .symbol:         _ZN5aiter19grouped_topk_kernelIN3c104HalfEDv4_fLi2ELb1ELb0ELb0EEEvPT_PKS4_PfPimiiiif.kd
    .uniform_work_group_size: 1
    .uses_dynamic_stack: false
    .vgpr_count:     32
    .vgpr_spill_count: 0
    .wavefront_size: 64
  - .agpr_count:     0
    .args:
      - .actual_access:  read_only
        .address_space:  global
        .offset:         0
        .size:           8
        .value_kind:     global_buffer
      - .actual_access:  read_only
        .address_space:  global
        .offset:         8
        .size:           8
        .value_kind:     global_buffer
      - .actual_access:  write_only
        .address_space:  global
        .offset:         16
        .size:           8
        .value_kind:     global_buffer
      - .actual_access:  write_only
        .address_space:  global
        .offset:         24
        .size:           8
        .value_kind:     global_buffer
      - .offset:         32
        .size:           8
        .value_kind:     by_value
      - .offset:         40
        .size:           4
        .value_kind:     by_value
      - .offset:         44
        .size:           4
        .value_kind:     by_value
      - .offset:         48
        .size:           4
        .value_kind:     by_value
      - .offset:         52
        .size:           4
        .value_kind:     by_value
      - .offset:         56
        .size:           4
        .value_kind:     by_value
      - .offset:         64
        .size:           4
        .value_kind:     hidden_block_count_x
      - .offset:         68
        .size:           4
        .value_kind:     hidden_block_count_y
      - .offset:         72
        .size:           4
        .value_kind:     hidden_block_count_z
      - .offset:         76
        .size:           2
        .value_kind:     hidden_group_size_x
      - .offset:         78
        .size:           2
        .value_kind:     hidden_group_size_y
      - .offset:         80
        .size:           2
        .value_kind:     hidden_group_size_z
      - .offset:         82
        .size:           2
        .value_kind:     hidden_remainder_x
      - .offset:         84
        .size:           2
        .value_kind:     hidden_remainder_y
      - .offset:         86
        .size:           2
        .value_kind:     hidden_remainder_z
      - .offset:         104
        .size:           8
        .value_kind:     hidden_global_offset_x
      - .offset:         112
        .size:           8
        .value_kind:     hidden_global_offset_y
      - .offset:         120
        .size:           8
        .value_kind:     hidden_global_offset_z
      - .offset:         128
        .size:           2
        .value_kind:     hidden_grid_dims
      - .offset:         184
        .size:           4
        .value_kind:     hidden_dynamic_lds_size
    .group_segment_fixed_size: 0
    .kernarg_segment_align: 8
    .kernarg_segment_size: 320
    .language:       OpenCL C
    .language_version:
      - 2
      - 0
    .max_flat_workgroup_size: 1024
    .name:           _ZN5aiter19grouped_topk_kernelIN3c108BFloat16EDv4_fLi2ELb1ELb0ELb0EEEvPT_PKS4_PfPimiiiif
    .private_segment_fixed_size: 0
    .sgpr_count:     33
    .sgpr_spill_count: 0
    .symbol:         _ZN5aiter19grouped_topk_kernelIN3c108BFloat16EDv4_fLi2ELb1ELb0ELb0EEEvPT_PKS4_PfPimiiiif.kd
    .uniform_work_group_size: 1
    .uses_dynamic_stack: false
    .vgpr_count:     32
    .vgpr_spill_count: 0
    .wavefront_size: 64
  - .agpr_count:     0
    .args:
      - .actual_access:  read_only
        .address_space:  global
        .offset:         0
        .size:           8
        .value_kind:     global_buffer
      - .actual_access:  read_only
        .address_space:  global
        .offset:         8
        .size:           8
        .value_kind:     global_buffer
      - .actual_access:  read_only
        .address_space:  global
        .offset:         16
        .size:           8
        .value_kind:     global_buffer
      - .actual_access:  read_only
        .address_space:  global
        .offset:         24
        .size:           8
        .value_kind:     global_buffer
      - .offset:         32
        .size:           8
        .value_kind:     by_value
      - .offset:         40
        .size:           4
        .value_kind:     by_value
      - .offset:         44
        .size:           4
        .value_kind:     by_value
      - .offset:         48
        .size:           4
        .value_kind:     by_value
      - .offset:         52
        .size:           4
        .value_kind:     by_value
      - .offset:         56
        .size:           4
        .value_kind:     by_value
    .group_segment_fixed_size: 0
    .kernarg_segment_align: 8
    .kernarg_segment_size: 60
    .language:       OpenCL C
    .language_version:
      - 2
      - 0
    .max_flat_workgroup_size: 1024
    .name:           _ZN5aiter28grouped_topk_opt_sort_kernelIfDv4_fLi2ELb0ELb1ELb0EEEvPT_PKS2_PfPimiiiif
    .private_segment_fixed_size: 0
    .sgpr_count:     13
    .sgpr_spill_count: 0
    .symbol:         _ZN5aiter28grouped_topk_opt_sort_kernelIfDv4_fLi2ELb0ELb1ELb0EEEvPT_PKS2_PfPimiiiif.kd
    .uniform_work_group_size: 1
    .uses_dynamic_stack: false
    .vgpr_count:     20
    .vgpr_spill_count: 0
    .wavefront_size: 64
  - .agpr_count:     0
    .args:
      - .actual_access:  read_only
        .address_space:  global
        .offset:         0
        .size:           8
        .value_kind:     global_buffer
      - .actual_access:  read_only
        .address_space:  global
        .offset:         8
        .size:           8
        .value_kind:     global_buffer
      - .actual_access:  read_only
        .address_space:  global
        .offset:         16
        .size:           8
        .value_kind:     global_buffer
      - .actual_access:  read_only
        .address_space:  global
        .offset:         24
        .size:           8
        .value_kind:     global_buffer
      - .offset:         32
        .size:           8
        .value_kind:     by_value
      - .offset:         40
        .size:           4
        .value_kind:     by_value
      - .offset:         44
        .size:           4
        .value_kind:     by_value
      - .offset:         48
        .size:           4
        .value_kind:     by_value
      - .offset:         52
        .size:           4
        .value_kind:     by_value
      - .offset:         56
        .size:           4
        .value_kind:     by_value
    .group_segment_fixed_size: 0
    .kernarg_segment_align: 8
    .kernarg_segment_size: 60
    .language:       OpenCL C
    .language_version:
      - 2
      - 0
    .max_flat_workgroup_size: 1024
    .name:           _ZN5aiter28grouped_topk_opt_sort_kernelIN3c104HalfEDv4_fLi2ELb0ELb1ELb0EEEvPT_PKS4_PfPimiiiif
    .private_segment_fixed_size: 0
    .sgpr_count:     13
    .sgpr_spill_count: 0
    .symbol:         _ZN5aiter28grouped_topk_opt_sort_kernelIN3c104HalfEDv4_fLi2ELb0ELb1ELb0EEEvPT_PKS4_PfPimiiiif.kd
    .uniform_work_group_size: 1
    .uses_dynamic_stack: false
    .vgpr_count:     19
    .vgpr_spill_count: 0
    .wavefront_size: 64
  - .agpr_count:     0
    .args:
      - .actual_access:  read_only
        .address_space:  global
        .offset:         0
        .size:           8
        .value_kind:     global_buffer
      - .actual_access:  read_only
        .address_space:  global
        .offset:         8
        .size:           8
        .value_kind:     global_buffer
      - .actual_access:  read_only
        .address_space:  global
        .offset:         16
        .size:           8
        .value_kind:     global_buffer
      - .actual_access:  read_only
        .address_space:  global
        .offset:         24
        .size:           8
        .value_kind:     global_buffer
      - .offset:         32
        .size:           8
        .value_kind:     by_value
      - .offset:         40
        .size:           4
        .value_kind:     by_value
      - .offset:         44
        .size:           4
        .value_kind:     by_value
      - .offset:         48
        .size:           4
        .value_kind:     by_value
      - .offset:         52
        .size:           4
        .value_kind:     by_value
      - .offset:         56
        .size:           4
        .value_kind:     by_value
    .group_segment_fixed_size: 0
    .kernarg_segment_align: 8
    .kernarg_segment_size: 60
    .language:       OpenCL C
    .language_version:
      - 2
      - 0
    .max_flat_workgroup_size: 1024
    .name:           _ZN5aiter28grouped_topk_opt_sort_kernelIN3c108BFloat16EDv4_fLi2ELb0ELb1ELb0EEEvPT_PKS4_PfPimiiiif
    .private_segment_fixed_size: 0
    .sgpr_count:     13
    .sgpr_spill_count: 0
    .symbol:         _ZN5aiter28grouped_topk_opt_sort_kernelIN3c108BFloat16EDv4_fLi2ELb0ELb1ELb0EEEvPT_PKS4_PfPimiiiif.kd
    .uniform_work_group_size: 1
    .uses_dynamic_stack: false
    .vgpr_count:     19
    .vgpr_spill_count: 0
    .wavefront_size: 64
  - .agpr_count:     0
    .args:
      - .actual_access:  read_only
        .address_space:  global
        .offset:         0
        .size:           8
        .value_kind:     global_buffer
      - .actual_access:  read_only
        .address_space:  global
        .offset:         8
        .size:           8
        .value_kind:     global_buffer
      - .actual_access:  write_only
        .address_space:  global
        .offset:         16
        .size:           8
        .value_kind:     global_buffer
      - .actual_access:  write_only
        .address_space:  global
        .offset:         24
        .size:           8
        .value_kind:     global_buffer
      - .offset:         32
        .size:           8
        .value_kind:     by_value
      - .offset:         40
        .size:           4
        .value_kind:     by_value
      - .offset:         44
        .size:           4
        .value_kind:     by_value
      - .offset:         48
        .size:           4
        .value_kind:     by_value
      - .offset:         52
        .size:           4
        .value_kind:     by_value
      - .offset:         56
        .size:           4
        .value_kind:     by_value
      - .offset:         64
        .size:           4
        .value_kind:     hidden_block_count_x
      - .offset:         68
        .size:           4
        .value_kind:     hidden_block_count_y
      - .offset:         72
        .size:           4
        .value_kind:     hidden_block_count_z
      - .offset:         76
        .size:           2
        .value_kind:     hidden_group_size_x
      - .offset:         78
        .size:           2
        .value_kind:     hidden_group_size_y
      - .offset:         80
        .size:           2
        .value_kind:     hidden_group_size_z
      - .offset:         82
        .size:           2
        .value_kind:     hidden_remainder_x
      - .offset:         84
        .size:           2
        .value_kind:     hidden_remainder_y
      - .offset:         86
        .size:           2
        .value_kind:     hidden_remainder_z
      - .offset:         104
        .size:           8
        .value_kind:     hidden_global_offset_x
      - .offset:         112
        .size:           8
        .value_kind:     hidden_global_offset_y
      - .offset:         120
        .size:           8
        .value_kind:     hidden_global_offset_z
      - .offset:         128
        .size:           2
        .value_kind:     hidden_grid_dims
      - .offset:         184
        .size:           4
        .value_kind:     hidden_dynamic_lds_size
    .group_segment_fixed_size: 0
    .kernarg_segment_align: 8
    .kernarg_segment_size: 320
    .language:       OpenCL C
    .language_version:
      - 2
      - 0
    .max_flat_workgroup_size: 1024
    .name:           _ZN5aiter19grouped_topk_kernelIfDv4_fLi2ELb0ELb1ELb0EEEvPT_PKS2_PfPimiiiif
    .private_segment_fixed_size: 0
    .sgpr_count:     36
    .sgpr_spill_count: 0
    .symbol:         _ZN5aiter19grouped_topk_kernelIfDv4_fLi2ELb0ELb1ELb0EEEvPT_PKS2_PfPimiiiif.kd
    .uniform_work_group_size: 1
    .uses_dynamic_stack: false
    .vgpr_count:     37
    .vgpr_spill_count: 0
    .wavefront_size: 64
  - .agpr_count:     0
    .args:
      - .actual_access:  read_only
        .address_space:  global
        .offset:         0
        .size:           8
        .value_kind:     global_buffer
      - .actual_access:  read_only
        .address_space:  global
        .offset:         8
        .size:           8
        .value_kind:     global_buffer
      - .actual_access:  write_only
        .address_space:  global
        .offset:         16
        .size:           8
        .value_kind:     global_buffer
      - .actual_access:  write_only
        .address_space:  global
        .offset:         24
        .size:           8
        .value_kind:     global_buffer
      - .offset:         32
        .size:           8
        .value_kind:     by_value
      - .offset:         40
        .size:           4
        .value_kind:     by_value
      - .offset:         44
        .size:           4
        .value_kind:     by_value
      - .offset:         48
        .size:           4
        .value_kind:     by_value
      - .offset:         52
        .size:           4
        .value_kind:     by_value
      - .offset:         56
        .size:           4
        .value_kind:     by_value
      - .offset:         64
        .size:           4
        .value_kind:     hidden_block_count_x
      - .offset:         68
        .size:           4
        .value_kind:     hidden_block_count_y
      - .offset:         72
        .size:           4
        .value_kind:     hidden_block_count_z
      - .offset:         76
        .size:           2
        .value_kind:     hidden_group_size_x
      - .offset:         78
        .size:           2
        .value_kind:     hidden_group_size_y
      - .offset:         80
        .size:           2
        .value_kind:     hidden_group_size_z
      - .offset:         82
        .size:           2
        .value_kind:     hidden_remainder_x
      - .offset:         84
        .size:           2
        .value_kind:     hidden_remainder_y
      - .offset:         86
        .size:           2
        .value_kind:     hidden_remainder_z
      - .offset:         104
        .size:           8
        .value_kind:     hidden_global_offset_x
      - .offset:         112
        .size:           8
        .value_kind:     hidden_global_offset_y
      - .offset:         120
        .size:           8
        .value_kind:     hidden_global_offset_z
      - .offset:         128
        .size:           2
        .value_kind:     hidden_grid_dims
      - .offset:         184
        .size:           4
        .value_kind:     hidden_dynamic_lds_size
    .group_segment_fixed_size: 0
    .kernarg_segment_align: 8
    .kernarg_segment_size: 320
    .language:       OpenCL C
    .language_version:
      - 2
      - 0
    .max_flat_workgroup_size: 1024
    .name:           _ZN5aiter19grouped_topk_kernelIN3c104HalfEDv4_fLi2ELb0ELb1ELb0EEEvPT_PKS4_PfPimiiiif
    .private_segment_fixed_size: 0
    .sgpr_count:     39
    .sgpr_spill_count: 0
    .symbol:         _ZN5aiter19grouped_topk_kernelIN3c104HalfEDv4_fLi2ELb0ELb1ELb0EEEvPT_PKS4_PfPimiiiif.kd
    .uniform_work_group_size: 1
    .uses_dynamic_stack: false
    .vgpr_count:     38
    .vgpr_spill_count: 0
    .wavefront_size: 64
  - .agpr_count:     0
    .args:
      - .actual_access:  read_only
        .address_space:  global
        .offset:         0
        .size:           8
        .value_kind:     global_buffer
      - .actual_access:  read_only
        .address_space:  global
        .offset:         8
        .size:           8
        .value_kind:     global_buffer
      - .actual_access:  write_only
        .address_space:  global
        .offset:         16
        .size:           8
        .value_kind:     global_buffer
      - .actual_access:  write_only
        .address_space:  global
        .offset:         24
        .size:           8
        .value_kind:     global_buffer
      - .offset:         32
        .size:           8
        .value_kind:     by_value
      - .offset:         40
        .size:           4
        .value_kind:     by_value
      - .offset:         44
        .size:           4
        .value_kind:     by_value
      - .offset:         48
        .size:           4
        .value_kind:     by_value
      - .offset:         52
        .size:           4
        .value_kind:     by_value
      - .offset:         56
        .size:           4
        .value_kind:     by_value
      - .offset:         64
        .size:           4
        .value_kind:     hidden_block_count_x
      - .offset:         68
        .size:           4
        .value_kind:     hidden_block_count_y
      - .offset:         72
        .size:           4
        .value_kind:     hidden_block_count_z
      - .offset:         76
        .size:           2
        .value_kind:     hidden_group_size_x
      - .offset:         78
        .size:           2
        .value_kind:     hidden_group_size_y
      - .offset:         80
        .size:           2
        .value_kind:     hidden_group_size_z
      - .offset:         82
        .size:           2
        .value_kind:     hidden_remainder_x
      - .offset:         84
        .size:           2
        .value_kind:     hidden_remainder_y
      - .offset:         86
        .size:           2
        .value_kind:     hidden_remainder_z
      - .offset:         104
        .size:           8
        .value_kind:     hidden_global_offset_x
      - .offset:         112
        .size:           8
        .value_kind:     hidden_global_offset_y
      - .offset:         120
        .size:           8
        .value_kind:     hidden_global_offset_z
      - .offset:         128
        .size:           2
        .value_kind:     hidden_grid_dims
      - .offset:         184
        .size:           4
        .value_kind:     hidden_dynamic_lds_size
    .group_segment_fixed_size: 0
    .kernarg_segment_align: 8
    .kernarg_segment_size: 320
    .language:       OpenCL C
    .language_version:
      - 2
      - 0
    .max_flat_workgroup_size: 1024
    .name:           _ZN5aiter19grouped_topk_kernelIN3c108BFloat16EDv4_fLi2ELb0ELb1ELb0EEEvPT_PKS4_PfPimiiiif
    .private_segment_fixed_size: 0
    .sgpr_count:     38
    .sgpr_spill_count: 0
    .symbol:         _ZN5aiter19grouped_topk_kernelIN3c108BFloat16EDv4_fLi2ELb0ELb1ELb0EEEvPT_PKS4_PfPimiiiif.kd
    .uniform_work_group_size: 1
    .uses_dynamic_stack: false
    .vgpr_count:     38
    .vgpr_spill_count: 0
    .wavefront_size: 64
  - .agpr_count:     0
    .args:
      - .actual_access:  read_only
        .address_space:  global
        .offset:         0
        .size:           8
        .value_kind:     global_buffer
      - .actual_access:  read_only
        .address_space:  global
        .offset:         8
        .size:           8
        .value_kind:     global_buffer
      - .actual_access:  write_only
        .address_space:  global
        .offset:         16
        .size:           8
        .value_kind:     global_buffer
      - .actual_access:  write_only
        .address_space:  global
        .offset:         24
        .size:           8
        .value_kind:     global_buffer
      - .offset:         32
        .size:           8
        .value_kind:     by_value
      - .offset:         40
        .size:           4
        .value_kind:     by_value
      - .offset:         44
        .size:           4
        .value_kind:     by_value
      - .offset:         48
        .size:           4
        .value_kind:     by_value
      - .offset:         52
        .size:           4
        .value_kind:     by_value
      - .offset:         56
        .size:           4
        .value_kind:     by_value
      - .offset:         64
        .size:           4
        .value_kind:     hidden_block_count_x
      - .offset:         68
        .size:           4
        .value_kind:     hidden_block_count_y
      - .offset:         72
        .size:           4
        .value_kind:     hidden_block_count_z
      - .offset:         76
        .size:           2
        .value_kind:     hidden_group_size_x
      - .offset:         78
        .size:           2
        .value_kind:     hidden_group_size_y
      - .offset:         80
        .size:           2
        .value_kind:     hidden_group_size_z
      - .offset:         82
        .size:           2
        .value_kind:     hidden_remainder_x
      - .offset:         84
        .size:           2
        .value_kind:     hidden_remainder_y
      - .offset:         86
        .size:           2
        .value_kind:     hidden_remainder_z
      - .offset:         104
        .size:           8
        .value_kind:     hidden_global_offset_x
      - .offset:         112
        .size:           8
        .value_kind:     hidden_global_offset_y
      - .offset:         120
        .size:           8
        .value_kind:     hidden_global_offset_z
      - .offset:         128
        .size:           2
        .value_kind:     hidden_grid_dims
      - .offset:         184
        .size:           4
        .value_kind:     hidden_dynamic_lds_size
    .group_segment_fixed_size: 0
    .kernarg_segment_align: 8
    .kernarg_segment_size: 320
    .language:       OpenCL C
    .language_version:
      - 2
      - 0
    .max_flat_workgroup_size: 1024
    .name:           _ZN5aiter19grouped_topk_kernelIfDv4_fLi2ELb0ELb0ELb1EEEvPT_PKS2_PfPimiiiif
    .private_segment_fixed_size: 0
    .sgpr_count:     28
    .sgpr_spill_count: 0
    .symbol:         _ZN5aiter19grouped_topk_kernelIfDv4_fLi2ELb0ELb0ELb1EEEvPT_PKS2_PfPimiiiif.kd
    .uniform_work_group_size: 1
    .uses_dynamic_stack: false
    .vgpr_count:     18
    .vgpr_spill_count: 0
    .wavefront_size: 64
  - .agpr_count:     0
    .args:
      - .actual_access:  read_only
        .address_space:  global
        .offset:         0
        .size:           8
        .value_kind:     global_buffer
      - .actual_access:  read_only
        .address_space:  global
        .offset:         8
        .size:           8
        .value_kind:     global_buffer
      - .actual_access:  write_only
        .address_space:  global
        .offset:         16
        .size:           8
        .value_kind:     global_buffer
      - .actual_access:  write_only
        .address_space:  global
        .offset:         24
        .size:           8
        .value_kind:     global_buffer
      - .offset:         32
        .size:           8
        .value_kind:     by_value
      - .offset:         40
        .size:           4
        .value_kind:     by_value
      - .offset:         44
        .size:           4
        .value_kind:     by_value
      - .offset:         48
        .size:           4
        .value_kind:     by_value
      - .offset:         52
        .size:           4
        .value_kind:     by_value
      - .offset:         56
        .size:           4
        .value_kind:     by_value
      - .offset:         64
        .size:           4
        .value_kind:     hidden_block_count_x
      - .offset:         68
        .size:           4
        .value_kind:     hidden_block_count_y
      - .offset:         72
        .size:           4
        .value_kind:     hidden_block_count_z
      - .offset:         76
        .size:           2
        .value_kind:     hidden_group_size_x
      - .offset:         78
        .size:           2
        .value_kind:     hidden_group_size_y
      - .offset:         80
        .size:           2
        .value_kind:     hidden_group_size_z
      - .offset:         82
        .size:           2
        .value_kind:     hidden_remainder_x
      - .offset:         84
        .size:           2
        .value_kind:     hidden_remainder_y
      - .offset:         86
        .size:           2
        .value_kind:     hidden_remainder_z
      - .offset:         104
        .size:           8
        .value_kind:     hidden_global_offset_x
      - .offset:         112
        .size:           8
        .value_kind:     hidden_global_offset_y
      - .offset:         120
        .size:           8
        .value_kind:     hidden_global_offset_z
      - .offset:         128
        .size:           2
        .value_kind:     hidden_grid_dims
      - .offset:         184
        .size:           4
        .value_kind:     hidden_dynamic_lds_size
    .group_segment_fixed_size: 0
    .kernarg_segment_align: 8
    .kernarg_segment_size: 320
    .language:       OpenCL C
    .language_version:
      - 2
      - 0
    .max_flat_workgroup_size: 1024
    .name:           _ZN5aiter19grouped_topk_kernelIN3c104HalfEDv4_fLi2ELb0ELb0ELb1EEEvPT_PKS4_PfPimiiiif
    .private_segment_fixed_size: 0
    .sgpr_count:     28
    .sgpr_spill_count: 0
    .symbol:         _ZN5aiter19grouped_topk_kernelIN3c104HalfEDv4_fLi2ELb0ELb0ELb1EEEvPT_PKS4_PfPimiiiif.kd
    .uniform_work_group_size: 1
    .uses_dynamic_stack: false
    .vgpr_count:     18
    .vgpr_spill_count: 0
    .wavefront_size: 64
  - .agpr_count:     0
    .args:
      - .actual_access:  read_only
        .address_space:  global
        .offset:         0
        .size:           8
        .value_kind:     global_buffer
      - .actual_access:  read_only
        .address_space:  global
        .offset:         8
        .size:           8
        .value_kind:     global_buffer
      - .actual_access:  write_only
        .address_space:  global
        .offset:         16
        .size:           8
        .value_kind:     global_buffer
      - .actual_access:  write_only
        .address_space:  global
        .offset:         24
        .size:           8
        .value_kind:     global_buffer
      - .offset:         32
        .size:           8
        .value_kind:     by_value
      - .offset:         40
        .size:           4
        .value_kind:     by_value
      - .offset:         44
        .size:           4
        .value_kind:     by_value
      - .offset:         48
        .size:           4
        .value_kind:     by_value
      - .offset:         52
        .size:           4
        .value_kind:     by_value
      - .offset:         56
        .size:           4
        .value_kind:     by_value
      - .offset:         64
        .size:           4
        .value_kind:     hidden_block_count_x
      - .offset:         68
        .size:           4
        .value_kind:     hidden_block_count_y
      - .offset:         72
        .size:           4
        .value_kind:     hidden_block_count_z
      - .offset:         76
        .size:           2
        .value_kind:     hidden_group_size_x
      - .offset:         78
        .size:           2
        .value_kind:     hidden_group_size_y
      - .offset:         80
        .size:           2
        .value_kind:     hidden_group_size_z
      - .offset:         82
        .size:           2
        .value_kind:     hidden_remainder_x
      - .offset:         84
        .size:           2
        .value_kind:     hidden_remainder_y
      - .offset:         86
        .size:           2
        .value_kind:     hidden_remainder_z
      - .offset:         104
        .size:           8
        .value_kind:     hidden_global_offset_x
      - .offset:         112
        .size:           8
        .value_kind:     hidden_global_offset_y
      - .offset:         120
        .size:           8
        .value_kind:     hidden_global_offset_z
      - .offset:         128
        .size:           2
        .value_kind:     hidden_grid_dims
      - .offset:         184
        .size:           4
        .value_kind:     hidden_dynamic_lds_size
    .group_segment_fixed_size: 0
    .kernarg_segment_align: 8
    .kernarg_segment_size: 320
    .language:       OpenCL C
    .language_version:
      - 2
      - 0
    .max_flat_workgroup_size: 1024
    .name:           _ZN5aiter19grouped_topk_kernelIN3c108BFloat16EDv4_fLi2ELb0ELb0ELb1EEEvPT_PKS4_PfPimiiiif
    .private_segment_fixed_size: 0
    .sgpr_count:     28
    .sgpr_spill_count: 0
    .symbol:         _ZN5aiter19grouped_topk_kernelIN3c108BFloat16EDv4_fLi2ELb0ELb0ELb1EEEvPT_PKS4_PfPimiiiif.kd
    .uniform_work_group_size: 1
    .uses_dynamic_stack: false
    .vgpr_count:     18
    .vgpr_spill_count: 0
    .wavefront_size: 64
  - .agpr_count:     0
    .args:
      - .actual_access:  read_only
        .address_space:  global
        .offset:         0
        .size:           8
        .value_kind:     global_buffer
      - .actual_access:  read_only
        .address_space:  global
        .offset:         8
        .size:           8
        .value_kind:     global_buffer
      - .actual_access:  write_only
        .address_space:  global
        .offset:         16
        .size:           8
        .value_kind:     global_buffer
      - .actual_access:  write_only
        .address_space:  global
        .offset:         24
        .size:           8
        .value_kind:     global_buffer
      - .offset:         32
        .size:           8
        .value_kind:     by_value
      - .offset:         40
        .size:           4
        .value_kind:     by_value
      - .offset:         44
        .size:           4
        .value_kind:     by_value
      - .offset:         48
        .size:           4
        .value_kind:     by_value
      - .offset:         52
        .size:           4
        .value_kind:     by_value
      - .offset:         56
        .size:           4
        .value_kind:     by_value
      - .offset:         64
        .size:           4
        .value_kind:     hidden_block_count_x
      - .offset:         68
        .size:           4
        .value_kind:     hidden_block_count_y
      - .offset:         72
        .size:           4
        .value_kind:     hidden_block_count_z
      - .offset:         76
        .size:           2
        .value_kind:     hidden_group_size_x
      - .offset:         78
        .size:           2
        .value_kind:     hidden_group_size_y
      - .offset:         80
        .size:           2
        .value_kind:     hidden_group_size_z
      - .offset:         82
        .size:           2
        .value_kind:     hidden_remainder_x
      - .offset:         84
        .size:           2
        .value_kind:     hidden_remainder_y
      - .offset:         86
        .size:           2
        .value_kind:     hidden_remainder_z
      - .offset:         104
        .size:           8
        .value_kind:     hidden_global_offset_x
      - .offset:         112
        .size:           8
        .value_kind:     hidden_global_offset_y
      - .offset:         120
        .size:           8
        .value_kind:     hidden_global_offset_z
      - .offset:         128
        .size:           2
        .value_kind:     hidden_grid_dims
      - .offset:         184
        .size:           4
        .value_kind:     hidden_dynamic_lds_size
    .group_segment_fixed_size: 0
    .kernarg_segment_align: 8
    .kernarg_segment_size: 320
    .language:       OpenCL C
    .language_version:
      - 2
      - 0
    .max_flat_workgroup_size: 1024
    .name:           _ZN5aiter19grouped_topk_kernelIfDv4_fLi2ELb0ELb0ELb0EEEvPT_PKS2_PfPimiiiif
    .private_segment_fixed_size: 0
    .sgpr_count:     32
    .sgpr_spill_count: 0
    .symbol:         _ZN5aiter19grouped_topk_kernelIfDv4_fLi2ELb0ELb0ELb0EEEvPT_PKS2_PfPimiiiif.kd
    .uniform_work_group_size: 1
    .uses_dynamic_stack: false
    .vgpr_count:     31
    .vgpr_spill_count: 0
    .wavefront_size: 64
  - .agpr_count:     0
    .args:
      - .actual_access:  read_only
        .address_space:  global
        .offset:         0
        .size:           8
        .value_kind:     global_buffer
      - .actual_access:  read_only
        .address_space:  global
        .offset:         8
        .size:           8
        .value_kind:     global_buffer
      - .actual_access:  write_only
        .address_space:  global
        .offset:         16
        .size:           8
        .value_kind:     global_buffer
      - .actual_access:  write_only
        .address_space:  global
        .offset:         24
        .size:           8
        .value_kind:     global_buffer
      - .offset:         32
        .size:           8
        .value_kind:     by_value
      - .offset:         40
        .size:           4
        .value_kind:     by_value
      - .offset:         44
        .size:           4
        .value_kind:     by_value
      - .offset:         48
        .size:           4
        .value_kind:     by_value
      - .offset:         52
        .size:           4
        .value_kind:     by_value
      - .offset:         56
        .size:           4
        .value_kind:     by_value
      - .offset:         64
        .size:           4
        .value_kind:     hidden_block_count_x
      - .offset:         68
        .size:           4
        .value_kind:     hidden_block_count_y
      - .offset:         72
        .size:           4
        .value_kind:     hidden_block_count_z
      - .offset:         76
        .size:           2
        .value_kind:     hidden_group_size_x
      - .offset:         78
        .size:           2
        .value_kind:     hidden_group_size_y
      - .offset:         80
        .size:           2
        .value_kind:     hidden_group_size_z
      - .offset:         82
        .size:           2
        .value_kind:     hidden_remainder_x
      - .offset:         84
        .size:           2
        .value_kind:     hidden_remainder_y
      - .offset:         86
        .size:           2
        .value_kind:     hidden_remainder_z
      - .offset:         104
        .size:           8
        .value_kind:     hidden_global_offset_x
      - .offset:         112
        .size:           8
        .value_kind:     hidden_global_offset_y
      - .offset:         120
        .size:           8
        .value_kind:     hidden_global_offset_z
      - .offset:         128
        .size:           2
        .value_kind:     hidden_grid_dims
      - .offset:         184
        .size:           4
        .value_kind:     hidden_dynamic_lds_size
    .group_segment_fixed_size: 0
    .kernarg_segment_align: 8
    .kernarg_segment_size: 320
    .language:       OpenCL C
    .language_version:
      - 2
      - 0
    .max_flat_workgroup_size: 1024
    .name:           _ZN5aiter19grouped_topk_kernelIN3c104HalfEDv4_fLi2ELb0ELb0ELb0EEEvPT_PKS4_PfPimiiiif
    .private_segment_fixed_size: 0
    .sgpr_count:     34
    .sgpr_spill_count: 0
    .symbol:         _ZN5aiter19grouped_topk_kernelIN3c104HalfEDv4_fLi2ELb0ELb0ELb0EEEvPT_PKS4_PfPimiiiif.kd
    .uniform_work_group_size: 1
    .uses_dynamic_stack: false
    .vgpr_count:     32
    .vgpr_spill_count: 0
    .wavefront_size: 64
  - .agpr_count:     0
    .args:
      - .actual_access:  read_only
        .address_space:  global
        .offset:         0
        .size:           8
        .value_kind:     global_buffer
      - .actual_access:  read_only
        .address_space:  global
        .offset:         8
        .size:           8
        .value_kind:     global_buffer
      - .actual_access:  write_only
        .address_space:  global
        .offset:         16
        .size:           8
        .value_kind:     global_buffer
      - .actual_access:  write_only
        .address_space:  global
        .offset:         24
        .size:           8
        .value_kind:     global_buffer
      - .offset:         32
        .size:           8
        .value_kind:     by_value
      - .offset:         40
        .size:           4
        .value_kind:     by_value
      - .offset:         44
        .size:           4
        .value_kind:     by_value
      - .offset:         48
        .size:           4
        .value_kind:     by_value
      - .offset:         52
        .size:           4
        .value_kind:     by_value
      - .offset:         56
        .size:           4
        .value_kind:     by_value
      - .offset:         64
        .size:           4
        .value_kind:     hidden_block_count_x
      - .offset:         68
        .size:           4
        .value_kind:     hidden_block_count_y
      - .offset:         72
        .size:           4
        .value_kind:     hidden_block_count_z
      - .offset:         76
        .size:           2
        .value_kind:     hidden_group_size_x
      - .offset:         78
        .size:           2
        .value_kind:     hidden_group_size_y
      - .offset:         80
        .size:           2
        .value_kind:     hidden_group_size_z
      - .offset:         82
        .size:           2
        .value_kind:     hidden_remainder_x
      - .offset:         84
        .size:           2
        .value_kind:     hidden_remainder_y
      - .offset:         86
        .size:           2
        .value_kind:     hidden_remainder_z
      - .offset:         104
        .size:           8
        .value_kind:     hidden_global_offset_x
      - .offset:         112
        .size:           8
        .value_kind:     hidden_global_offset_y
      - .offset:         120
        .size:           8
        .value_kind:     hidden_global_offset_z
      - .offset:         128
        .size:           2
        .value_kind:     hidden_grid_dims
      - .offset:         184
        .size:           4
        .value_kind:     hidden_dynamic_lds_size
    .group_segment_fixed_size: 0
    .kernarg_segment_align: 8
    .kernarg_segment_size: 320
    .language:       OpenCL C
    .language_version:
      - 2
      - 0
    .max_flat_workgroup_size: 1024
    .name:           _ZN5aiter19grouped_topk_kernelIN3c108BFloat16EDv4_fLi2ELb0ELb0ELb0EEEvPT_PKS4_PfPimiiiif
    .private_segment_fixed_size: 0
    .sgpr_count:     33
    .sgpr_spill_count: 0
    .symbol:         _ZN5aiter19grouped_topk_kernelIN3c108BFloat16EDv4_fLi2ELb0ELb0ELb0EEEvPT_PKS4_PfPimiiiif.kd
    .uniform_work_group_size: 1
    .uses_dynamic_stack: false
    .vgpr_count:     32
    .vgpr_spill_count: 0
    .wavefront_size: 64
  - .agpr_count:     0
    .args:
      - .actual_access:  read_only
        .address_space:  global
        .offset:         0
        .size:           8
        .value_kind:     global_buffer
      - .actual_access:  read_only
        .address_space:  global
        .offset:         8
        .size:           8
        .value_kind:     global_buffer
      - .actual_access:  read_only
        .address_space:  global
        .offset:         16
        .size:           8
        .value_kind:     global_buffer
      - .actual_access:  read_only
        .address_space:  global
        .offset:         24
        .size:           8
        .value_kind:     global_buffer
      - .offset:         32
        .size:           8
        .value_kind:     by_value
      - .offset:         40
        .size:           4
        .value_kind:     by_value
      - .offset:         44
        .size:           4
        .value_kind:     by_value
      - .offset:         48
        .size:           4
        .value_kind:     by_value
      - .offset:         52
        .size:           4
        .value_kind:     by_value
      - .offset:         56
        .size:           4
        .value_kind:     by_value
    .group_segment_fixed_size: 0
    .kernarg_segment_align: 8
    .kernarg_segment_size: 60
    .language:       OpenCL C
    .language_version:
      - 2
      - 0
    .max_flat_workgroup_size: 1024
    .name:           _ZN5aiter28grouped_topk_opt_sort_kernelIfDv4_fLi1ELb1ELb1ELb0EEEvPT_PKS2_PfPimiiiif
    .private_segment_fixed_size: 0
    .sgpr_count:     13
    .sgpr_spill_count: 0
    .symbol:         _ZN5aiter28grouped_topk_opt_sort_kernelIfDv4_fLi1ELb1ELb1ELb0EEEvPT_PKS2_PfPimiiiif.kd
    .uniform_work_group_size: 1
    .uses_dynamic_stack: false
    .vgpr_count:     15
    .vgpr_spill_count: 0
    .wavefront_size: 64
  - .agpr_count:     0
    .args:
      - .actual_access:  read_only
        .address_space:  global
        .offset:         0
        .size:           8
        .value_kind:     global_buffer
      - .actual_access:  read_only
        .address_space:  global
        .offset:         8
        .size:           8
        .value_kind:     global_buffer
      - .actual_access:  read_only
        .address_space:  global
        .offset:         16
        .size:           8
        .value_kind:     global_buffer
      - .actual_access:  read_only
        .address_space:  global
        .offset:         24
        .size:           8
        .value_kind:     global_buffer
      - .offset:         32
        .size:           8
        .value_kind:     by_value
      - .offset:         40
        .size:           4
        .value_kind:     by_value
      - .offset:         44
        .size:           4
        .value_kind:     by_value
      - .offset:         48
        .size:           4
        .value_kind:     by_value
      - .offset:         52
        .size:           4
        .value_kind:     by_value
      - .offset:         56
        .size:           4
        .value_kind:     by_value
    .group_segment_fixed_size: 0
    .kernarg_segment_align: 8
    .kernarg_segment_size: 60
    .language:       OpenCL C
    .language_version:
      - 2
      - 0
    .max_flat_workgroup_size: 1024
    .name:           _ZN5aiter28grouped_topk_opt_sort_kernelIN3c104HalfEDv4_fLi1ELb1ELb1ELb0EEEvPT_PKS4_PfPimiiiif
    .private_segment_fixed_size: 0
    .sgpr_count:     13
    .sgpr_spill_count: 0
    .symbol:         _ZN5aiter28grouped_topk_opt_sort_kernelIN3c104HalfEDv4_fLi1ELb1ELb1ELb0EEEvPT_PKS4_PfPimiiiif.kd
    .uniform_work_group_size: 1
    .uses_dynamic_stack: false
    .vgpr_count:     15
    .vgpr_spill_count: 0
    .wavefront_size: 64
  - .agpr_count:     0
    .args:
      - .actual_access:  read_only
        .address_space:  global
        .offset:         0
        .size:           8
        .value_kind:     global_buffer
      - .actual_access:  read_only
        .address_space:  global
        .offset:         8
        .size:           8
        .value_kind:     global_buffer
      - .actual_access:  read_only
        .address_space:  global
        .offset:         16
        .size:           8
        .value_kind:     global_buffer
      - .actual_access:  read_only
        .address_space:  global
        .offset:         24
        .size:           8
        .value_kind:     global_buffer
      - .offset:         32
        .size:           8
        .value_kind:     by_value
      - .offset:         40
        .size:           4
        .value_kind:     by_value
      - .offset:         44
        .size:           4
        .value_kind:     by_value
      - .offset:         48
        .size:           4
        .value_kind:     by_value
      - .offset:         52
        .size:           4
        .value_kind:     by_value
      - .offset:         56
        .size:           4
        .value_kind:     by_value
    .group_segment_fixed_size: 0
    .kernarg_segment_align: 8
    .kernarg_segment_size: 60
    .language:       OpenCL C
    .language_version:
      - 2
      - 0
    .max_flat_workgroup_size: 1024
    .name:           _ZN5aiter28grouped_topk_opt_sort_kernelIN3c108BFloat16EDv4_fLi1ELb1ELb1ELb0EEEvPT_PKS4_PfPimiiiif
    .private_segment_fixed_size: 0
    .sgpr_count:     13
    .sgpr_spill_count: 0
    .symbol:         _ZN5aiter28grouped_topk_opt_sort_kernelIN3c108BFloat16EDv4_fLi1ELb1ELb1ELb0EEEvPT_PKS4_PfPimiiiif.kd
    .uniform_work_group_size: 1
    .uses_dynamic_stack: false
    .vgpr_count:     15
    .vgpr_spill_count: 0
    .wavefront_size: 64
  - .agpr_count:     0
    .args:
      - .actual_access:  read_only
        .address_space:  global
        .offset:         0
        .size:           8
        .value_kind:     global_buffer
      - .actual_access:  read_only
        .address_space:  global
        .offset:         8
        .size:           8
        .value_kind:     global_buffer
      - .actual_access:  write_only
        .address_space:  global
        .offset:         16
        .size:           8
        .value_kind:     global_buffer
      - .actual_access:  write_only
        .address_space:  global
        .offset:         24
        .size:           8
        .value_kind:     global_buffer
      - .offset:         32
        .size:           8
        .value_kind:     by_value
      - .offset:         40
        .size:           4
        .value_kind:     by_value
      - .offset:         44
        .size:           4
        .value_kind:     by_value
      - .offset:         48
        .size:           4
        .value_kind:     by_value
      - .offset:         52
        .size:           4
        .value_kind:     by_value
      - .offset:         56
        .size:           4
        .value_kind:     by_value
      - .offset:         64
        .size:           4
        .value_kind:     hidden_block_count_x
      - .offset:         68
        .size:           4
        .value_kind:     hidden_block_count_y
      - .offset:         72
        .size:           4
        .value_kind:     hidden_block_count_z
      - .offset:         76
        .size:           2
        .value_kind:     hidden_group_size_x
      - .offset:         78
        .size:           2
        .value_kind:     hidden_group_size_y
      - .offset:         80
        .size:           2
        .value_kind:     hidden_group_size_z
      - .offset:         82
        .size:           2
        .value_kind:     hidden_remainder_x
      - .offset:         84
        .size:           2
        .value_kind:     hidden_remainder_y
      - .offset:         86
        .size:           2
        .value_kind:     hidden_remainder_z
      - .offset:         104
        .size:           8
        .value_kind:     hidden_global_offset_x
      - .offset:         112
        .size:           8
        .value_kind:     hidden_global_offset_y
      - .offset:         120
        .size:           8
        .value_kind:     hidden_global_offset_z
      - .offset:         128
        .size:           2
        .value_kind:     hidden_grid_dims
      - .offset:         184
        .size:           4
        .value_kind:     hidden_dynamic_lds_size
    .group_segment_fixed_size: 0
    .kernarg_segment_align: 8
    .kernarg_segment_size: 320
    .language:       OpenCL C
    .language_version:
      - 2
      - 0
    .max_flat_workgroup_size: 1024
    .name:           _ZN5aiter19grouped_topk_kernelIfDv4_fLi1ELb1ELb1ELb0EEEvPT_PKS2_PfPimiiiif
    .private_segment_fixed_size: 0
    .sgpr_count:     33
    .sgpr_spill_count: 0
    .symbol:         _ZN5aiter19grouped_topk_kernelIfDv4_fLi1ELb1ELb1ELb0EEEvPT_PKS2_PfPimiiiif.kd
    .uniform_work_group_size: 1
    .uses_dynamic_stack: false
    .vgpr_count:     37
    .vgpr_spill_count: 0
    .wavefront_size: 64
  - .agpr_count:     0
    .args:
      - .actual_access:  read_only
        .address_space:  global
        .offset:         0
        .size:           8
        .value_kind:     global_buffer
      - .actual_access:  read_only
        .address_space:  global
        .offset:         8
        .size:           8
        .value_kind:     global_buffer
      - .actual_access:  write_only
        .address_space:  global
        .offset:         16
        .size:           8
        .value_kind:     global_buffer
      - .actual_access:  write_only
        .address_space:  global
        .offset:         24
        .size:           8
        .value_kind:     global_buffer
      - .offset:         32
        .size:           8
        .value_kind:     by_value
      - .offset:         40
        .size:           4
        .value_kind:     by_value
      - .offset:         44
        .size:           4
        .value_kind:     by_value
      - .offset:         48
        .size:           4
        .value_kind:     by_value
      - .offset:         52
        .size:           4
        .value_kind:     by_value
      - .offset:         56
        .size:           4
        .value_kind:     by_value
      - .offset:         64
        .size:           4
        .value_kind:     hidden_block_count_x
      - .offset:         68
        .size:           4
        .value_kind:     hidden_block_count_y
      - .offset:         72
        .size:           4
        .value_kind:     hidden_block_count_z
      - .offset:         76
        .size:           2
        .value_kind:     hidden_group_size_x
      - .offset:         78
        .size:           2
        .value_kind:     hidden_group_size_y
      - .offset:         80
        .size:           2
        .value_kind:     hidden_group_size_z
      - .offset:         82
        .size:           2
        .value_kind:     hidden_remainder_x
      - .offset:         84
        .size:           2
        .value_kind:     hidden_remainder_y
      - .offset:         86
        .size:           2
        .value_kind:     hidden_remainder_z
      - .offset:         104
        .size:           8
        .value_kind:     hidden_global_offset_x
      - .offset:         112
        .size:           8
        .value_kind:     hidden_global_offset_y
      - .offset:         120
        .size:           8
        .value_kind:     hidden_global_offset_z
      - .offset:         128
        .size:           2
        .value_kind:     hidden_grid_dims
      - .offset:         184
        .size:           4
        .value_kind:     hidden_dynamic_lds_size
    .group_segment_fixed_size: 0
    .kernarg_segment_align: 8
    .kernarg_segment_size: 320
    .language:       OpenCL C
    .language_version:
      - 2
      - 0
    .max_flat_workgroup_size: 1024
    .name:           _ZN5aiter19grouped_topk_kernelIN3c104HalfEDv4_fLi1ELb1ELb1ELb0EEEvPT_PKS4_PfPimiiiif
    .private_segment_fixed_size: 0
    .sgpr_count:     35
    .sgpr_spill_count: 0
    .symbol:         _ZN5aiter19grouped_topk_kernelIN3c104HalfEDv4_fLi1ELb1ELb1ELb0EEEvPT_PKS4_PfPimiiiif.kd
    .uniform_work_group_size: 1
    .uses_dynamic_stack: false
    .vgpr_count:     38
    .vgpr_spill_count: 0
    .wavefront_size: 64
  - .agpr_count:     0
    .args:
      - .actual_access:  read_only
        .address_space:  global
        .offset:         0
        .size:           8
        .value_kind:     global_buffer
      - .actual_access:  read_only
        .address_space:  global
        .offset:         8
        .size:           8
        .value_kind:     global_buffer
      - .actual_access:  write_only
        .address_space:  global
        .offset:         16
        .size:           8
        .value_kind:     global_buffer
      - .actual_access:  write_only
        .address_space:  global
        .offset:         24
        .size:           8
        .value_kind:     global_buffer
      - .offset:         32
        .size:           8
        .value_kind:     by_value
      - .offset:         40
        .size:           4
        .value_kind:     by_value
      - .offset:         44
        .size:           4
        .value_kind:     by_value
      - .offset:         48
        .size:           4
        .value_kind:     by_value
      - .offset:         52
        .size:           4
        .value_kind:     by_value
      - .offset:         56
        .size:           4
        .value_kind:     by_value
      - .offset:         64
        .size:           4
        .value_kind:     hidden_block_count_x
      - .offset:         68
        .size:           4
        .value_kind:     hidden_block_count_y
      - .offset:         72
        .size:           4
        .value_kind:     hidden_block_count_z
      - .offset:         76
        .size:           2
        .value_kind:     hidden_group_size_x
      - .offset:         78
        .size:           2
        .value_kind:     hidden_group_size_y
      - .offset:         80
        .size:           2
        .value_kind:     hidden_group_size_z
      - .offset:         82
        .size:           2
        .value_kind:     hidden_remainder_x
      - .offset:         84
        .size:           2
        .value_kind:     hidden_remainder_y
      - .offset:         86
        .size:           2
        .value_kind:     hidden_remainder_z
      - .offset:         104
        .size:           8
        .value_kind:     hidden_global_offset_x
      - .offset:         112
        .size:           8
        .value_kind:     hidden_global_offset_y
      - .offset:         120
        .size:           8
        .value_kind:     hidden_global_offset_z
      - .offset:         128
        .size:           2
        .value_kind:     hidden_grid_dims
      - .offset:         184
        .size:           4
        .value_kind:     hidden_dynamic_lds_size
    .group_segment_fixed_size: 0
    .kernarg_segment_align: 8
    .kernarg_segment_size: 320
    .language:       OpenCL C
    .language_version:
      - 2
      - 0
    .max_flat_workgroup_size: 1024
    .name:           _ZN5aiter19grouped_topk_kernelIN3c108BFloat16EDv4_fLi1ELb1ELb1ELb0EEEvPT_PKS4_PfPimiiiif
    .private_segment_fixed_size: 0
    .sgpr_count:     34
    .sgpr_spill_count: 0
    .symbol:         _ZN5aiter19grouped_topk_kernelIN3c108BFloat16EDv4_fLi1ELb1ELb1ELb0EEEvPT_PKS4_PfPimiiiif.kd
    .uniform_work_group_size: 1
    .uses_dynamic_stack: false
    .vgpr_count:     38
    .vgpr_spill_count: 0
    .wavefront_size: 64
  - .agpr_count:     0
    .args:
      - .actual_access:  read_only
        .address_space:  global
        .offset:         0
        .size:           8
        .value_kind:     global_buffer
      - .actual_access:  read_only
        .address_space:  global
        .offset:         8
        .size:           8
        .value_kind:     global_buffer
      - .actual_access:  write_only
        .address_space:  global
        .offset:         16
        .size:           8
        .value_kind:     global_buffer
      - .actual_access:  write_only
        .address_space:  global
        .offset:         24
        .size:           8
        .value_kind:     global_buffer
      - .offset:         32
        .size:           8
        .value_kind:     by_value
      - .offset:         40
        .size:           4
        .value_kind:     by_value
      - .offset:         44
        .size:           4
        .value_kind:     by_value
      - .offset:         48
        .size:           4
        .value_kind:     by_value
      - .offset:         52
        .size:           4
        .value_kind:     by_value
      - .offset:         56
        .size:           4
        .value_kind:     by_value
      - .offset:         64
        .size:           4
        .value_kind:     hidden_block_count_x
      - .offset:         68
        .size:           4
        .value_kind:     hidden_block_count_y
      - .offset:         72
        .size:           4
        .value_kind:     hidden_block_count_z
      - .offset:         76
        .size:           2
        .value_kind:     hidden_group_size_x
      - .offset:         78
        .size:           2
        .value_kind:     hidden_group_size_y
      - .offset:         80
        .size:           2
        .value_kind:     hidden_group_size_z
      - .offset:         82
        .size:           2
        .value_kind:     hidden_remainder_x
      - .offset:         84
        .size:           2
        .value_kind:     hidden_remainder_y
      - .offset:         86
        .size:           2
        .value_kind:     hidden_remainder_z
      - .offset:         104
        .size:           8
        .value_kind:     hidden_global_offset_x
      - .offset:         112
        .size:           8
        .value_kind:     hidden_global_offset_y
      - .offset:         120
        .size:           8
        .value_kind:     hidden_global_offset_z
      - .offset:         128
        .size:           2
        .value_kind:     hidden_grid_dims
      - .offset:         184
        .size:           4
        .value_kind:     hidden_dynamic_lds_size
    .group_segment_fixed_size: 0
    .kernarg_segment_align: 8
    .kernarg_segment_size: 320
    .language:       OpenCL C
    .language_version:
      - 2
      - 0
    .max_flat_workgroup_size: 1024
    .name:           _ZN5aiter19grouped_topk_kernelIfDv4_fLi1ELb1ELb0ELb1EEEvPT_PKS2_PfPimiiiif
    .private_segment_fixed_size: 0
    .sgpr_count:     25
    .sgpr_spill_count: 0
    .symbol:         _ZN5aiter19grouped_topk_kernelIfDv4_fLi1ELb1ELb0ELb1EEEvPT_PKS2_PfPimiiiif.kd
    .uniform_work_group_size: 1
    .uses_dynamic_stack: false
    .vgpr_count:     19
    .vgpr_spill_count: 0
    .wavefront_size: 64
  - .agpr_count:     0
    .args:
      - .actual_access:  read_only
        .address_space:  global
        .offset:         0
        .size:           8
        .value_kind:     global_buffer
      - .actual_access:  read_only
        .address_space:  global
        .offset:         8
        .size:           8
        .value_kind:     global_buffer
      - .actual_access:  write_only
        .address_space:  global
        .offset:         16
        .size:           8
        .value_kind:     global_buffer
      - .actual_access:  write_only
        .address_space:  global
        .offset:         24
        .size:           8
        .value_kind:     global_buffer
      - .offset:         32
        .size:           8
        .value_kind:     by_value
      - .offset:         40
        .size:           4
        .value_kind:     by_value
      - .offset:         44
        .size:           4
        .value_kind:     by_value
      - .offset:         48
        .size:           4
        .value_kind:     by_value
      - .offset:         52
        .size:           4
        .value_kind:     by_value
      - .offset:         56
        .size:           4
        .value_kind:     by_value
      - .offset:         64
        .size:           4
        .value_kind:     hidden_block_count_x
      - .offset:         68
        .size:           4
        .value_kind:     hidden_block_count_y
      - .offset:         72
        .size:           4
        .value_kind:     hidden_block_count_z
      - .offset:         76
        .size:           2
        .value_kind:     hidden_group_size_x
      - .offset:         78
        .size:           2
        .value_kind:     hidden_group_size_y
      - .offset:         80
        .size:           2
        .value_kind:     hidden_group_size_z
      - .offset:         82
        .size:           2
        .value_kind:     hidden_remainder_x
      - .offset:         84
        .size:           2
        .value_kind:     hidden_remainder_y
      - .offset:         86
        .size:           2
        .value_kind:     hidden_remainder_z
      - .offset:         104
        .size:           8
        .value_kind:     hidden_global_offset_x
      - .offset:         112
        .size:           8
        .value_kind:     hidden_global_offset_y
      - .offset:         120
        .size:           8
        .value_kind:     hidden_global_offset_z
      - .offset:         128
        .size:           2
        .value_kind:     hidden_grid_dims
      - .offset:         184
        .size:           4
        .value_kind:     hidden_dynamic_lds_size
    .group_segment_fixed_size: 0
    .kernarg_segment_align: 8
    .kernarg_segment_size: 320
    .language:       OpenCL C
    .language_version:
      - 2
      - 0
    .max_flat_workgroup_size: 1024
    .name:           _ZN5aiter19grouped_topk_kernelIN3c104HalfEDv4_fLi1ELb1ELb0ELb1EEEvPT_PKS4_PfPimiiiif
    .private_segment_fixed_size: 0
    .sgpr_count:     25
    .sgpr_spill_count: 0
    .symbol:         _ZN5aiter19grouped_topk_kernelIN3c104HalfEDv4_fLi1ELb1ELb0ELb1EEEvPT_PKS4_PfPimiiiif.kd
    .uniform_work_group_size: 1
    .uses_dynamic_stack: false
    .vgpr_count:     19
    .vgpr_spill_count: 0
    .wavefront_size: 64
  - .agpr_count:     0
    .args:
      - .actual_access:  read_only
        .address_space:  global
        .offset:         0
        .size:           8
        .value_kind:     global_buffer
      - .actual_access:  read_only
        .address_space:  global
        .offset:         8
        .size:           8
        .value_kind:     global_buffer
      - .actual_access:  write_only
        .address_space:  global
        .offset:         16
        .size:           8
        .value_kind:     global_buffer
      - .actual_access:  write_only
        .address_space:  global
        .offset:         24
        .size:           8
        .value_kind:     global_buffer
      - .offset:         32
        .size:           8
        .value_kind:     by_value
      - .offset:         40
        .size:           4
        .value_kind:     by_value
      - .offset:         44
        .size:           4
        .value_kind:     by_value
      - .offset:         48
        .size:           4
        .value_kind:     by_value
      - .offset:         52
        .size:           4
        .value_kind:     by_value
      - .offset:         56
        .size:           4
        .value_kind:     by_value
      - .offset:         64
        .size:           4
        .value_kind:     hidden_block_count_x
      - .offset:         68
        .size:           4
        .value_kind:     hidden_block_count_y
      - .offset:         72
        .size:           4
        .value_kind:     hidden_block_count_z
      - .offset:         76
        .size:           2
        .value_kind:     hidden_group_size_x
      - .offset:         78
        .size:           2
        .value_kind:     hidden_group_size_y
      - .offset:         80
        .size:           2
        .value_kind:     hidden_group_size_z
      - .offset:         82
        .size:           2
        .value_kind:     hidden_remainder_x
      - .offset:         84
        .size:           2
        .value_kind:     hidden_remainder_y
      - .offset:         86
        .size:           2
        .value_kind:     hidden_remainder_z
      - .offset:         104
        .size:           8
        .value_kind:     hidden_global_offset_x
      - .offset:         112
        .size:           8
        .value_kind:     hidden_global_offset_y
      - .offset:         120
        .size:           8
        .value_kind:     hidden_global_offset_z
      - .offset:         128
        .size:           2
        .value_kind:     hidden_grid_dims
      - .offset:         184
        .size:           4
        .value_kind:     hidden_dynamic_lds_size
    .group_segment_fixed_size: 0
    .kernarg_segment_align: 8
    .kernarg_segment_size: 320
    .language:       OpenCL C
    .language_version:
      - 2
      - 0
    .max_flat_workgroup_size: 1024
    .name:           _ZN5aiter19grouped_topk_kernelIN3c108BFloat16EDv4_fLi1ELb1ELb0ELb1EEEvPT_PKS4_PfPimiiiif
    .private_segment_fixed_size: 0
    .sgpr_count:     25
    .sgpr_spill_count: 0
    .symbol:         _ZN5aiter19grouped_topk_kernelIN3c108BFloat16EDv4_fLi1ELb1ELb0ELb1EEEvPT_PKS4_PfPimiiiif.kd
    .uniform_work_group_size: 1
    .uses_dynamic_stack: false
    .vgpr_count:     19
    .vgpr_spill_count: 0
    .wavefront_size: 64
  - .agpr_count:     0
    .args:
      - .actual_access:  read_only
        .address_space:  global
        .offset:         0
        .size:           8
        .value_kind:     global_buffer
      - .actual_access:  read_only
        .address_space:  global
        .offset:         8
        .size:           8
        .value_kind:     global_buffer
      - .actual_access:  write_only
        .address_space:  global
        .offset:         16
        .size:           8
        .value_kind:     global_buffer
      - .actual_access:  write_only
        .address_space:  global
        .offset:         24
        .size:           8
        .value_kind:     global_buffer
      - .offset:         32
        .size:           8
        .value_kind:     by_value
      - .offset:         40
        .size:           4
        .value_kind:     by_value
      - .offset:         44
        .size:           4
        .value_kind:     by_value
      - .offset:         48
        .size:           4
        .value_kind:     by_value
      - .offset:         52
        .size:           4
        .value_kind:     by_value
      - .offset:         56
        .size:           4
        .value_kind:     by_value
      - .offset:         64
        .size:           4
        .value_kind:     hidden_block_count_x
      - .offset:         68
        .size:           4
        .value_kind:     hidden_block_count_y
      - .offset:         72
        .size:           4
        .value_kind:     hidden_block_count_z
      - .offset:         76
        .size:           2
        .value_kind:     hidden_group_size_x
      - .offset:         78
        .size:           2
        .value_kind:     hidden_group_size_y
      - .offset:         80
        .size:           2
        .value_kind:     hidden_group_size_z
      - .offset:         82
        .size:           2
        .value_kind:     hidden_remainder_x
      - .offset:         84
        .size:           2
        .value_kind:     hidden_remainder_y
      - .offset:         86
        .size:           2
        .value_kind:     hidden_remainder_z
      - .offset:         104
        .size:           8
        .value_kind:     hidden_global_offset_x
      - .offset:         112
        .size:           8
        .value_kind:     hidden_global_offset_y
      - .offset:         120
        .size:           8
        .value_kind:     hidden_global_offset_z
      - .offset:         128
        .size:           2
        .value_kind:     hidden_grid_dims
      - .offset:         184
        .size:           4
        .value_kind:     hidden_dynamic_lds_size
    .group_segment_fixed_size: 0
    .kernarg_segment_align: 8
    .kernarg_segment_size: 320
    .language:       OpenCL C
    .language_version:
      - 2
      - 0
    .max_flat_workgroup_size: 1024
    .name:           _ZN5aiter19grouped_topk_kernelIfDv4_fLi1ELb1ELb0ELb0EEEvPT_PKS2_PfPimiiiif
    .private_segment_fixed_size: 0
    .sgpr_count:     30
    .sgpr_spill_count: 0
    .symbol:         _ZN5aiter19grouped_topk_kernelIfDv4_fLi1ELb1ELb0ELb0EEEvPT_PKS2_PfPimiiiif.kd
    .uniform_work_group_size: 1
    .uses_dynamic_stack: false
    .vgpr_count:     31
    .vgpr_spill_count: 0
    .wavefront_size: 64
  - .agpr_count:     0
    .args:
      - .actual_access:  read_only
        .address_space:  global
        .offset:         0
        .size:           8
        .value_kind:     global_buffer
      - .actual_access:  read_only
        .address_space:  global
        .offset:         8
        .size:           8
        .value_kind:     global_buffer
      - .actual_access:  write_only
        .address_space:  global
        .offset:         16
        .size:           8
        .value_kind:     global_buffer
      - .actual_access:  write_only
        .address_space:  global
        .offset:         24
        .size:           8
        .value_kind:     global_buffer
      - .offset:         32
        .size:           8
        .value_kind:     by_value
      - .offset:         40
        .size:           4
        .value_kind:     by_value
      - .offset:         44
        .size:           4
        .value_kind:     by_value
      - .offset:         48
        .size:           4
        .value_kind:     by_value
      - .offset:         52
        .size:           4
        .value_kind:     by_value
      - .offset:         56
        .size:           4
        .value_kind:     by_value
      - .offset:         64
        .size:           4
        .value_kind:     hidden_block_count_x
      - .offset:         68
        .size:           4
        .value_kind:     hidden_block_count_y
      - .offset:         72
        .size:           4
        .value_kind:     hidden_block_count_z
      - .offset:         76
        .size:           2
        .value_kind:     hidden_group_size_x
      - .offset:         78
        .size:           2
        .value_kind:     hidden_group_size_y
      - .offset:         80
        .size:           2
        .value_kind:     hidden_group_size_z
      - .offset:         82
        .size:           2
        .value_kind:     hidden_remainder_x
      - .offset:         84
        .size:           2
        .value_kind:     hidden_remainder_y
      - .offset:         86
        .size:           2
        .value_kind:     hidden_remainder_z
      - .offset:         104
        .size:           8
        .value_kind:     hidden_global_offset_x
      - .offset:         112
        .size:           8
        .value_kind:     hidden_global_offset_y
      - .offset:         120
        .size:           8
        .value_kind:     hidden_global_offset_z
      - .offset:         128
        .size:           2
        .value_kind:     hidden_grid_dims
      - .offset:         184
        .size:           4
        .value_kind:     hidden_dynamic_lds_size
    .group_segment_fixed_size: 0
    .kernarg_segment_align: 8
    .kernarg_segment_size: 320
    .language:       OpenCL C
    .language_version:
      - 2
      - 0
    .max_flat_workgroup_size: 1024
    .name:           _ZN5aiter19grouped_topk_kernelIN3c104HalfEDv4_fLi1ELb1ELb0ELb0EEEvPT_PKS4_PfPimiiiif
    .private_segment_fixed_size: 0
    .sgpr_count:     32
    .sgpr_spill_count: 0
    .symbol:         _ZN5aiter19grouped_topk_kernelIN3c104HalfEDv4_fLi1ELb1ELb0ELb0EEEvPT_PKS4_PfPimiiiif.kd
    .uniform_work_group_size: 1
    .uses_dynamic_stack: false
    .vgpr_count:     32
    .vgpr_spill_count: 0
    .wavefront_size: 64
  - .agpr_count:     0
    .args:
      - .actual_access:  read_only
        .address_space:  global
        .offset:         0
        .size:           8
        .value_kind:     global_buffer
      - .actual_access:  read_only
        .address_space:  global
        .offset:         8
        .size:           8
        .value_kind:     global_buffer
      - .actual_access:  write_only
        .address_space:  global
        .offset:         16
        .size:           8
        .value_kind:     global_buffer
      - .actual_access:  write_only
        .address_space:  global
        .offset:         24
        .size:           8
        .value_kind:     global_buffer
      - .offset:         32
        .size:           8
        .value_kind:     by_value
      - .offset:         40
        .size:           4
        .value_kind:     by_value
      - .offset:         44
        .size:           4
        .value_kind:     by_value
      - .offset:         48
        .size:           4
        .value_kind:     by_value
      - .offset:         52
        .size:           4
        .value_kind:     by_value
      - .offset:         56
        .size:           4
        .value_kind:     by_value
      - .offset:         64
        .size:           4
        .value_kind:     hidden_block_count_x
      - .offset:         68
        .size:           4
        .value_kind:     hidden_block_count_y
      - .offset:         72
        .size:           4
        .value_kind:     hidden_block_count_z
      - .offset:         76
        .size:           2
        .value_kind:     hidden_group_size_x
      - .offset:         78
        .size:           2
        .value_kind:     hidden_group_size_y
      - .offset:         80
        .size:           2
        .value_kind:     hidden_group_size_z
      - .offset:         82
        .size:           2
        .value_kind:     hidden_remainder_x
      - .offset:         84
        .size:           2
        .value_kind:     hidden_remainder_y
      - .offset:         86
        .size:           2
        .value_kind:     hidden_remainder_z
      - .offset:         104
        .size:           8
        .value_kind:     hidden_global_offset_x
      - .offset:         112
        .size:           8
        .value_kind:     hidden_global_offset_y
      - .offset:         120
        .size:           8
        .value_kind:     hidden_global_offset_z
      - .offset:         128
        .size:           2
        .value_kind:     hidden_grid_dims
      - .offset:         184
        .size:           4
        .value_kind:     hidden_dynamic_lds_size
    .group_segment_fixed_size: 0
    .kernarg_segment_align: 8
    .kernarg_segment_size: 320
    .language:       OpenCL C
    .language_version:
      - 2
      - 0
    .max_flat_workgroup_size: 1024
    .name:           _ZN5aiter19grouped_topk_kernelIN3c108BFloat16EDv4_fLi1ELb1ELb0ELb0EEEvPT_PKS4_PfPimiiiif
    .private_segment_fixed_size: 0
    .sgpr_count:     31
    .sgpr_spill_count: 0
    .symbol:         _ZN5aiter19grouped_topk_kernelIN3c108BFloat16EDv4_fLi1ELb1ELb0ELb0EEEvPT_PKS4_PfPimiiiif.kd
    .uniform_work_group_size: 1
    .uses_dynamic_stack: false
    .vgpr_count:     32
    .vgpr_spill_count: 0
    .wavefront_size: 64
  - .agpr_count:     0
    .args:
      - .actual_access:  read_only
        .address_space:  global
        .offset:         0
        .size:           8
        .value_kind:     global_buffer
      - .actual_access:  read_only
        .address_space:  global
        .offset:         8
        .size:           8
        .value_kind:     global_buffer
      - .actual_access:  read_only
        .address_space:  global
        .offset:         16
        .size:           8
        .value_kind:     global_buffer
      - .actual_access:  read_only
        .address_space:  global
        .offset:         24
        .size:           8
        .value_kind:     global_buffer
      - .offset:         32
        .size:           8
        .value_kind:     by_value
      - .offset:         40
        .size:           4
        .value_kind:     by_value
      - .offset:         44
        .size:           4
        .value_kind:     by_value
      - .offset:         48
        .size:           4
        .value_kind:     by_value
      - .offset:         52
        .size:           4
        .value_kind:     by_value
      - .offset:         56
        .size:           4
        .value_kind:     by_value
    .group_segment_fixed_size: 0
    .kernarg_segment_align: 8
    .kernarg_segment_size: 60
    .language:       OpenCL C
    .language_version:
      - 2
      - 0
    .max_flat_workgroup_size: 1024
    .name:           _ZN5aiter28grouped_topk_opt_sort_kernelIfDv4_fLi1ELb0ELb1ELb0EEEvPT_PKS2_PfPimiiiif
    .private_segment_fixed_size: 0
    .sgpr_count:     13
    .sgpr_spill_count: 0
    .symbol:         _ZN5aiter28grouped_topk_opt_sort_kernelIfDv4_fLi1ELb0ELb1ELb0EEEvPT_PKS2_PfPimiiiif.kd
    .uniform_work_group_size: 1
    .uses_dynamic_stack: false
    .vgpr_count:     15
    .vgpr_spill_count: 0
    .wavefront_size: 64
  - .agpr_count:     0
    .args:
      - .actual_access:  read_only
        .address_space:  global
        .offset:         0
        .size:           8
        .value_kind:     global_buffer
      - .actual_access:  read_only
        .address_space:  global
        .offset:         8
        .size:           8
        .value_kind:     global_buffer
      - .actual_access:  read_only
        .address_space:  global
        .offset:         16
        .size:           8
        .value_kind:     global_buffer
      - .actual_access:  read_only
        .address_space:  global
        .offset:         24
        .size:           8
        .value_kind:     global_buffer
      - .offset:         32
        .size:           8
        .value_kind:     by_value
      - .offset:         40
        .size:           4
        .value_kind:     by_value
      - .offset:         44
        .size:           4
        .value_kind:     by_value
      - .offset:         48
        .size:           4
        .value_kind:     by_value
      - .offset:         52
        .size:           4
        .value_kind:     by_value
      - .offset:         56
        .size:           4
        .value_kind:     by_value
    .group_segment_fixed_size: 0
    .kernarg_segment_align: 8
    .kernarg_segment_size: 60
    .language:       OpenCL C
    .language_version:
      - 2
      - 0
    .max_flat_workgroup_size: 1024
    .name:           _ZN5aiter28grouped_topk_opt_sort_kernelIN3c104HalfEDv4_fLi1ELb0ELb1ELb0EEEvPT_PKS4_PfPimiiiif
    .private_segment_fixed_size: 0
    .sgpr_count:     13
    .sgpr_spill_count: 0
    .symbol:         _ZN5aiter28grouped_topk_opt_sort_kernelIN3c104HalfEDv4_fLi1ELb0ELb1ELb0EEEvPT_PKS4_PfPimiiiif.kd
    .uniform_work_group_size: 1
    .uses_dynamic_stack: false
    .vgpr_count:     15
    .vgpr_spill_count: 0
    .wavefront_size: 64
  - .agpr_count:     0
    .args:
      - .actual_access:  read_only
        .address_space:  global
        .offset:         0
        .size:           8
        .value_kind:     global_buffer
      - .actual_access:  read_only
        .address_space:  global
        .offset:         8
        .size:           8
        .value_kind:     global_buffer
      - .actual_access:  read_only
        .address_space:  global
        .offset:         16
        .size:           8
        .value_kind:     global_buffer
      - .actual_access:  read_only
        .address_space:  global
        .offset:         24
        .size:           8
        .value_kind:     global_buffer
      - .offset:         32
        .size:           8
        .value_kind:     by_value
      - .offset:         40
        .size:           4
        .value_kind:     by_value
      - .offset:         44
        .size:           4
        .value_kind:     by_value
      - .offset:         48
        .size:           4
        .value_kind:     by_value
      - .offset:         52
        .size:           4
        .value_kind:     by_value
      - .offset:         56
        .size:           4
        .value_kind:     by_value
    .group_segment_fixed_size: 0
    .kernarg_segment_align: 8
    .kernarg_segment_size: 60
    .language:       OpenCL C
    .language_version:
      - 2
      - 0
    .max_flat_workgroup_size: 1024
    .name:           _ZN5aiter28grouped_topk_opt_sort_kernelIN3c108BFloat16EDv4_fLi1ELb0ELb1ELb0EEEvPT_PKS4_PfPimiiiif
    .private_segment_fixed_size: 0
    .sgpr_count:     13
    .sgpr_spill_count: 0
    .symbol:         _ZN5aiter28grouped_topk_opt_sort_kernelIN3c108BFloat16EDv4_fLi1ELb0ELb1ELb0EEEvPT_PKS4_PfPimiiiif.kd
    .uniform_work_group_size: 1
    .uses_dynamic_stack: false
    .vgpr_count:     15
    .vgpr_spill_count: 0
    .wavefront_size: 64
  - .agpr_count:     0
    .args:
      - .actual_access:  read_only
        .address_space:  global
        .offset:         0
        .size:           8
        .value_kind:     global_buffer
      - .actual_access:  read_only
        .address_space:  global
        .offset:         8
        .size:           8
        .value_kind:     global_buffer
      - .actual_access:  write_only
        .address_space:  global
        .offset:         16
        .size:           8
        .value_kind:     global_buffer
      - .actual_access:  write_only
        .address_space:  global
        .offset:         24
        .size:           8
        .value_kind:     global_buffer
      - .offset:         32
        .size:           8
        .value_kind:     by_value
      - .offset:         40
        .size:           4
        .value_kind:     by_value
      - .offset:         44
        .size:           4
        .value_kind:     by_value
      - .offset:         48
        .size:           4
        .value_kind:     by_value
      - .offset:         52
        .size:           4
        .value_kind:     by_value
      - .offset:         56
        .size:           4
        .value_kind:     by_value
      - .offset:         64
        .size:           4
        .value_kind:     hidden_block_count_x
      - .offset:         68
        .size:           4
        .value_kind:     hidden_block_count_y
      - .offset:         72
        .size:           4
        .value_kind:     hidden_block_count_z
      - .offset:         76
        .size:           2
        .value_kind:     hidden_group_size_x
      - .offset:         78
        .size:           2
        .value_kind:     hidden_group_size_y
      - .offset:         80
        .size:           2
        .value_kind:     hidden_group_size_z
      - .offset:         82
        .size:           2
        .value_kind:     hidden_remainder_x
      - .offset:         84
        .size:           2
        .value_kind:     hidden_remainder_y
      - .offset:         86
        .size:           2
        .value_kind:     hidden_remainder_z
      - .offset:         104
        .size:           8
        .value_kind:     hidden_global_offset_x
      - .offset:         112
        .size:           8
        .value_kind:     hidden_global_offset_y
      - .offset:         120
        .size:           8
        .value_kind:     hidden_global_offset_z
      - .offset:         128
        .size:           2
        .value_kind:     hidden_grid_dims
      - .offset:         184
        .size:           4
        .value_kind:     hidden_dynamic_lds_size
    .group_segment_fixed_size: 0
    .kernarg_segment_align: 8
    .kernarg_segment_size: 320
    .language:       OpenCL C
    .language_version:
      - 2
      - 0
    .max_flat_workgroup_size: 1024
    .name:           _ZN5aiter19grouped_topk_kernelIfDv4_fLi1ELb0ELb1ELb0EEEvPT_PKS2_PfPimiiiif
    .private_segment_fixed_size: 0
    .sgpr_count:     33
    .sgpr_spill_count: 0
    .symbol:         _ZN5aiter19grouped_topk_kernelIfDv4_fLi1ELb0ELb1ELb0EEEvPT_PKS2_PfPimiiiif.kd
    .uniform_work_group_size: 1
    .uses_dynamic_stack: false
    .vgpr_count:     37
    .vgpr_spill_count: 0
    .wavefront_size: 64
  - .agpr_count:     0
    .args:
      - .actual_access:  read_only
        .address_space:  global
        .offset:         0
        .size:           8
        .value_kind:     global_buffer
      - .actual_access:  read_only
        .address_space:  global
        .offset:         8
        .size:           8
        .value_kind:     global_buffer
      - .actual_access:  write_only
        .address_space:  global
        .offset:         16
        .size:           8
        .value_kind:     global_buffer
      - .actual_access:  write_only
        .address_space:  global
        .offset:         24
        .size:           8
        .value_kind:     global_buffer
      - .offset:         32
        .size:           8
        .value_kind:     by_value
      - .offset:         40
        .size:           4
        .value_kind:     by_value
      - .offset:         44
        .size:           4
        .value_kind:     by_value
      - .offset:         48
        .size:           4
        .value_kind:     by_value
      - .offset:         52
        .size:           4
        .value_kind:     by_value
      - .offset:         56
        .size:           4
        .value_kind:     by_value
      - .offset:         64
        .size:           4
        .value_kind:     hidden_block_count_x
      - .offset:         68
        .size:           4
        .value_kind:     hidden_block_count_y
      - .offset:         72
        .size:           4
        .value_kind:     hidden_block_count_z
      - .offset:         76
        .size:           2
        .value_kind:     hidden_group_size_x
      - .offset:         78
        .size:           2
        .value_kind:     hidden_group_size_y
      - .offset:         80
        .size:           2
        .value_kind:     hidden_group_size_z
      - .offset:         82
        .size:           2
        .value_kind:     hidden_remainder_x
      - .offset:         84
        .size:           2
        .value_kind:     hidden_remainder_y
      - .offset:         86
        .size:           2
        .value_kind:     hidden_remainder_z
      - .offset:         104
        .size:           8
        .value_kind:     hidden_global_offset_x
      - .offset:         112
        .size:           8
        .value_kind:     hidden_global_offset_y
      - .offset:         120
        .size:           8
        .value_kind:     hidden_global_offset_z
      - .offset:         128
        .size:           2
        .value_kind:     hidden_grid_dims
      - .offset:         184
        .size:           4
        .value_kind:     hidden_dynamic_lds_size
    .group_segment_fixed_size: 0
    .kernarg_segment_align: 8
    .kernarg_segment_size: 320
    .language:       OpenCL C
    .language_version:
      - 2
      - 0
    .max_flat_workgroup_size: 1024
    .name:           _ZN5aiter19grouped_topk_kernelIN3c104HalfEDv4_fLi1ELb0ELb1ELb0EEEvPT_PKS4_PfPimiiiif
    .private_segment_fixed_size: 0
    .sgpr_count:     35
    .sgpr_spill_count: 0
    .symbol:         _ZN5aiter19grouped_topk_kernelIN3c104HalfEDv4_fLi1ELb0ELb1ELb0EEEvPT_PKS4_PfPimiiiif.kd
    .uniform_work_group_size: 1
    .uses_dynamic_stack: false
    .vgpr_count:     38
    .vgpr_spill_count: 0
    .wavefront_size: 64
  - .agpr_count:     0
    .args:
      - .actual_access:  read_only
        .address_space:  global
        .offset:         0
        .size:           8
        .value_kind:     global_buffer
      - .actual_access:  read_only
        .address_space:  global
        .offset:         8
        .size:           8
        .value_kind:     global_buffer
      - .actual_access:  write_only
        .address_space:  global
        .offset:         16
        .size:           8
        .value_kind:     global_buffer
      - .actual_access:  write_only
        .address_space:  global
        .offset:         24
        .size:           8
        .value_kind:     global_buffer
      - .offset:         32
        .size:           8
        .value_kind:     by_value
      - .offset:         40
        .size:           4
        .value_kind:     by_value
      - .offset:         44
        .size:           4
        .value_kind:     by_value
      - .offset:         48
        .size:           4
        .value_kind:     by_value
      - .offset:         52
        .size:           4
        .value_kind:     by_value
      - .offset:         56
        .size:           4
        .value_kind:     by_value
      - .offset:         64
        .size:           4
        .value_kind:     hidden_block_count_x
      - .offset:         68
        .size:           4
        .value_kind:     hidden_block_count_y
      - .offset:         72
        .size:           4
        .value_kind:     hidden_block_count_z
      - .offset:         76
        .size:           2
        .value_kind:     hidden_group_size_x
      - .offset:         78
        .size:           2
        .value_kind:     hidden_group_size_y
      - .offset:         80
        .size:           2
        .value_kind:     hidden_group_size_z
      - .offset:         82
        .size:           2
        .value_kind:     hidden_remainder_x
      - .offset:         84
        .size:           2
        .value_kind:     hidden_remainder_y
      - .offset:         86
        .size:           2
        .value_kind:     hidden_remainder_z
      - .offset:         104
        .size:           8
        .value_kind:     hidden_global_offset_x
      - .offset:         112
        .size:           8
        .value_kind:     hidden_global_offset_y
      - .offset:         120
        .size:           8
        .value_kind:     hidden_global_offset_z
      - .offset:         128
        .size:           2
        .value_kind:     hidden_grid_dims
      - .offset:         184
        .size:           4
        .value_kind:     hidden_dynamic_lds_size
    .group_segment_fixed_size: 0
    .kernarg_segment_align: 8
    .kernarg_segment_size: 320
    .language:       OpenCL C
    .language_version:
      - 2
      - 0
    .max_flat_workgroup_size: 1024
    .name:           _ZN5aiter19grouped_topk_kernelIN3c108BFloat16EDv4_fLi1ELb0ELb1ELb0EEEvPT_PKS4_PfPimiiiif
    .private_segment_fixed_size: 0
    .sgpr_count:     34
    .sgpr_spill_count: 0
    .symbol:         _ZN5aiter19grouped_topk_kernelIN3c108BFloat16EDv4_fLi1ELb0ELb1ELb0EEEvPT_PKS4_PfPimiiiif.kd
    .uniform_work_group_size: 1
    .uses_dynamic_stack: false
    .vgpr_count:     38
    .vgpr_spill_count: 0
    .wavefront_size: 64
  - .agpr_count:     0
    .args:
      - .actual_access:  read_only
        .address_space:  global
        .offset:         0
        .size:           8
        .value_kind:     global_buffer
      - .actual_access:  read_only
        .address_space:  global
        .offset:         8
        .size:           8
        .value_kind:     global_buffer
      - .actual_access:  write_only
        .address_space:  global
        .offset:         16
        .size:           8
        .value_kind:     global_buffer
      - .actual_access:  write_only
        .address_space:  global
        .offset:         24
        .size:           8
        .value_kind:     global_buffer
      - .offset:         32
        .size:           8
        .value_kind:     by_value
      - .offset:         40
        .size:           4
        .value_kind:     by_value
      - .offset:         44
        .size:           4
        .value_kind:     by_value
      - .offset:         48
        .size:           4
        .value_kind:     by_value
      - .offset:         52
        .size:           4
        .value_kind:     by_value
      - .offset:         56
        .size:           4
        .value_kind:     by_value
      - .offset:         64
        .size:           4
        .value_kind:     hidden_block_count_x
      - .offset:         68
        .size:           4
        .value_kind:     hidden_block_count_y
      - .offset:         72
        .size:           4
        .value_kind:     hidden_block_count_z
      - .offset:         76
        .size:           2
        .value_kind:     hidden_group_size_x
      - .offset:         78
        .size:           2
        .value_kind:     hidden_group_size_y
      - .offset:         80
        .size:           2
        .value_kind:     hidden_group_size_z
      - .offset:         82
        .size:           2
        .value_kind:     hidden_remainder_x
      - .offset:         84
        .size:           2
        .value_kind:     hidden_remainder_y
      - .offset:         86
        .size:           2
        .value_kind:     hidden_remainder_z
      - .offset:         104
        .size:           8
        .value_kind:     hidden_global_offset_x
      - .offset:         112
        .size:           8
        .value_kind:     hidden_global_offset_y
      - .offset:         120
        .size:           8
        .value_kind:     hidden_global_offset_z
      - .offset:         128
        .size:           2
        .value_kind:     hidden_grid_dims
      - .offset:         184
        .size:           4
        .value_kind:     hidden_dynamic_lds_size
    .group_segment_fixed_size: 0
    .kernarg_segment_align: 8
    .kernarg_segment_size: 320
    .language:       OpenCL C
    .language_version:
      - 2
      - 0
    .max_flat_workgroup_size: 1024
    .name:           _ZN5aiter19grouped_topk_kernelIfDv4_fLi1ELb0ELb0ELb1EEEvPT_PKS2_PfPimiiiif
    .private_segment_fixed_size: 0
    .sgpr_count:     25
    .sgpr_spill_count: 0
    .symbol:         _ZN5aiter19grouped_topk_kernelIfDv4_fLi1ELb0ELb0ELb1EEEvPT_PKS2_PfPimiiiif.kd
    .uniform_work_group_size: 1
    .uses_dynamic_stack: false
    .vgpr_count:     18
    .vgpr_spill_count: 0
    .wavefront_size: 64
  - .agpr_count:     0
    .args:
      - .actual_access:  read_only
        .address_space:  global
        .offset:         0
        .size:           8
        .value_kind:     global_buffer
      - .actual_access:  read_only
        .address_space:  global
        .offset:         8
        .size:           8
        .value_kind:     global_buffer
      - .actual_access:  write_only
        .address_space:  global
        .offset:         16
        .size:           8
        .value_kind:     global_buffer
      - .actual_access:  write_only
        .address_space:  global
        .offset:         24
        .size:           8
        .value_kind:     global_buffer
      - .offset:         32
        .size:           8
        .value_kind:     by_value
      - .offset:         40
        .size:           4
        .value_kind:     by_value
      - .offset:         44
        .size:           4
        .value_kind:     by_value
      - .offset:         48
        .size:           4
        .value_kind:     by_value
      - .offset:         52
        .size:           4
        .value_kind:     by_value
      - .offset:         56
        .size:           4
        .value_kind:     by_value
      - .offset:         64
        .size:           4
        .value_kind:     hidden_block_count_x
      - .offset:         68
        .size:           4
        .value_kind:     hidden_block_count_y
      - .offset:         72
        .size:           4
        .value_kind:     hidden_block_count_z
      - .offset:         76
        .size:           2
        .value_kind:     hidden_group_size_x
      - .offset:         78
        .size:           2
        .value_kind:     hidden_group_size_y
      - .offset:         80
        .size:           2
        .value_kind:     hidden_group_size_z
      - .offset:         82
        .size:           2
        .value_kind:     hidden_remainder_x
      - .offset:         84
        .size:           2
        .value_kind:     hidden_remainder_y
      - .offset:         86
        .size:           2
        .value_kind:     hidden_remainder_z
      - .offset:         104
        .size:           8
        .value_kind:     hidden_global_offset_x
      - .offset:         112
        .size:           8
        .value_kind:     hidden_global_offset_y
      - .offset:         120
        .size:           8
        .value_kind:     hidden_global_offset_z
      - .offset:         128
        .size:           2
        .value_kind:     hidden_grid_dims
      - .offset:         184
        .size:           4
        .value_kind:     hidden_dynamic_lds_size
    .group_segment_fixed_size: 0
    .kernarg_segment_align: 8
    .kernarg_segment_size: 320
    .language:       OpenCL C
    .language_version:
      - 2
      - 0
    .max_flat_workgroup_size: 1024
    .name:           _ZN5aiter19grouped_topk_kernelIN3c104HalfEDv4_fLi1ELb0ELb0ELb1EEEvPT_PKS4_PfPimiiiif
    .private_segment_fixed_size: 0
    .sgpr_count:     25
    .sgpr_spill_count: 0
    .symbol:         _ZN5aiter19grouped_topk_kernelIN3c104HalfEDv4_fLi1ELb0ELb0ELb1EEEvPT_PKS4_PfPimiiiif.kd
    .uniform_work_group_size: 1
    .uses_dynamic_stack: false
    .vgpr_count:     18
    .vgpr_spill_count: 0
    .wavefront_size: 64
  - .agpr_count:     0
    .args:
      - .actual_access:  read_only
        .address_space:  global
        .offset:         0
        .size:           8
        .value_kind:     global_buffer
      - .actual_access:  read_only
        .address_space:  global
        .offset:         8
        .size:           8
        .value_kind:     global_buffer
      - .actual_access:  write_only
        .address_space:  global
        .offset:         16
        .size:           8
        .value_kind:     global_buffer
      - .actual_access:  write_only
        .address_space:  global
        .offset:         24
        .size:           8
        .value_kind:     global_buffer
      - .offset:         32
        .size:           8
        .value_kind:     by_value
      - .offset:         40
        .size:           4
        .value_kind:     by_value
      - .offset:         44
        .size:           4
        .value_kind:     by_value
      - .offset:         48
        .size:           4
        .value_kind:     by_value
      - .offset:         52
        .size:           4
        .value_kind:     by_value
      - .offset:         56
        .size:           4
        .value_kind:     by_value
      - .offset:         64
        .size:           4
        .value_kind:     hidden_block_count_x
      - .offset:         68
        .size:           4
        .value_kind:     hidden_block_count_y
      - .offset:         72
        .size:           4
        .value_kind:     hidden_block_count_z
      - .offset:         76
        .size:           2
        .value_kind:     hidden_group_size_x
      - .offset:         78
        .size:           2
        .value_kind:     hidden_group_size_y
      - .offset:         80
        .size:           2
        .value_kind:     hidden_group_size_z
      - .offset:         82
        .size:           2
        .value_kind:     hidden_remainder_x
      - .offset:         84
        .size:           2
        .value_kind:     hidden_remainder_y
      - .offset:         86
        .size:           2
        .value_kind:     hidden_remainder_z
      - .offset:         104
        .size:           8
        .value_kind:     hidden_global_offset_x
      - .offset:         112
        .size:           8
        .value_kind:     hidden_global_offset_y
      - .offset:         120
        .size:           8
        .value_kind:     hidden_global_offset_z
      - .offset:         128
        .size:           2
        .value_kind:     hidden_grid_dims
      - .offset:         184
        .size:           4
        .value_kind:     hidden_dynamic_lds_size
    .group_segment_fixed_size: 0
    .kernarg_segment_align: 8
    .kernarg_segment_size: 320
    .language:       OpenCL C
    .language_version:
      - 2
      - 0
    .max_flat_workgroup_size: 1024
    .name:           _ZN5aiter19grouped_topk_kernelIN3c108BFloat16EDv4_fLi1ELb0ELb0ELb1EEEvPT_PKS4_PfPimiiiif
    .private_segment_fixed_size: 0
    .sgpr_count:     25
    .sgpr_spill_count: 0
    .symbol:         _ZN5aiter19grouped_topk_kernelIN3c108BFloat16EDv4_fLi1ELb0ELb0ELb1EEEvPT_PKS4_PfPimiiiif.kd
    .uniform_work_group_size: 1
    .uses_dynamic_stack: false
    .vgpr_count:     18
    .vgpr_spill_count: 0
    .wavefront_size: 64
  - .agpr_count:     0
    .args:
      - .actual_access:  read_only
        .address_space:  global
        .offset:         0
        .size:           8
        .value_kind:     global_buffer
      - .actual_access:  read_only
        .address_space:  global
        .offset:         8
        .size:           8
        .value_kind:     global_buffer
      - .actual_access:  write_only
        .address_space:  global
        .offset:         16
        .size:           8
        .value_kind:     global_buffer
      - .actual_access:  write_only
        .address_space:  global
        .offset:         24
        .size:           8
        .value_kind:     global_buffer
      - .offset:         32
        .size:           8
        .value_kind:     by_value
      - .offset:         40
        .size:           4
        .value_kind:     by_value
      - .offset:         44
        .size:           4
        .value_kind:     by_value
      - .offset:         48
        .size:           4
        .value_kind:     by_value
      - .offset:         52
        .size:           4
        .value_kind:     by_value
      - .offset:         56
        .size:           4
        .value_kind:     by_value
      - .offset:         64
        .size:           4
        .value_kind:     hidden_block_count_x
      - .offset:         68
        .size:           4
        .value_kind:     hidden_block_count_y
      - .offset:         72
        .size:           4
        .value_kind:     hidden_block_count_z
      - .offset:         76
        .size:           2
        .value_kind:     hidden_group_size_x
      - .offset:         78
        .size:           2
        .value_kind:     hidden_group_size_y
      - .offset:         80
        .size:           2
        .value_kind:     hidden_group_size_z
      - .offset:         82
        .size:           2
        .value_kind:     hidden_remainder_x
      - .offset:         84
        .size:           2
        .value_kind:     hidden_remainder_y
      - .offset:         86
        .size:           2
        .value_kind:     hidden_remainder_z
      - .offset:         104
        .size:           8
        .value_kind:     hidden_global_offset_x
      - .offset:         112
        .size:           8
        .value_kind:     hidden_global_offset_y
      - .offset:         120
        .size:           8
        .value_kind:     hidden_global_offset_z
      - .offset:         128
        .size:           2
        .value_kind:     hidden_grid_dims
      - .offset:         184
        .size:           4
        .value_kind:     hidden_dynamic_lds_size
    .group_segment_fixed_size: 0
    .kernarg_segment_align: 8
    .kernarg_segment_size: 320
    .language:       OpenCL C
    .language_version:
      - 2
      - 0
    .max_flat_workgroup_size: 1024
    .name:           _ZN5aiter19grouped_topk_kernelIfDv4_fLi1ELb0ELb0ELb0EEEvPT_PKS2_PfPimiiiif
    .private_segment_fixed_size: 0
    .sgpr_count:     30
    .sgpr_spill_count: 0
    .symbol:         _ZN5aiter19grouped_topk_kernelIfDv4_fLi1ELb0ELb0ELb0EEEvPT_PKS2_PfPimiiiif.kd
    .uniform_work_group_size: 1
    .uses_dynamic_stack: false
    .vgpr_count:     31
    .vgpr_spill_count: 0
    .wavefront_size: 64
  - .agpr_count:     0
    .args:
      - .actual_access:  read_only
        .address_space:  global
        .offset:         0
        .size:           8
        .value_kind:     global_buffer
      - .actual_access:  read_only
        .address_space:  global
        .offset:         8
        .size:           8
        .value_kind:     global_buffer
      - .actual_access:  write_only
        .address_space:  global
        .offset:         16
        .size:           8
        .value_kind:     global_buffer
      - .actual_access:  write_only
        .address_space:  global
        .offset:         24
        .size:           8
        .value_kind:     global_buffer
      - .offset:         32
        .size:           8
        .value_kind:     by_value
      - .offset:         40
        .size:           4
        .value_kind:     by_value
      - .offset:         44
        .size:           4
        .value_kind:     by_value
      - .offset:         48
        .size:           4
        .value_kind:     by_value
      - .offset:         52
        .size:           4
        .value_kind:     by_value
      - .offset:         56
        .size:           4
        .value_kind:     by_value
      - .offset:         64
        .size:           4
        .value_kind:     hidden_block_count_x
      - .offset:         68
        .size:           4
        .value_kind:     hidden_block_count_y
      - .offset:         72
        .size:           4
        .value_kind:     hidden_block_count_z
      - .offset:         76
        .size:           2
        .value_kind:     hidden_group_size_x
      - .offset:         78
        .size:           2
        .value_kind:     hidden_group_size_y
      - .offset:         80
        .size:           2
        .value_kind:     hidden_group_size_z
      - .offset:         82
        .size:           2
        .value_kind:     hidden_remainder_x
      - .offset:         84
        .size:           2
        .value_kind:     hidden_remainder_y
      - .offset:         86
        .size:           2
        .value_kind:     hidden_remainder_z
      - .offset:         104
        .size:           8
        .value_kind:     hidden_global_offset_x
      - .offset:         112
        .size:           8
        .value_kind:     hidden_global_offset_y
      - .offset:         120
        .size:           8
        .value_kind:     hidden_global_offset_z
      - .offset:         128
        .size:           2
        .value_kind:     hidden_grid_dims
      - .offset:         184
        .size:           4
        .value_kind:     hidden_dynamic_lds_size
    .group_segment_fixed_size: 0
    .kernarg_segment_align: 8
    .kernarg_segment_size: 320
    .language:       OpenCL C
    .language_version:
      - 2
      - 0
    .max_flat_workgroup_size: 1024
    .name:           _ZN5aiter19grouped_topk_kernelIN3c104HalfEDv4_fLi1ELb0ELb0ELb0EEEvPT_PKS4_PfPimiiiif
    .private_segment_fixed_size: 0
    .sgpr_count:     32
    .sgpr_spill_count: 0
    .symbol:         _ZN5aiter19grouped_topk_kernelIN3c104HalfEDv4_fLi1ELb0ELb0ELb0EEEvPT_PKS4_PfPimiiiif.kd
    .uniform_work_group_size: 1
    .uses_dynamic_stack: false
    .vgpr_count:     32
    .vgpr_spill_count: 0
    .wavefront_size: 64
  - .agpr_count:     0
    .args:
      - .actual_access:  read_only
        .address_space:  global
        .offset:         0
        .size:           8
        .value_kind:     global_buffer
      - .actual_access:  read_only
        .address_space:  global
        .offset:         8
        .size:           8
        .value_kind:     global_buffer
      - .actual_access:  write_only
        .address_space:  global
        .offset:         16
        .size:           8
        .value_kind:     global_buffer
      - .actual_access:  write_only
        .address_space:  global
        .offset:         24
        .size:           8
        .value_kind:     global_buffer
      - .offset:         32
        .size:           8
        .value_kind:     by_value
      - .offset:         40
        .size:           4
        .value_kind:     by_value
      - .offset:         44
        .size:           4
        .value_kind:     by_value
      - .offset:         48
        .size:           4
        .value_kind:     by_value
      - .offset:         52
        .size:           4
        .value_kind:     by_value
      - .offset:         56
        .size:           4
        .value_kind:     by_value
      - .offset:         64
        .size:           4
        .value_kind:     hidden_block_count_x
      - .offset:         68
        .size:           4
        .value_kind:     hidden_block_count_y
      - .offset:         72
        .size:           4
        .value_kind:     hidden_block_count_z
      - .offset:         76
        .size:           2
        .value_kind:     hidden_group_size_x
      - .offset:         78
        .size:           2
        .value_kind:     hidden_group_size_y
      - .offset:         80
        .size:           2
        .value_kind:     hidden_group_size_z
      - .offset:         82
        .size:           2
        .value_kind:     hidden_remainder_x
      - .offset:         84
        .size:           2
        .value_kind:     hidden_remainder_y
      - .offset:         86
        .size:           2
        .value_kind:     hidden_remainder_z
      - .offset:         104
        .size:           8
        .value_kind:     hidden_global_offset_x
      - .offset:         112
        .size:           8
        .value_kind:     hidden_global_offset_y
      - .offset:         120
        .size:           8
        .value_kind:     hidden_global_offset_z
      - .offset:         128
        .size:           2
        .value_kind:     hidden_grid_dims
      - .offset:         184
        .size:           4
        .value_kind:     hidden_dynamic_lds_size
    .group_segment_fixed_size: 0
    .kernarg_segment_align: 8
    .kernarg_segment_size: 320
    .language:       OpenCL C
    .language_version:
      - 2
      - 0
    .max_flat_workgroup_size: 1024
    .name:           _ZN5aiter19grouped_topk_kernelIN3c108BFloat16EDv4_fLi1ELb0ELb0ELb0EEEvPT_PKS4_PfPimiiiif
    .private_segment_fixed_size: 0
    .sgpr_count:     31
    .sgpr_spill_count: 0
    .symbol:         _ZN5aiter19grouped_topk_kernelIN3c108BFloat16EDv4_fLi1ELb0ELb0ELb0EEEvPT_PKS4_PfPimiiiif.kd
    .uniform_work_group_size: 1
    .uses_dynamic_stack: false
    .vgpr_count:     32
    .vgpr_spill_count: 0
    .wavefront_size: 64
  - .agpr_count:     0
    .args:
      - .actual_access:  read_only
        .address_space:  global
        .offset:         0
        .size:           8
        .value_kind:     global_buffer
      - .actual_access:  read_only
        .address_space:  global
        .offset:         8
        .size:           8
        .value_kind:     global_buffer
      - .actual_access:  write_only
        .address_space:  global
        .offset:         16
        .size:           8
        .value_kind:     global_buffer
      - .actual_access:  write_only
        .address_space:  global
        .offset:         24
        .size:           8
        .value_kind:     global_buffer
      - .offset:         32
        .size:           8
        .value_kind:     by_value
      - .offset:         40
        .size:           4
        .value_kind:     by_value
      - .offset:         44
        .size:           4
        .value_kind:     by_value
      - .offset:         48
        .size:           4
        .value_kind:     by_value
      - .offset:         52
        .size:           4
        .value_kind:     by_value
      - .offset:         56
        .size:           4
        .value_kind:     by_value
    .group_segment_fixed_size: 0
    .kernarg_segment_align: 8
    .kernarg_segment_size: 60
    .language:       OpenCL C
    .language_version:
      - 2
      - 0
    .max_flat_workgroup_size: 1024
    .name:           _ZN5aiter28grouped_topk_opt_sort_kernelIfDv2_fLi8ELb1ELb1ELb0EEEvPT_PKS2_PfPimiiiif
    .private_segment_fixed_size: 0
    .sgpr_count:     24
    .sgpr_spill_count: 0
    .symbol:         _ZN5aiter28grouped_topk_opt_sort_kernelIfDv2_fLi8ELb1ELb1ELb0EEEvPT_PKS2_PfPimiiiif.kd
    .uniform_work_group_size: 1
    .uses_dynamic_stack: false
    .vgpr_count:     28
    .vgpr_spill_count: 0
    .wavefront_size: 64
  - .agpr_count:     0
    .args:
      - .actual_access:  read_only
        .address_space:  global
        .offset:         0
        .size:           8
        .value_kind:     global_buffer
      - .actual_access:  read_only
        .address_space:  global
        .offset:         8
        .size:           8
        .value_kind:     global_buffer
      - .actual_access:  write_only
        .address_space:  global
        .offset:         16
        .size:           8
        .value_kind:     global_buffer
      - .actual_access:  write_only
        .address_space:  global
        .offset:         24
        .size:           8
        .value_kind:     global_buffer
      - .offset:         32
        .size:           8
        .value_kind:     by_value
      - .offset:         40
        .size:           4
        .value_kind:     by_value
      - .offset:         44
        .size:           4
        .value_kind:     by_value
      - .offset:         48
        .size:           4
        .value_kind:     by_value
      - .offset:         52
        .size:           4
        .value_kind:     by_value
      - .offset:         56
        .size:           4
        .value_kind:     by_value
    .group_segment_fixed_size: 0
    .kernarg_segment_align: 8
    .kernarg_segment_size: 60
    .language:       OpenCL C
    .language_version:
      - 2
      - 0
    .max_flat_workgroup_size: 1024
    .name:           _ZN5aiter28grouped_topk_opt_sort_kernelIN3c104HalfEDv2_fLi8ELb1ELb1ELb0EEEvPT_PKS4_PfPimiiiif
    .private_segment_fixed_size: 0
    .sgpr_count:     24
    .sgpr_spill_count: 0
    .symbol:         _ZN5aiter28grouped_topk_opt_sort_kernelIN3c104HalfEDv2_fLi8ELb1ELb1ELb0EEEvPT_PKS4_PfPimiiiif.kd
    .uniform_work_group_size: 1
    .uses_dynamic_stack: false
    .vgpr_count:     29
    .vgpr_spill_count: 0
    .wavefront_size: 64
  - .agpr_count:     0
    .args:
      - .actual_access:  read_only
        .address_space:  global
        .offset:         0
        .size:           8
        .value_kind:     global_buffer
      - .actual_access:  read_only
        .address_space:  global
        .offset:         8
        .size:           8
        .value_kind:     global_buffer
      - .actual_access:  write_only
        .address_space:  global
        .offset:         16
        .size:           8
        .value_kind:     global_buffer
      - .actual_access:  write_only
        .address_space:  global
        .offset:         24
        .size:           8
        .value_kind:     global_buffer
      - .offset:         32
        .size:           8
        .value_kind:     by_value
      - .offset:         40
        .size:           4
        .value_kind:     by_value
      - .offset:         44
        .size:           4
        .value_kind:     by_value
      - .offset:         48
        .size:           4
        .value_kind:     by_value
      - .offset:         52
        .size:           4
        .value_kind:     by_value
      - .offset:         56
        .size:           4
        .value_kind:     by_value
    .group_segment_fixed_size: 0
    .kernarg_segment_align: 8
    .kernarg_segment_size: 60
    .language:       OpenCL C
    .language_version:
      - 2
      - 0
    .max_flat_workgroup_size: 1024
    .name:           _ZN5aiter28grouped_topk_opt_sort_kernelIN3c108BFloat16EDv2_fLi8ELb1ELb1ELb0EEEvPT_PKS4_PfPimiiiif
    .private_segment_fixed_size: 0
    .sgpr_count:     24
    .sgpr_spill_count: 0
    .symbol:         _ZN5aiter28grouped_topk_opt_sort_kernelIN3c108BFloat16EDv2_fLi8ELb1ELb1ELb0EEEvPT_PKS4_PfPimiiiif.kd
    .uniform_work_group_size: 1
    .uses_dynamic_stack: false
    .vgpr_count:     29
    .vgpr_spill_count: 0
    .wavefront_size: 64
  - .agpr_count:     0
    .args:
      - .actual_access:  read_only
        .address_space:  global
        .offset:         0
        .size:           8
        .value_kind:     global_buffer
      - .actual_access:  read_only
        .address_space:  global
        .offset:         8
        .size:           8
        .value_kind:     global_buffer
      - .actual_access:  write_only
        .address_space:  global
        .offset:         16
        .size:           8
        .value_kind:     global_buffer
      - .actual_access:  write_only
        .address_space:  global
        .offset:         24
        .size:           8
        .value_kind:     global_buffer
      - .offset:         32
        .size:           8
        .value_kind:     by_value
      - .offset:         40
        .size:           4
        .value_kind:     by_value
      - .offset:         44
        .size:           4
        .value_kind:     by_value
      - .offset:         48
        .size:           4
        .value_kind:     by_value
      - .offset:         52
        .size:           4
        .value_kind:     by_value
      - .offset:         56
        .size:           4
        .value_kind:     by_value
      - .offset:         64
        .size:           4
        .value_kind:     hidden_block_count_x
      - .offset:         68
        .size:           4
        .value_kind:     hidden_block_count_y
      - .offset:         72
        .size:           4
        .value_kind:     hidden_block_count_z
      - .offset:         76
        .size:           2
        .value_kind:     hidden_group_size_x
      - .offset:         78
        .size:           2
        .value_kind:     hidden_group_size_y
      - .offset:         80
        .size:           2
        .value_kind:     hidden_group_size_z
      - .offset:         82
        .size:           2
        .value_kind:     hidden_remainder_x
      - .offset:         84
        .size:           2
        .value_kind:     hidden_remainder_y
      - .offset:         86
        .size:           2
        .value_kind:     hidden_remainder_z
      - .offset:         104
        .size:           8
        .value_kind:     hidden_global_offset_x
      - .offset:         112
        .size:           8
        .value_kind:     hidden_global_offset_y
      - .offset:         120
        .size:           8
        .value_kind:     hidden_global_offset_z
      - .offset:         128
        .size:           2
        .value_kind:     hidden_grid_dims
      - .offset:         184
        .size:           4
        .value_kind:     hidden_dynamic_lds_size
    .group_segment_fixed_size: 0
    .kernarg_segment_align: 8
    .kernarg_segment_size: 320
    .language:       OpenCL C
    .language_version:
      - 2
      - 0
    .max_flat_workgroup_size: 1024
    .name:           _ZN5aiter19grouped_topk_kernelIfDv2_fLi8ELb1ELb1ELb0EEEvPT_PKS2_PfPimiiiif
    .private_segment_fixed_size: 0
    .sgpr_count:     35
    .sgpr_spill_count: 0
    .symbol:         _ZN5aiter19grouped_topk_kernelIfDv2_fLi8ELb1ELb1ELb0EEEvPT_PKS2_PfPimiiiif.kd
    .uniform_work_group_size: 1
    .uses_dynamic_stack: false
    .vgpr_count:     23
    .vgpr_spill_count: 0
    .wavefront_size: 64
  - .agpr_count:     0
    .args:
      - .actual_access:  read_only
        .address_space:  global
        .offset:         0
        .size:           8
        .value_kind:     global_buffer
      - .actual_access:  read_only
        .address_space:  global
        .offset:         8
        .size:           8
        .value_kind:     global_buffer
      - .actual_access:  write_only
        .address_space:  global
        .offset:         16
        .size:           8
        .value_kind:     global_buffer
      - .actual_access:  write_only
        .address_space:  global
        .offset:         24
        .size:           8
        .value_kind:     global_buffer
      - .offset:         32
        .size:           8
        .value_kind:     by_value
      - .offset:         40
        .size:           4
        .value_kind:     by_value
      - .offset:         44
        .size:           4
        .value_kind:     by_value
      - .offset:         48
        .size:           4
        .value_kind:     by_value
      - .offset:         52
        .size:           4
        .value_kind:     by_value
      - .offset:         56
        .size:           4
        .value_kind:     by_value
      - .offset:         64
        .size:           4
        .value_kind:     hidden_block_count_x
      - .offset:         68
        .size:           4
        .value_kind:     hidden_block_count_y
      - .offset:         72
        .size:           4
        .value_kind:     hidden_block_count_z
      - .offset:         76
        .size:           2
        .value_kind:     hidden_group_size_x
      - .offset:         78
        .size:           2
        .value_kind:     hidden_group_size_y
      - .offset:         80
        .size:           2
        .value_kind:     hidden_group_size_z
      - .offset:         82
        .size:           2
        .value_kind:     hidden_remainder_x
      - .offset:         84
        .size:           2
        .value_kind:     hidden_remainder_y
      - .offset:         86
        .size:           2
        .value_kind:     hidden_remainder_z
      - .offset:         104
        .size:           8
        .value_kind:     hidden_global_offset_x
      - .offset:         112
        .size:           8
        .value_kind:     hidden_global_offset_y
      - .offset:         120
        .size:           8
        .value_kind:     hidden_global_offset_z
      - .offset:         128
        .size:           2
        .value_kind:     hidden_grid_dims
      - .offset:         184
        .size:           4
        .value_kind:     hidden_dynamic_lds_size
    .group_segment_fixed_size: 0
    .kernarg_segment_align: 8
    .kernarg_segment_size: 320
    .language:       OpenCL C
    .language_version:
      - 2
      - 0
    .max_flat_workgroup_size: 1024
    .name:           _ZN5aiter19grouped_topk_kernelIN3c104HalfEDv2_fLi8ELb1ELb1ELb0EEEvPT_PKS4_PfPimiiiif
    .private_segment_fixed_size: 0
    .sgpr_count:     35
    .sgpr_spill_count: 0
    .symbol:         _ZN5aiter19grouped_topk_kernelIN3c104HalfEDv2_fLi8ELb1ELb1ELb0EEEvPT_PKS4_PfPimiiiif.kd
    .uniform_work_group_size: 1
    .uses_dynamic_stack: false
    .vgpr_count:     24
    .vgpr_spill_count: 0
    .wavefront_size: 64
  - .agpr_count:     0
    .args:
      - .actual_access:  read_only
        .address_space:  global
        .offset:         0
        .size:           8
        .value_kind:     global_buffer
      - .actual_access:  read_only
        .address_space:  global
        .offset:         8
        .size:           8
        .value_kind:     global_buffer
      - .actual_access:  write_only
        .address_space:  global
        .offset:         16
        .size:           8
        .value_kind:     global_buffer
      - .actual_access:  write_only
        .address_space:  global
        .offset:         24
        .size:           8
        .value_kind:     global_buffer
      - .offset:         32
        .size:           8
        .value_kind:     by_value
      - .offset:         40
        .size:           4
        .value_kind:     by_value
      - .offset:         44
        .size:           4
        .value_kind:     by_value
      - .offset:         48
        .size:           4
        .value_kind:     by_value
      - .offset:         52
        .size:           4
        .value_kind:     by_value
      - .offset:         56
        .size:           4
        .value_kind:     by_value
      - .offset:         64
        .size:           4
        .value_kind:     hidden_block_count_x
      - .offset:         68
        .size:           4
        .value_kind:     hidden_block_count_y
      - .offset:         72
        .size:           4
        .value_kind:     hidden_block_count_z
      - .offset:         76
        .size:           2
        .value_kind:     hidden_group_size_x
      - .offset:         78
        .size:           2
        .value_kind:     hidden_group_size_y
      - .offset:         80
        .size:           2
        .value_kind:     hidden_group_size_z
      - .offset:         82
        .size:           2
        .value_kind:     hidden_remainder_x
      - .offset:         84
        .size:           2
        .value_kind:     hidden_remainder_y
      - .offset:         86
        .size:           2
        .value_kind:     hidden_remainder_z
      - .offset:         104
        .size:           8
        .value_kind:     hidden_global_offset_x
      - .offset:         112
        .size:           8
        .value_kind:     hidden_global_offset_y
      - .offset:         120
        .size:           8
        .value_kind:     hidden_global_offset_z
      - .offset:         128
        .size:           2
        .value_kind:     hidden_grid_dims
      - .offset:         184
        .size:           4
        .value_kind:     hidden_dynamic_lds_size
    .group_segment_fixed_size: 0
    .kernarg_segment_align: 8
    .kernarg_segment_size: 320
    .language:       OpenCL C
    .language_version:
      - 2
      - 0
    .max_flat_workgroup_size: 1024
    .name:           _ZN5aiter19grouped_topk_kernelIN3c108BFloat16EDv2_fLi8ELb1ELb1ELb0EEEvPT_PKS4_PfPimiiiif
    .private_segment_fixed_size: 0
    .sgpr_count:     35
    .sgpr_spill_count: 0
    .symbol:         _ZN5aiter19grouped_topk_kernelIN3c108BFloat16EDv2_fLi8ELb1ELb1ELb0EEEvPT_PKS4_PfPimiiiif.kd
    .uniform_work_group_size: 1
    .uses_dynamic_stack: false
    .vgpr_count:     24
    .vgpr_spill_count: 0
    .wavefront_size: 64
  - .agpr_count:     0
    .args:
      - .actual_access:  read_only
        .address_space:  global
        .offset:         0
        .size:           8
        .value_kind:     global_buffer
      - .actual_access:  read_only
        .address_space:  global
        .offset:         8
        .size:           8
        .value_kind:     global_buffer
      - .actual_access:  write_only
        .address_space:  global
        .offset:         16
        .size:           8
        .value_kind:     global_buffer
      - .actual_access:  write_only
        .address_space:  global
        .offset:         24
        .size:           8
        .value_kind:     global_buffer
      - .offset:         32
        .size:           8
        .value_kind:     by_value
      - .offset:         40
        .size:           4
        .value_kind:     by_value
      - .offset:         44
        .size:           4
        .value_kind:     by_value
      - .offset:         48
        .size:           4
        .value_kind:     by_value
      - .offset:         52
        .size:           4
        .value_kind:     by_value
      - .offset:         56
        .size:           4
        .value_kind:     by_value
      - .offset:         64
        .size:           4
        .value_kind:     hidden_block_count_x
      - .offset:         68
        .size:           4
        .value_kind:     hidden_block_count_y
      - .offset:         72
        .size:           4
        .value_kind:     hidden_block_count_z
      - .offset:         76
        .size:           2
        .value_kind:     hidden_group_size_x
      - .offset:         78
        .size:           2
        .value_kind:     hidden_group_size_y
      - .offset:         80
        .size:           2
        .value_kind:     hidden_group_size_z
      - .offset:         82
        .size:           2
        .value_kind:     hidden_remainder_x
      - .offset:         84
        .size:           2
        .value_kind:     hidden_remainder_y
      - .offset:         86
        .size:           2
        .value_kind:     hidden_remainder_z
      - .offset:         104
        .size:           8
        .value_kind:     hidden_global_offset_x
      - .offset:         112
        .size:           8
        .value_kind:     hidden_global_offset_y
      - .offset:         120
        .size:           8
        .value_kind:     hidden_global_offset_z
      - .offset:         128
        .size:           2
        .value_kind:     hidden_grid_dims
      - .offset:         184
        .size:           4
        .value_kind:     hidden_dynamic_lds_size
    .group_segment_fixed_size: 0
    .kernarg_segment_align: 8
    .kernarg_segment_size: 320
    .language:       OpenCL C
    .language_version:
      - 2
      - 0
    .max_flat_workgroup_size: 1024
    .name:           _ZN5aiter19grouped_topk_kernelIfDv2_fLi8ELb1ELb0ELb1EEEvPT_PKS2_PfPimiiiif
    .private_segment_fixed_size: 0
    .sgpr_count:     28
    .sgpr_spill_count: 0
    .symbol:         _ZN5aiter19grouped_topk_kernelIfDv2_fLi8ELb1ELb0ELb1EEEvPT_PKS2_PfPimiiiif.kd
    .uniform_work_group_size: 1
    .uses_dynamic_stack: false
    .vgpr_count:     15
    .vgpr_spill_count: 0
    .wavefront_size: 64
  - .agpr_count:     0
    .args:
      - .actual_access:  read_only
        .address_space:  global
        .offset:         0
        .size:           8
        .value_kind:     global_buffer
      - .actual_access:  read_only
        .address_space:  global
        .offset:         8
        .size:           8
        .value_kind:     global_buffer
      - .actual_access:  write_only
        .address_space:  global
        .offset:         16
        .size:           8
        .value_kind:     global_buffer
      - .actual_access:  write_only
        .address_space:  global
        .offset:         24
        .size:           8
        .value_kind:     global_buffer
      - .offset:         32
        .size:           8
        .value_kind:     by_value
      - .offset:         40
        .size:           4
        .value_kind:     by_value
      - .offset:         44
        .size:           4
        .value_kind:     by_value
      - .offset:         48
        .size:           4
        .value_kind:     by_value
      - .offset:         52
        .size:           4
        .value_kind:     by_value
      - .offset:         56
        .size:           4
        .value_kind:     by_value
      - .offset:         64
        .size:           4
        .value_kind:     hidden_block_count_x
      - .offset:         68
        .size:           4
        .value_kind:     hidden_block_count_y
      - .offset:         72
        .size:           4
        .value_kind:     hidden_block_count_z
      - .offset:         76
        .size:           2
        .value_kind:     hidden_group_size_x
      - .offset:         78
        .size:           2
        .value_kind:     hidden_group_size_y
      - .offset:         80
        .size:           2
        .value_kind:     hidden_group_size_z
      - .offset:         82
        .size:           2
        .value_kind:     hidden_remainder_x
      - .offset:         84
        .size:           2
        .value_kind:     hidden_remainder_y
      - .offset:         86
        .size:           2
        .value_kind:     hidden_remainder_z
      - .offset:         104
        .size:           8
        .value_kind:     hidden_global_offset_x
      - .offset:         112
        .size:           8
        .value_kind:     hidden_global_offset_y
      - .offset:         120
        .size:           8
        .value_kind:     hidden_global_offset_z
      - .offset:         128
        .size:           2
        .value_kind:     hidden_grid_dims
      - .offset:         184
        .size:           4
        .value_kind:     hidden_dynamic_lds_size
    .group_segment_fixed_size: 0
    .kernarg_segment_align: 8
    .kernarg_segment_size: 320
    .language:       OpenCL C
    .language_version:
      - 2
      - 0
    .max_flat_workgroup_size: 1024
    .name:           _ZN5aiter19grouped_topk_kernelIN3c104HalfEDv2_fLi8ELb1ELb0ELb1EEEvPT_PKS4_PfPimiiiif
    .private_segment_fixed_size: 0
    .sgpr_count:     28
    .sgpr_spill_count: 0
    .symbol:         _ZN5aiter19grouped_topk_kernelIN3c104HalfEDv2_fLi8ELb1ELb0ELb1EEEvPT_PKS4_PfPimiiiif.kd
    .uniform_work_group_size: 1
    .uses_dynamic_stack: false
    .vgpr_count:     15
    .vgpr_spill_count: 0
    .wavefront_size: 64
  - .agpr_count:     0
    .args:
      - .actual_access:  read_only
        .address_space:  global
        .offset:         0
        .size:           8
        .value_kind:     global_buffer
      - .actual_access:  read_only
        .address_space:  global
        .offset:         8
        .size:           8
        .value_kind:     global_buffer
      - .actual_access:  write_only
        .address_space:  global
        .offset:         16
        .size:           8
        .value_kind:     global_buffer
      - .actual_access:  write_only
        .address_space:  global
        .offset:         24
        .size:           8
        .value_kind:     global_buffer
      - .offset:         32
        .size:           8
        .value_kind:     by_value
      - .offset:         40
        .size:           4
        .value_kind:     by_value
      - .offset:         44
        .size:           4
        .value_kind:     by_value
      - .offset:         48
        .size:           4
        .value_kind:     by_value
      - .offset:         52
        .size:           4
        .value_kind:     by_value
      - .offset:         56
        .size:           4
        .value_kind:     by_value
      - .offset:         64
        .size:           4
        .value_kind:     hidden_block_count_x
      - .offset:         68
        .size:           4
        .value_kind:     hidden_block_count_y
      - .offset:         72
        .size:           4
        .value_kind:     hidden_block_count_z
      - .offset:         76
        .size:           2
        .value_kind:     hidden_group_size_x
      - .offset:         78
        .size:           2
        .value_kind:     hidden_group_size_y
      - .offset:         80
        .size:           2
        .value_kind:     hidden_group_size_z
      - .offset:         82
        .size:           2
        .value_kind:     hidden_remainder_x
      - .offset:         84
        .size:           2
        .value_kind:     hidden_remainder_y
      - .offset:         86
        .size:           2
        .value_kind:     hidden_remainder_z
      - .offset:         104
        .size:           8
        .value_kind:     hidden_global_offset_x
      - .offset:         112
        .size:           8
        .value_kind:     hidden_global_offset_y
      - .offset:         120
        .size:           8
        .value_kind:     hidden_global_offset_z
      - .offset:         128
        .size:           2
        .value_kind:     hidden_grid_dims
      - .offset:         184
        .size:           4
        .value_kind:     hidden_dynamic_lds_size
    .group_segment_fixed_size: 0
    .kernarg_segment_align: 8
    .kernarg_segment_size: 320
    .language:       OpenCL C
    .language_version:
      - 2
      - 0
    .max_flat_workgroup_size: 1024
    .name:           _ZN5aiter19grouped_topk_kernelIN3c108BFloat16EDv2_fLi8ELb1ELb0ELb1EEEvPT_PKS4_PfPimiiiif
    .private_segment_fixed_size: 0
    .sgpr_count:     28
    .sgpr_spill_count: 0
    .symbol:         _ZN5aiter19grouped_topk_kernelIN3c108BFloat16EDv2_fLi8ELb1ELb0ELb1EEEvPT_PKS4_PfPimiiiif.kd
    .uniform_work_group_size: 1
    .uses_dynamic_stack: false
    .vgpr_count:     15
    .vgpr_spill_count: 0
    .wavefront_size: 64
  - .agpr_count:     0
    .args:
      - .actual_access:  read_only
        .address_space:  global
        .offset:         0
        .size:           8
        .value_kind:     global_buffer
      - .actual_access:  read_only
        .address_space:  global
        .offset:         8
        .size:           8
        .value_kind:     global_buffer
      - .actual_access:  write_only
        .address_space:  global
        .offset:         16
        .size:           8
        .value_kind:     global_buffer
      - .actual_access:  write_only
        .address_space:  global
        .offset:         24
        .size:           8
        .value_kind:     global_buffer
      - .offset:         32
        .size:           8
        .value_kind:     by_value
      - .offset:         40
        .size:           4
        .value_kind:     by_value
      - .offset:         44
        .size:           4
        .value_kind:     by_value
      - .offset:         48
        .size:           4
        .value_kind:     by_value
      - .offset:         52
        .size:           4
        .value_kind:     by_value
      - .offset:         56
        .size:           4
        .value_kind:     by_value
      - .offset:         64
        .size:           4
        .value_kind:     hidden_block_count_x
      - .offset:         68
        .size:           4
        .value_kind:     hidden_block_count_y
      - .offset:         72
        .size:           4
        .value_kind:     hidden_block_count_z
      - .offset:         76
        .size:           2
        .value_kind:     hidden_group_size_x
      - .offset:         78
        .size:           2
        .value_kind:     hidden_group_size_y
      - .offset:         80
        .size:           2
        .value_kind:     hidden_group_size_z
      - .offset:         82
        .size:           2
        .value_kind:     hidden_remainder_x
      - .offset:         84
        .size:           2
        .value_kind:     hidden_remainder_y
      - .offset:         86
        .size:           2
        .value_kind:     hidden_remainder_z
      - .offset:         104
        .size:           8
        .value_kind:     hidden_global_offset_x
      - .offset:         112
        .size:           8
        .value_kind:     hidden_global_offset_y
      - .offset:         120
        .size:           8
        .value_kind:     hidden_global_offset_z
      - .offset:         128
        .size:           2
        .value_kind:     hidden_grid_dims
      - .offset:         184
        .size:           4
        .value_kind:     hidden_dynamic_lds_size
    .group_segment_fixed_size: 0
    .kernarg_segment_align: 8
    .kernarg_segment_size: 320
    .language:       OpenCL C
    .language_version:
      - 2
      - 0
    .max_flat_workgroup_size: 1024
    .name:           _ZN5aiter19grouped_topk_kernelIfDv2_fLi8ELb1ELb0ELb0EEEvPT_PKS2_PfPimiiiif
    .private_segment_fixed_size: 0
    .sgpr_count:     29
    .sgpr_spill_count: 0
    .symbol:         _ZN5aiter19grouped_topk_kernelIfDv2_fLi8ELb1ELb0ELb0EEEvPT_PKS2_PfPimiiiif.kd
    .uniform_work_group_size: 1
    .uses_dynamic_stack: false
    .vgpr_count:     19
    .vgpr_spill_count: 0
    .wavefront_size: 64
  - .agpr_count:     0
    .args:
      - .actual_access:  read_only
        .address_space:  global
        .offset:         0
        .size:           8
        .value_kind:     global_buffer
      - .actual_access:  read_only
        .address_space:  global
        .offset:         8
        .size:           8
        .value_kind:     global_buffer
      - .actual_access:  write_only
        .address_space:  global
        .offset:         16
        .size:           8
        .value_kind:     global_buffer
      - .actual_access:  write_only
        .address_space:  global
        .offset:         24
        .size:           8
        .value_kind:     global_buffer
      - .offset:         32
        .size:           8
        .value_kind:     by_value
      - .offset:         40
        .size:           4
        .value_kind:     by_value
      - .offset:         44
        .size:           4
        .value_kind:     by_value
      - .offset:         48
        .size:           4
        .value_kind:     by_value
      - .offset:         52
        .size:           4
        .value_kind:     by_value
      - .offset:         56
        .size:           4
        .value_kind:     by_value
      - .offset:         64
        .size:           4
        .value_kind:     hidden_block_count_x
      - .offset:         68
        .size:           4
        .value_kind:     hidden_block_count_y
      - .offset:         72
        .size:           4
        .value_kind:     hidden_block_count_z
      - .offset:         76
        .size:           2
        .value_kind:     hidden_group_size_x
      - .offset:         78
        .size:           2
        .value_kind:     hidden_group_size_y
      - .offset:         80
        .size:           2
        .value_kind:     hidden_group_size_z
      - .offset:         82
        .size:           2
        .value_kind:     hidden_remainder_x
      - .offset:         84
        .size:           2
        .value_kind:     hidden_remainder_y
      - .offset:         86
        .size:           2
        .value_kind:     hidden_remainder_z
      - .offset:         104
        .size:           8
        .value_kind:     hidden_global_offset_x
      - .offset:         112
        .size:           8
        .value_kind:     hidden_global_offset_y
      - .offset:         120
        .size:           8
        .value_kind:     hidden_global_offset_z
      - .offset:         128
        .size:           2
        .value_kind:     hidden_grid_dims
      - .offset:         184
        .size:           4
        .value_kind:     hidden_dynamic_lds_size
    .group_segment_fixed_size: 0
    .kernarg_segment_align: 8
    .kernarg_segment_size: 320
    .language:       OpenCL C
    .language_version:
      - 2
      - 0
    .max_flat_workgroup_size: 1024
    .name:           _ZN5aiter19grouped_topk_kernelIN3c104HalfEDv2_fLi8ELb1ELb0ELb0EEEvPT_PKS4_PfPimiiiif
    .private_segment_fixed_size: 0
    .sgpr_count:     31
    .sgpr_spill_count: 0
    .symbol:         _ZN5aiter19grouped_topk_kernelIN3c104HalfEDv2_fLi8ELb1ELb0ELb0EEEvPT_PKS4_PfPimiiiif.kd
    .uniform_work_group_size: 1
    .uses_dynamic_stack: false
    .vgpr_count:     20
    .vgpr_spill_count: 0
    .wavefront_size: 64
  - .agpr_count:     0
    .args:
      - .actual_access:  read_only
        .address_space:  global
        .offset:         0
        .size:           8
        .value_kind:     global_buffer
      - .actual_access:  read_only
        .address_space:  global
        .offset:         8
        .size:           8
        .value_kind:     global_buffer
      - .actual_access:  write_only
        .address_space:  global
        .offset:         16
        .size:           8
        .value_kind:     global_buffer
      - .actual_access:  write_only
        .address_space:  global
        .offset:         24
        .size:           8
        .value_kind:     global_buffer
      - .offset:         32
        .size:           8
        .value_kind:     by_value
      - .offset:         40
        .size:           4
        .value_kind:     by_value
      - .offset:         44
        .size:           4
        .value_kind:     by_value
      - .offset:         48
        .size:           4
        .value_kind:     by_value
      - .offset:         52
        .size:           4
        .value_kind:     by_value
      - .offset:         56
        .size:           4
        .value_kind:     by_value
      - .offset:         64
        .size:           4
        .value_kind:     hidden_block_count_x
      - .offset:         68
        .size:           4
        .value_kind:     hidden_block_count_y
      - .offset:         72
        .size:           4
        .value_kind:     hidden_block_count_z
      - .offset:         76
        .size:           2
        .value_kind:     hidden_group_size_x
      - .offset:         78
        .size:           2
        .value_kind:     hidden_group_size_y
      - .offset:         80
        .size:           2
        .value_kind:     hidden_group_size_z
      - .offset:         82
        .size:           2
        .value_kind:     hidden_remainder_x
      - .offset:         84
        .size:           2
        .value_kind:     hidden_remainder_y
      - .offset:         86
        .size:           2
        .value_kind:     hidden_remainder_z
      - .offset:         104
        .size:           8
        .value_kind:     hidden_global_offset_x
      - .offset:         112
        .size:           8
        .value_kind:     hidden_global_offset_y
      - .offset:         120
        .size:           8
        .value_kind:     hidden_global_offset_z
      - .offset:         128
        .size:           2
        .value_kind:     hidden_grid_dims
      - .offset:         184
        .size:           4
        .value_kind:     hidden_dynamic_lds_size
    .group_segment_fixed_size: 0
    .kernarg_segment_align: 8
    .kernarg_segment_size: 320
    .language:       OpenCL C
    .language_version:
      - 2
      - 0
    .max_flat_workgroup_size: 1024
    .name:           _ZN5aiter19grouped_topk_kernelIN3c108BFloat16EDv2_fLi8ELb1ELb0ELb0EEEvPT_PKS4_PfPimiiiif
    .private_segment_fixed_size: 0
    .sgpr_count:     30
    .sgpr_spill_count: 0
    .symbol:         _ZN5aiter19grouped_topk_kernelIN3c108BFloat16EDv2_fLi8ELb1ELb0ELb0EEEvPT_PKS4_PfPimiiiif.kd
    .uniform_work_group_size: 1
    .uses_dynamic_stack: false
    .vgpr_count:     20
    .vgpr_spill_count: 0
    .wavefront_size: 64
  - .agpr_count:     0
    .args:
      - .actual_access:  read_only
        .address_space:  global
        .offset:         0
        .size:           8
        .value_kind:     global_buffer
      - .actual_access:  read_only
        .address_space:  global
        .offset:         8
        .size:           8
        .value_kind:     global_buffer
      - .actual_access:  write_only
        .address_space:  global
        .offset:         16
        .size:           8
        .value_kind:     global_buffer
      - .actual_access:  write_only
        .address_space:  global
        .offset:         24
        .size:           8
        .value_kind:     global_buffer
      - .offset:         32
        .size:           8
        .value_kind:     by_value
      - .offset:         40
        .size:           4
        .value_kind:     by_value
      - .offset:         44
        .size:           4
        .value_kind:     by_value
      - .offset:         48
        .size:           4
        .value_kind:     by_value
      - .offset:         52
        .size:           4
        .value_kind:     by_value
      - .offset:         56
        .size:           4
        .value_kind:     by_value
    .group_segment_fixed_size: 0
    .kernarg_segment_align: 8
    .kernarg_segment_size: 60
    .language:       OpenCL C
    .language_version:
      - 2
      - 0
    .max_flat_workgroup_size: 1024
    .name:           _ZN5aiter28grouped_topk_opt_sort_kernelIfDv2_fLi8ELb0ELb1ELb0EEEvPT_PKS2_PfPimiiiif
    .private_segment_fixed_size: 0
    .sgpr_count:     24
    .sgpr_spill_count: 0
    .symbol:         _ZN5aiter28grouped_topk_opt_sort_kernelIfDv2_fLi8ELb0ELb1ELb0EEEvPT_PKS2_PfPimiiiif.kd
    .uniform_work_group_size: 1
    .uses_dynamic_stack: false
    .vgpr_count:     28
    .vgpr_spill_count: 0
    .wavefront_size: 64
  - .agpr_count:     0
    .args:
      - .actual_access:  read_only
        .address_space:  global
        .offset:         0
        .size:           8
        .value_kind:     global_buffer
      - .actual_access:  read_only
        .address_space:  global
        .offset:         8
        .size:           8
        .value_kind:     global_buffer
      - .actual_access:  write_only
        .address_space:  global
        .offset:         16
        .size:           8
        .value_kind:     global_buffer
      - .actual_access:  write_only
        .address_space:  global
        .offset:         24
        .size:           8
        .value_kind:     global_buffer
      - .offset:         32
        .size:           8
        .value_kind:     by_value
      - .offset:         40
        .size:           4
        .value_kind:     by_value
      - .offset:         44
        .size:           4
        .value_kind:     by_value
      - .offset:         48
        .size:           4
        .value_kind:     by_value
      - .offset:         52
        .size:           4
        .value_kind:     by_value
      - .offset:         56
        .size:           4
        .value_kind:     by_value
    .group_segment_fixed_size: 0
    .kernarg_segment_align: 8
    .kernarg_segment_size: 60
    .language:       OpenCL C
    .language_version:
      - 2
      - 0
    .max_flat_workgroup_size: 1024
    .name:           _ZN5aiter28grouped_topk_opt_sort_kernelIN3c104HalfEDv2_fLi8ELb0ELb1ELb0EEEvPT_PKS4_PfPimiiiif
    .private_segment_fixed_size: 0
    .sgpr_count:     24
    .sgpr_spill_count: 0
    .symbol:         _ZN5aiter28grouped_topk_opt_sort_kernelIN3c104HalfEDv2_fLi8ELb0ELb1ELb0EEEvPT_PKS4_PfPimiiiif.kd
    .uniform_work_group_size: 1
    .uses_dynamic_stack: false
    .vgpr_count:     29
    .vgpr_spill_count: 0
    .wavefront_size: 64
  - .agpr_count:     0
    .args:
      - .actual_access:  read_only
        .address_space:  global
        .offset:         0
        .size:           8
        .value_kind:     global_buffer
      - .actual_access:  read_only
        .address_space:  global
        .offset:         8
        .size:           8
        .value_kind:     global_buffer
      - .actual_access:  write_only
        .address_space:  global
        .offset:         16
        .size:           8
        .value_kind:     global_buffer
      - .actual_access:  write_only
        .address_space:  global
        .offset:         24
        .size:           8
        .value_kind:     global_buffer
      - .offset:         32
        .size:           8
        .value_kind:     by_value
      - .offset:         40
        .size:           4
        .value_kind:     by_value
      - .offset:         44
        .size:           4
        .value_kind:     by_value
      - .offset:         48
        .size:           4
        .value_kind:     by_value
      - .offset:         52
        .size:           4
        .value_kind:     by_value
      - .offset:         56
        .size:           4
        .value_kind:     by_value
    .group_segment_fixed_size: 0
    .kernarg_segment_align: 8
    .kernarg_segment_size: 60
    .language:       OpenCL C
    .language_version:
      - 2
      - 0
    .max_flat_workgroup_size: 1024
    .name:           _ZN5aiter28grouped_topk_opt_sort_kernelIN3c108BFloat16EDv2_fLi8ELb0ELb1ELb0EEEvPT_PKS4_PfPimiiiif
    .private_segment_fixed_size: 0
    .sgpr_count:     24
    .sgpr_spill_count: 0
    .symbol:         _ZN5aiter28grouped_topk_opt_sort_kernelIN3c108BFloat16EDv2_fLi8ELb0ELb1ELb0EEEvPT_PKS4_PfPimiiiif.kd
    .uniform_work_group_size: 1
    .uses_dynamic_stack: false
    .vgpr_count:     29
    .vgpr_spill_count: 0
    .wavefront_size: 64
  - .agpr_count:     0
    .args:
      - .actual_access:  read_only
        .address_space:  global
        .offset:         0
        .size:           8
        .value_kind:     global_buffer
      - .actual_access:  read_only
        .address_space:  global
        .offset:         8
        .size:           8
        .value_kind:     global_buffer
      - .actual_access:  write_only
        .address_space:  global
        .offset:         16
        .size:           8
        .value_kind:     global_buffer
      - .actual_access:  write_only
        .address_space:  global
        .offset:         24
        .size:           8
        .value_kind:     global_buffer
      - .offset:         32
        .size:           8
        .value_kind:     by_value
      - .offset:         40
        .size:           4
        .value_kind:     by_value
      - .offset:         44
        .size:           4
        .value_kind:     by_value
      - .offset:         48
        .size:           4
        .value_kind:     by_value
      - .offset:         52
        .size:           4
        .value_kind:     by_value
      - .offset:         56
        .size:           4
        .value_kind:     by_value
      - .offset:         64
        .size:           4
        .value_kind:     hidden_block_count_x
      - .offset:         68
        .size:           4
        .value_kind:     hidden_block_count_y
      - .offset:         72
        .size:           4
        .value_kind:     hidden_block_count_z
      - .offset:         76
        .size:           2
        .value_kind:     hidden_group_size_x
      - .offset:         78
        .size:           2
        .value_kind:     hidden_group_size_y
      - .offset:         80
        .size:           2
        .value_kind:     hidden_group_size_z
      - .offset:         82
        .size:           2
        .value_kind:     hidden_remainder_x
      - .offset:         84
        .size:           2
        .value_kind:     hidden_remainder_y
      - .offset:         86
        .size:           2
        .value_kind:     hidden_remainder_z
      - .offset:         104
        .size:           8
        .value_kind:     hidden_global_offset_x
      - .offset:         112
        .size:           8
        .value_kind:     hidden_global_offset_y
      - .offset:         120
        .size:           8
        .value_kind:     hidden_global_offset_z
      - .offset:         128
        .size:           2
        .value_kind:     hidden_grid_dims
      - .offset:         184
        .size:           4
        .value_kind:     hidden_dynamic_lds_size
    .group_segment_fixed_size: 0
    .kernarg_segment_align: 8
    .kernarg_segment_size: 320
    .language:       OpenCL C
    .language_version:
      - 2
      - 0
    .max_flat_workgroup_size: 1024
    .name:           _ZN5aiter19grouped_topk_kernelIfDv2_fLi8ELb0ELb1ELb0EEEvPT_PKS2_PfPimiiiif
    .private_segment_fixed_size: 0
    .sgpr_count:     35
    .sgpr_spill_count: 0
    .symbol:         _ZN5aiter19grouped_topk_kernelIfDv2_fLi8ELb0ELb1ELb0EEEvPT_PKS2_PfPimiiiif.kd
    .uniform_work_group_size: 1
    .uses_dynamic_stack: false
    .vgpr_count:     23
    .vgpr_spill_count: 0
    .wavefront_size: 64
  - .agpr_count:     0
    .args:
      - .actual_access:  read_only
        .address_space:  global
        .offset:         0
        .size:           8
        .value_kind:     global_buffer
      - .actual_access:  read_only
        .address_space:  global
        .offset:         8
        .size:           8
        .value_kind:     global_buffer
      - .actual_access:  write_only
        .address_space:  global
        .offset:         16
        .size:           8
        .value_kind:     global_buffer
      - .actual_access:  write_only
        .address_space:  global
        .offset:         24
        .size:           8
        .value_kind:     global_buffer
      - .offset:         32
        .size:           8
        .value_kind:     by_value
      - .offset:         40
        .size:           4
        .value_kind:     by_value
      - .offset:         44
        .size:           4
        .value_kind:     by_value
      - .offset:         48
        .size:           4
        .value_kind:     by_value
      - .offset:         52
        .size:           4
        .value_kind:     by_value
      - .offset:         56
        .size:           4
        .value_kind:     by_value
      - .offset:         64
        .size:           4
        .value_kind:     hidden_block_count_x
      - .offset:         68
        .size:           4
        .value_kind:     hidden_block_count_y
      - .offset:         72
        .size:           4
        .value_kind:     hidden_block_count_z
      - .offset:         76
        .size:           2
        .value_kind:     hidden_group_size_x
      - .offset:         78
        .size:           2
        .value_kind:     hidden_group_size_y
      - .offset:         80
        .size:           2
        .value_kind:     hidden_group_size_z
      - .offset:         82
        .size:           2
        .value_kind:     hidden_remainder_x
      - .offset:         84
        .size:           2
        .value_kind:     hidden_remainder_y
      - .offset:         86
        .size:           2
        .value_kind:     hidden_remainder_z
      - .offset:         104
        .size:           8
        .value_kind:     hidden_global_offset_x
      - .offset:         112
        .size:           8
        .value_kind:     hidden_global_offset_y
      - .offset:         120
        .size:           8
        .value_kind:     hidden_global_offset_z
      - .offset:         128
        .size:           2
        .value_kind:     hidden_grid_dims
      - .offset:         184
        .size:           4
        .value_kind:     hidden_dynamic_lds_size
    .group_segment_fixed_size: 0
    .kernarg_segment_align: 8
    .kernarg_segment_size: 320
    .language:       OpenCL C
    .language_version:
      - 2
      - 0
    .max_flat_workgroup_size: 1024
    .name:           _ZN5aiter19grouped_topk_kernelIN3c104HalfEDv2_fLi8ELb0ELb1ELb0EEEvPT_PKS4_PfPimiiiif
    .private_segment_fixed_size: 0
    .sgpr_count:     35
    .sgpr_spill_count: 0
    .symbol:         _ZN5aiter19grouped_topk_kernelIN3c104HalfEDv2_fLi8ELb0ELb1ELb0EEEvPT_PKS4_PfPimiiiif.kd
    .uniform_work_group_size: 1
    .uses_dynamic_stack: false
    .vgpr_count:     24
    .vgpr_spill_count: 0
    .wavefront_size: 64
  - .agpr_count:     0
    .args:
      - .actual_access:  read_only
        .address_space:  global
        .offset:         0
        .size:           8
        .value_kind:     global_buffer
      - .actual_access:  read_only
        .address_space:  global
        .offset:         8
        .size:           8
        .value_kind:     global_buffer
      - .actual_access:  write_only
        .address_space:  global
        .offset:         16
        .size:           8
        .value_kind:     global_buffer
      - .actual_access:  write_only
        .address_space:  global
        .offset:         24
        .size:           8
        .value_kind:     global_buffer
      - .offset:         32
        .size:           8
        .value_kind:     by_value
      - .offset:         40
        .size:           4
        .value_kind:     by_value
      - .offset:         44
        .size:           4
        .value_kind:     by_value
      - .offset:         48
        .size:           4
        .value_kind:     by_value
      - .offset:         52
        .size:           4
        .value_kind:     by_value
      - .offset:         56
        .size:           4
        .value_kind:     by_value
      - .offset:         64
        .size:           4
        .value_kind:     hidden_block_count_x
      - .offset:         68
        .size:           4
        .value_kind:     hidden_block_count_y
      - .offset:         72
        .size:           4
        .value_kind:     hidden_block_count_z
      - .offset:         76
        .size:           2
        .value_kind:     hidden_group_size_x
      - .offset:         78
        .size:           2
        .value_kind:     hidden_group_size_y
      - .offset:         80
        .size:           2
        .value_kind:     hidden_group_size_z
      - .offset:         82
        .size:           2
        .value_kind:     hidden_remainder_x
      - .offset:         84
        .size:           2
        .value_kind:     hidden_remainder_y
      - .offset:         86
        .size:           2
        .value_kind:     hidden_remainder_z
      - .offset:         104
        .size:           8
        .value_kind:     hidden_global_offset_x
      - .offset:         112
        .size:           8
        .value_kind:     hidden_global_offset_y
      - .offset:         120
        .size:           8
        .value_kind:     hidden_global_offset_z
      - .offset:         128
        .size:           2
        .value_kind:     hidden_grid_dims
      - .offset:         184
        .size:           4
        .value_kind:     hidden_dynamic_lds_size
    .group_segment_fixed_size: 0
    .kernarg_segment_align: 8
    .kernarg_segment_size: 320
    .language:       OpenCL C
    .language_version:
      - 2
      - 0
    .max_flat_workgroup_size: 1024
    .name:           _ZN5aiter19grouped_topk_kernelIN3c108BFloat16EDv2_fLi8ELb0ELb1ELb0EEEvPT_PKS4_PfPimiiiif
    .private_segment_fixed_size: 0
    .sgpr_count:     35
    .sgpr_spill_count: 0
    .symbol:         _ZN5aiter19grouped_topk_kernelIN3c108BFloat16EDv2_fLi8ELb0ELb1ELb0EEEvPT_PKS4_PfPimiiiif.kd
    .uniform_work_group_size: 1
    .uses_dynamic_stack: false
    .vgpr_count:     24
    .vgpr_spill_count: 0
    .wavefront_size: 64
  - .agpr_count:     0
    .args:
      - .actual_access:  read_only
        .address_space:  global
        .offset:         0
        .size:           8
        .value_kind:     global_buffer
      - .actual_access:  read_only
        .address_space:  global
        .offset:         8
        .size:           8
        .value_kind:     global_buffer
      - .actual_access:  write_only
        .address_space:  global
        .offset:         16
        .size:           8
        .value_kind:     global_buffer
      - .actual_access:  write_only
        .address_space:  global
        .offset:         24
        .size:           8
        .value_kind:     global_buffer
      - .offset:         32
        .size:           8
        .value_kind:     by_value
      - .offset:         40
        .size:           4
        .value_kind:     by_value
      - .offset:         44
        .size:           4
        .value_kind:     by_value
      - .offset:         48
        .size:           4
        .value_kind:     by_value
      - .offset:         52
        .size:           4
        .value_kind:     by_value
      - .offset:         56
        .size:           4
        .value_kind:     by_value
      - .offset:         64
        .size:           4
        .value_kind:     hidden_block_count_x
      - .offset:         68
        .size:           4
        .value_kind:     hidden_block_count_y
      - .offset:         72
        .size:           4
        .value_kind:     hidden_block_count_z
      - .offset:         76
        .size:           2
        .value_kind:     hidden_group_size_x
      - .offset:         78
        .size:           2
        .value_kind:     hidden_group_size_y
      - .offset:         80
        .size:           2
        .value_kind:     hidden_group_size_z
      - .offset:         82
        .size:           2
        .value_kind:     hidden_remainder_x
      - .offset:         84
        .size:           2
        .value_kind:     hidden_remainder_y
      - .offset:         86
        .size:           2
        .value_kind:     hidden_remainder_z
      - .offset:         104
        .size:           8
        .value_kind:     hidden_global_offset_x
      - .offset:         112
        .size:           8
        .value_kind:     hidden_global_offset_y
      - .offset:         120
        .size:           8
        .value_kind:     hidden_global_offset_z
      - .offset:         128
        .size:           2
        .value_kind:     hidden_grid_dims
      - .offset:         184
        .size:           4
        .value_kind:     hidden_dynamic_lds_size
    .group_segment_fixed_size: 0
    .kernarg_segment_align: 8
    .kernarg_segment_size: 320
    .language:       OpenCL C
    .language_version:
      - 2
      - 0
    .max_flat_workgroup_size: 1024
    .name:           _ZN5aiter19grouped_topk_kernelIfDv2_fLi8ELb0ELb0ELb1EEEvPT_PKS2_PfPimiiiif
    .private_segment_fixed_size: 0
    .sgpr_count:     28
    .sgpr_spill_count: 0
    .symbol:         _ZN5aiter19grouped_topk_kernelIfDv2_fLi8ELb0ELb0ELb1EEEvPT_PKS2_PfPimiiiif.kd
    .uniform_work_group_size: 1
    .uses_dynamic_stack: false
    .vgpr_count:     14
    .vgpr_spill_count: 0
    .wavefront_size: 64
  - .agpr_count:     0
    .args:
      - .actual_access:  read_only
        .address_space:  global
        .offset:         0
        .size:           8
        .value_kind:     global_buffer
      - .actual_access:  read_only
        .address_space:  global
        .offset:         8
        .size:           8
        .value_kind:     global_buffer
      - .actual_access:  write_only
        .address_space:  global
        .offset:         16
        .size:           8
        .value_kind:     global_buffer
      - .actual_access:  write_only
        .address_space:  global
        .offset:         24
        .size:           8
        .value_kind:     global_buffer
      - .offset:         32
        .size:           8
        .value_kind:     by_value
      - .offset:         40
        .size:           4
        .value_kind:     by_value
      - .offset:         44
        .size:           4
        .value_kind:     by_value
      - .offset:         48
        .size:           4
        .value_kind:     by_value
      - .offset:         52
        .size:           4
        .value_kind:     by_value
      - .offset:         56
        .size:           4
        .value_kind:     by_value
      - .offset:         64
        .size:           4
        .value_kind:     hidden_block_count_x
      - .offset:         68
        .size:           4
        .value_kind:     hidden_block_count_y
      - .offset:         72
        .size:           4
        .value_kind:     hidden_block_count_z
      - .offset:         76
        .size:           2
        .value_kind:     hidden_group_size_x
      - .offset:         78
        .size:           2
        .value_kind:     hidden_group_size_y
      - .offset:         80
        .size:           2
        .value_kind:     hidden_group_size_z
      - .offset:         82
        .size:           2
        .value_kind:     hidden_remainder_x
      - .offset:         84
        .size:           2
        .value_kind:     hidden_remainder_y
      - .offset:         86
        .size:           2
        .value_kind:     hidden_remainder_z
      - .offset:         104
        .size:           8
        .value_kind:     hidden_global_offset_x
      - .offset:         112
        .size:           8
        .value_kind:     hidden_global_offset_y
      - .offset:         120
        .size:           8
        .value_kind:     hidden_global_offset_z
      - .offset:         128
        .size:           2
        .value_kind:     hidden_grid_dims
      - .offset:         184
        .size:           4
        .value_kind:     hidden_dynamic_lds_size
    .group_segment_fixed_size: 0
    .kernarg_segment_align: 8
    .kernarg_segment_size: 320
    .language:       OpenCL C
    .language_version:
      - 2
      - 0
    .max_flat_workgroup_size: 1024
    .name:           _ZN5aiter19grouped_topk_kernelIN3c104HalfEDv2_fLi8ELb0ELb0ELb1EEEvPT_PKS4_PfPimiiiif
    .private_segment_fixed_size: 0
    .sgpr_count:     28
    .sgpr_spill_count: 0
    .symbol:         _ZN5aiter19grouped_topk_kernelIN3c104HalfEDv2_fLi8ELb0ELb0ELb1EEEvPT_PKS4_PfPimiiiif.kd
    .uniform_work_group_size: 1
    .uses_dynamic_stack: false
    .vgpr_count:     14
    .vgpr_spill_count: 0
    .wavefront_size: 64
  - .agpr_count:     0
    .args:
      - .actual_access:  read_only
        .address_space:  global
        .offset:         0
        .size:           8
        .value_kind:     global_buffer
      - .actual_access:  read_only
        .address_space:  global
        .offset:         8
        .size:           8
        .value_kind:     global_buffer
      - .actual_access:  write_only
        .address_space:  global
        .offset:         16
        .size:           8
        .value_kind:     global_buffer
      - .actual_access:  write_only
        .address_space:  global
        .offset:         24
        .size:           8
        .value_kind:     global_buffer
      - .offset:         32
        .size:           8
        .value_kind:     by_value
      - .offset:         40
        .size:           4
        .value_kind:     by_value
      - .offset:         44
        .size:           4
        .value_kind:     by_value
      - .offset:         48
        .size:           4
        .value_kind:     by_value
      - .offset:         52
        .size:           4
        .value_kind:     by_value
      - .offset:         56
        .size:           4
        .value_kind:     by_value
      - .offset:         64
        .size:           4
        .value_kind:     hidden_block_count_x
      - .offset:         68
        .size:           4
        .value_kind:     hidden_block_count_y
      - .offset:         72
        .size:           4
        .value_kind:     hidden_block_count_z
      - .offset:         76
        .size:           2
        .value_kind:     hidden_group_size_x
      - .offset:         78
        .size:           2
        .value_kind:     hidden_group_size_y
      - .offset:         80
        .size:           2
        .value_kind:     hidden_group_size_z
      - .offset:         82
        .size:           2
        .value_kind:     hidden_remainder_x
      - .offset:         84
        .size:           2
        .value_kind:     hidden_remainder_y
      - .offset:         86
        .size:           2
        .value_kind:     hidden_remainder_z
      - .offset:         104
        .size:           8
        .value_kind:     hidden_global_offset_x
      - .offset:         112
        .size:           8
        .value_kind:     hidden_global_offset_y
      - .offset:         120
        .size:           8
        .value_kind:     hidden_global_offset_z
      - .offset:         128
        .size:           2
        .value_kind:     hidden_grid_dims
      - .offset:         184
        .size:           4
        .value_kind:     hidden_dynamic_lds_size
    .group_segment_fixed_size: 0
    .kernarg_segment_align: 8
    .kernarg_segment_size: 320
    .language:       OpenCL C
    .language_version:
      - 2
      - 0
    .max_flat_workgroup_size: 1024
    .name:           _ZN5aiter19grouped_topk_kernelIN3c108BFloat16EDv2_fLi8ELb0ELb0ELb1EEEvPT_PKS4_PfPimiiiif
    .private_segment_fixed_size: 0
    .sgpr_count:     28
    .sgpr_spill_count: 0
    .symbol:         _ZN5aiter19grouped_topk_kernelIN3c108BFloat16EDv2_fLi8ELb0ELb0ELb1EEEvPT_PKS4_PfPimiiiif.kd
    .uniform_work_group_size: 1
    .uses_dynamic_stack: false
    .vgpr_count:     14
    .vgpr_spill_count: 0
    .wavefront_size: 64
  - .agpr_count:     0
    .args:
      - .actual_access:  read_only
        .address_space:  global
        .offset:         0
        .size:           8
        .value_kind:     global_buffer
      - .actual_access:  read_only
        .address_space:  global
        .offset:         8
        .size:           8
        .value_kind:     global_buffer
      - .actual_access:  write_only
        .address_space:  global
        .offset:         16
        .size:           8
        .value_kind:     global_buffer
      - .actual_access:  write_only
        .address_space:  global
        .offset:         24
        .size:           8
        .value_kind:     global_buffer
      - .offset:         32
        .size:           8
        .value_kind:     by_value
      - .offset:         40
        .size:           4
        .value_kind:     by_value
      - .offset:         44
        .size:           4
        .value_kind:     by_value
      - .offset:         48
        .size:           4
        .value_kind:     by_value
      - .offset:         52
        .size:           4
        .value_kind:     by_value
      - .offset:         56
        .size:           4
        .value_kind:     by_value
      - .offset:         64
        .size:           4
        .value_kind:     hidden_block_count_x
      - .offset:         68
        .size:           4
        .value_kind:     hidden_block_count_y
      - .offset:         72
        .size:           4
        .value_kind:     hidden_block_count_z
      - .offset:         76
        .size:           2
        .value_kind:     hidden_group_size_x
      - .offset:         78
        .size:           2
        .value_kind:     hidden_group_size_y
      - .offset:         80
        .size:           2
        .value_kind:     hidden_group_size_z
      - .offset:         82
        .size:           2
        .value_kind:     hidden_remainder_x
      - .offset:         84
        .size:           2
        .value_kind:     hidden_remainder_y
      - .offset:         86
        .size:           2
        .value_kind:     hidden_remainder_z
      - .offset:         104
        .size:           8
        .value_kind:     hidden_global_offset_x
      - .offset:         112
        .size:           8
        .value_kind:     hidden_global_offset_y
      - .offset:         120
        .size:           8
        .value_kind:     hidden_global_offset_z
      - .offset:         128
        .size:           2
        .value_kind:     hidden_grid_dims
      - .offset:         184
        .size:           4
        .value_kind:     hidden_dynamic_lds_size
    .group_segment_fixed_size: 0
    .kernarg_segment_align: 8
    .kernarg_segment_size: 320
    .language:       OpenCL C
    .language_version:
      - 2
      - 0
    .max_flat_workgroup_size: 1024
    .name:           _ZN5aiter19grouped_topk_kernelIfDv2_fLi8ELb0ELb0ELb0EEEvPT_PKS2_PfPimiiiif
    .private_segment_fixed_size: 0
    .sgpr_count:     29
    .sgpr_spill_count: 0
    .symbol:         _ZN5aiter19grouped_topk_kernelIfDv2_fLi8ELb0ELb0ELb0EEEvPT_PKS2_PfPimiiiif.kd
    .uniform_work_group_size: 1
    .uses_dynamic_stack: false
    .vgpr_count:     19
    .vgpr_spill_count: 0
    .wavefront_size: 64
  - .agpr_count:     0
    .args:
      - .actual_access:  read_only
        .address_space:  global
        .offset:         0
        .size:           8
        .value_kind:     global_buffer
      - .actual_access:  read_only
        .address_space:  global
        .offset:         8
        .size:           8
        .value_kind:     global_buffer
      - .actual_access:  write_only
        .address_space:  global
        .offset:         16
        .size:           8
        .value_kind:     global_buffer
      - .actual_access:  write_only
        .address_space:  global
        .offset:         24
        .size:           8
        .value_kind:     global_buffer
      - .offset:         32
        .size:           8
        .value_kind:     by_value
      - .offset:         40
        .size:           4
        .value_kind:     by_value
      - .offset:         44
        .size:           4
        .value_kind:     by_value
      - .offset:         48
        .size:           4
        .value_kind:     by_value
      - .offset:         52
        .size:           4
        .value_kind:     by_value
      - .offset:         56
        .size:           4
        .value_kind:     by_value
      - .offset:         64
        .size:           4
        .value_kind:     hidden_block_count_x
      - .offset:         68
        .size:           4
        .value_kind:     hidden_block_count_y
      - .offset:         72
        .size:           4
        .value_kind:     hidden_block_count_z
      - .offset:         76
        .size:           2
        .value_kind:     hidden_group_size_x
      - .offset:         78
        .size:           2
        .value_kind:     hidden_group_size_y
      - .offset:         80
        .size:           2
        .value_kind:     hidden_group_size_z
      - .offset:         82
        .size:           2
        .value_kind:     hidden_remainder_x
      - .offset:         84
        .size:           2
        .value_kind:     hidden_remainder_y
      - .offset:         86
        .size:           2
        .value_kind:     hidden_remainder_z
      - .offset:         104
        .size:           8
        .value_kind:     hidden_global_offset_x
      - .offset:         112
        .size:           8
        .value_kind:     hidden_global_offset_y
      - .offset:         120
        .size:           8
        .value_kind:     hidden_global_offset_z
      - .offset:         128
        .size:           2
        .value_kind:     hidden_grid_dims
      - .offset:         184
        .size:           4
        .value_kind:     hidden_dynamic_lds_size
    .group_segment_fixed_size: 0
    .kernarg_segment_align: 8
    .kernarg_segment_size: 320
    .language:       OpenCL C
    .language_version:
      - 2
      - 0
    .max_flat_workgroup_size: 1024
    .name:           _ZN5aiter19grouped_topk_kernelIN3c104HalfEDv2_fLi8ELb0ELb0ELb0EEEvPT_PKS4_PfPimiiiif
    .private_segment_fixed_size: 0
    .sgpr_count:     31
    .sgpr_spill_count: 0
    .symbol:         _ZN5aiter19grouped_topk_kernelIN3c104HalfEDv2_fLi8ELb0ELb0ELb0EEEvPT_PKS4_PfPimiiiif.kd
    .uniform_work_group_size: 1
    .uses_dynamic_stack: false
    .vgpr_count:     20
    .vgpr_spill_count: 0
    .wavefront_size: 64
  - .agpr_count:     0
    .args:
      - .actual_access:  read_only
        .address_space:  global
        .offset:         0
        .size:           8
        .value_kind:     global_buffer
      - .actual_access:  read_only
        .address_space:  global
        .offset:         8
        .size:           8
        .value_kind:     global_buffer
      - .actual_access:  write_only
        .address_space:  global
        .offset:         16
        .size:           8
        .value_kind:     global_buffer
      - .actual_access:  write_only
        .address_space:  global
        .offset:         24
        .size:           8
        .value_kind:     global_buffer
      - .offset:         32
        .size:           8
        .value_kind:     by_value
      - .offset:         40
        .size:           4
        .value_kind:     by_value
      - .offset:         44
        .size:           4
        .value_kind:     by_value
      - .offset:         48
        .size:           4
        .value_kind:     by_value
      - .offset:         52
        .size:           4
        .value_kind:     by_value
      - .offset:         56
        .size:           4
        .value_kind:     by_value
      - .offset:         64
        .size:           4
        .value_kind:     hidden_block_count_x
      - .offset:         68
        .size:           4
        .value_kind:     hidden_block_count_y
      - .offset:         72
        .size:           4
        .value_kind:     hidden_block_count_z
      - .offset:         76
        .size:           2
        .value_kind:     hidden_group_size_x
      - .offset:         78
        .size:           2
        .value_kind:     hidden_group_size_y
      - .offset:         80
        .size:           2
        .value_kind:     hidden_group_size_z
      - .offset:         82
        .size:           2
        .value_kind:     hidden_remainder_x
      - .offset:         84
        .size:           2
        .value_kind:     hidden_remainder_y
      - .offset:         86
        .size:           2
        .value_kind:     hidden_remainder_z
      - .offset:         104
        .size:           8
        .value_kind:     hidden_global_offset_x
      - .offset:         112
        .size:           8
        .value_kind:     hidden_global_offset_y
      - .offset:         120
        .size:           8
        .value_kind:     hidden_global_offset_z
      - .offset:         128
        .size:           2
        .value_kind:     hidden_grid_dims
      - .offset:         184
        .size:           4
        .value_kind:     hidden_dynamic_lds_size
    .group_segment_fixed_size: 0
    .kernarg_segment_align: 8
    .kernarg_segment_size: 320
    .language:       OpenCL C
    .language_version:
      - 2
      - 0
    .max_flat_workgroup_size: 1024
    .name:           _ZN5aiter19grouped_topk_kernelIN3c108BFloat16EDv2_fLi8ELb0ELb0ELb0EEEvPT_PKS4_PfPimiiiif
    .private_segment_fixed_size: 0
    .sgpr_count:     30
    .sgpr_spill_count: 0
    .symbol:         _ZN5aiter19grouped_topk_kernelIN3c108BFloat16EDv2_fLi8ELb0ELb0ELb0EEEvPT_PKS4_PfPimiiiif.kd
    .uniform_work_group_size: 1
    .uses_dynamic_stack: false
    .vgpr_count:     20
    .vgpr_spill_count: 0
    .wavefront_size: 64
  - .agpr_count:     0
    .args:
      - .actual_access:  read_only
        .address_space:  global
        .offset:         0
        .size:           8
        .value_kind:     global_buffer
      - .actual_access:  read_only
        .address_space:  global
        .offset:         8
        .size:           8
        .value_kind:     global_buffer
      - .actual_access:  read_only
        .address_space:  global
        .offset:         16
        .size:           8
        .value_kind:     global_buffer
      - .actual_access:  read_only
        .address_space:  global
        .offset:         24
        .size:           8
        .value_kind:     global_buffer
      - .offset:         32
        .size:           8
        .value_kind:     by_value
      - .offset:         40
        .size:           4
        .value_kind:     by_value
      - .offset:         44
        .size:           4
        .value_kind:     by_value
      - .offset:         48
        .size:           4
        .value_kind:     by_value
      - .offset:         52
        .size:           4
        .value_kind:     by_value
      - .offset:         56
        .size:           4
        .value_kind:     by_value
    .group_segment_fixed_size: 0
    .kernarg_segment_align: 8
    .kernarg_segment_size: 60
    .language:       OpenCL C
    .language_version:
      - 2
      - 0
    .max_flat_workgroup_size: 1024
    .name:           _ZN5aiter28grouped_topk_opt_sort_kernelIfDv2_fLi4ELb1ELb1ELb0EEEvPT_PKS2_PfPimiiiif
    .private_segment_fixed_size: 0
    .sgpr_count:     13
    .sgpr_spill_count: 0
    .symbol:         _ZN5aiter28grouped_topk_opt_sort_kernelIfDv2_fLi4ELb1ELb1ELb0EEEvPT_PKS2_PfPimiiiif.kd
    .uniform_work_group_size: 1
    .uses_dynamic_stack: false
    .vgpr_count:     17
    .vgpr_spill_count: 0
    .wavefront_size: 64
  - .agpr_count:     0
    .args:
      - .actual_access:  read_only
        .address_space:  global
        .offset:         0
        .size:           8
        .value_kind:     global_buffer
      - .actual_access:  read_only
        .address_space:  global
        .offset:         8
        .size:           8
        .value_kind:     global_buffer
      - .actual_access:  read_only
        .address_space:  global
        .offset:         16
        .size:           8
        .value_kind:     global_buffer
      - .actual_access:  read_only
        .address_space:  global
        .offset:         24
        .size:           8
        .value_kind:     global_buffer
      - .offset:         32
        .size:           8
        .value_kind:     by_value
      - .offset:         40
        .size:           4
        .value_kind:     by_value
      - .offset:         44
        .size:           4
        .value_kind:     by_value
      - .offset:         48
        .size:           4
        .value_kind:     by_value
      - .offset:         52
        .size:           4
        .value_kind:     by_value
      - .offset:         56
        .size:           4
        .value_kind:     by_value
    .group_segment_fixed_size: 0
    .kernarg_segment_align: 8
    .kernarg_segment_size: 60
    .language:       OpenCL C
    .language_version:
      - 2
      - 0
    .max_flat_workgroup_size: 1024
    .name:           _ZN5aiter28grouped_topk_opt_sort_kernelIN3c104HalfEDv2_fLi4ELb1ELb1ELb0EEEvPT_PKS4_PfPimiiiif
    .private_segment_fixed_size: 0
    .sgpr_count:     13
    .sgpr_spill_count: 0
    .symbol:         _ZN5aiter28grouped_topk_opt_sort_kernelIN3c104HalfEDv2_fLi4ELb1ELb1ELb0EEEvPT_PKS4_PfPimiiiif.kd
    .uniform_work_group_size: 1
    .uses_dynamic_stack: false
    .vgpr_count:     16
    .vgpr_spill_count: 0
    .wavefront_size: 64
  - .agpr_count:     0
    .args:
      - .actual_access:  read_only
        .address_space:  global
        .offset:         0
        .size:           8
        .value_kind:     global_buffer
      - .actual_access:  read_only
        .address_space:  global
        .offset:         8
        .size:           8
        .value_kind:     global_buffer
      - .actual_access:  read_only
        .address_space:  global
        .offset:         16
        .size:           8
        .value_kind:     global_buffer
      - .actual_access:  read_only
        .address_space:  global
        .offset:         24
        .size:           8
        .value_kind:     global_buffer
      - .offset:         32
        .size:           8
        .value_kind:     by_value
      - .offset:         40
        .size:           4
        .value_kind:     by_value
      - .offset:         44
        .size:           4
        .value_kind:     by_value
      - .offset:         48
        .size:           4
        .value_kind:     by_value
      - .offset:         52
        .size:           4
        .value_kind:     by_value
      - .offset:         56
        .size:           4
        .value_kind:     by_value
    .group_segment_fixed_size: 0
    .kernarg_segment_align: 8
    .kernarg_segment_size: 60
    .language:       OpenCL C
    .language_version:
      - 2
      - 0
    .max_flat_workgroup_size: 1024
    .name:           _ZN5aiter28grouped_topk_opt_sort_kernelIN3c108BFloat16EDv2_fLi4ELb1ELb1ELb0EEEvPT_PKS4_PfPimiiiif
    .private_segment_fixed_size: 0
    .sgpr_count:     13
    .sgpr_spill_count: 0
    .symbol:         _ZN5aiter28grouped_topk_opt_sort_kernelIN3c108BFloat16EDv2_fLi4ELb1ELb1ELb0EEEvPT_PKS4_PfPimiiiif.kd
    .uniform_work_group_size: 1
    .uses_dynamic_stack: false
    .vgpr_count:     16
    .vgpr_spill_count: 0
    .wavefront_size: 64
  - .agpr_count:     0
    .args:
      - .actual_access:  read_only
        .address_space:  global
        .offset:         0
        .size:           8
        .value_kind:     global_buffer
      - .actual_access:  read_only
        .address_space:  global
        .offset:         8
        .size:           8
        .value_kind:     global_buffer
      - .actual_access:  write_only
        .address_space:  global
        .offset:         16
        .size:           8
        .value_kind:     global_buffer
      - .actual_access:  write_only
        .address_space:  global
        .offset:         24
        .size:           8
        .value_kind:     global_buffer
      - .offset:         32
        .size:           8
        .value_kind:     by_value
      - .offset:         40
        .size:           4
        .value_kind:     by_value
      - .offset:         44
        .size:           4
        .value_kind:     by_value
      - .offset:         48
        .size:           4
        .value_kind:     by_value
      - .offset:         52
        .size:           4
        .value_kind:     by_value
      - .offset:         56
        .size:           4
        .value_kind:     by_value
      - .offset:         64
        .size:           4
        .value_kind:     hidden_block_count_x
      - .offset:         68
        .size:           4
        .value_kind:     hidden_block_count_y
      - .offset:         72
        .size:           4
        .value_kind:     hidden_block_count_z
      - .offset:         76
        .size:           2
        .value_kind:     hidden_group_size_x
      - .offset:         78
        .size:           2
        .value_kind:     hidden_group_size_y
      - .offset:         80
        .size:           2
        .value_kind:     hidden_group_size_z
      - .offset:         82
        .size:           2
        .value_kind:     hidden_remainder_x
      - .offset:         84
        .size:           2
        .value_kind:     hidden_remainder_y
      - .offset:         86
        .size:           2
        .value_kind:     hidden_remainder_z
      - .offset:         104
        .size:           8
        .value_kind:     hidden_global_offset_x
      - .offset:         112
        .size:           8
        .value_kind:     hidden_global_offset_y
      - .offset:         120
        .size:           8
        .value_kind:     hidden_global_offset_z
      - .offset:         128
        .size:           2
        .value_kind:     hidden_grid_dims
      - .offset:         184
        .size:           4
        .value_kind:     hidden_dynamic_lds_size
    .group_segment_fixed_size: 0
    .kernarg_segment_align: 8
    .kernarg_segment_size: 320
    .language:       OpenCL C
    .language_version:
      - 2
      - 0
    .max_flat_workgroup_size: 1024
    .name:           _ZN5aiter19grouped_topk_kernelIfDv2_fLi4ELb1ELb1ELb0EEEvPT_PKS2_PfPimiiiif
    .private_segment_fixed_size: 0
    .sgpr_count:     35
    .sgpr_spill_count: 0
    .symbol:         _ZN5aiter19grouped_topk_kernelIfDv2_fLi4ELb1ELb1ELb0EEEvPT_PKS2_PfPimiiiif.kd
    .uniform_work_group_size: 1
    .uses_dynamic_stack: false
    .vgpr_count:     23
    .vgpr_spill_count: 0
    .wavefront_size: 64
  - .agpr_count:     0
    .args:
      - .actual_access:  read_only
        .address_space:  global
        .offset:         0
        .size:           8
        .value_kind:     global_buffer
      - .actual_access:  read_only
        .address_space:  global
        .offset:         8
        .size:           8
        .value_kind:     global_buffer
      - .actual_access:  write_only
        .address_space:  global
        .offset:         16
        .size:           8
        .value_kind:     global_buffer
      - .actual_access:  write_only
        .address_space:  global
        .offset:         24
        .size:           8
        .value_kind:     global_buffer
      - .offset:         32
        .size:           8
        .value_kind:     by_value
      - .offset:         40
        .size:           4
        .value_kind:     by_value
      - .offset:         44
        .size:           4
        .value_kind:     by_value
      - .offset:         48
        .size:           4
        .value_kind:     by_value
      - .offset:         52
        .size:           4
        .value_kind:     by_value
      - .offset:         56
        .size:           4
        .value_kind:     by_value
      - .offset:         64
        .size:           4
        .value_kind:     hidden_block_count_x
      - .offset:         68
        .size:           4
        .value_kind:     hidden_block_count_y
      - .offset:         72
        .size:           4
        .value_kind:     hidden_block_count_z
      - .offset:         76
        .size:           2
        .value_kind:     hidden_group_size_x
      - .offset:         78
        .size:           2
        .value_kind:     hidden_group_size_y
      - .offset:         80
        .size:           2
        .value_kind:     hidden_group_size_z
      - .offset:         82
        .size:           2
        .value_kind:     hidden_remainder_x
      - .offset:         84
        .size:           2
        .value_kind:     hidden_remainder_y
      - .offset:         86
        .size:           2
        .value_kind:     hidden_remainder_z
      - .offset:         104
        .size:           8
        .value_kind:     hidden_global_offset_x
      - .offset:         112
        .size:           8
        .value_kind:     hidden_global_offset_y
      - .offset:         120
        .size:           8
        .value_kind:     hidden_global_offset_z
      - .offset:         128
        .size:           2
        .value_kind:     hidden_grid_dims
      - .offset:         184
        .size:           4
        .value_kind:     hidden_dynamic_lds_size
    .group_segment_fixed_size: 0
    .kernarg_segment_align: 8
    .kernarg_segment_size: 320
    .language:       OpenCL C
    .language_version:
      - 2
      - 0
    .max_flat_workgroup_size: 1024
    .name:           _ZN5aiter19grouped_topk_kernelIN3c104HalfEDv2_fLi4ELb1ELb1ELb0EEEvPT_PKS4_PfPimiiiif
    .private_segment_fixed_size: 0
    .sgpr_count:     35
    .sgpr_spill_count: 0
    .symbol:         _ZN5aiter19grouped_topk_kernelIN3c104HalfEDv2_fLi4ELb1ELb1ELb0EEEvPT_PKS4_PfPimiiiif.kd
    .uniform_work_group_size: 1
    .uses_dynamic_stack: false
    .vgpr_count:     24
    .vgpr_spill_count: 0
    .wavefront_size: 64
  - .agpr_count:     0
    .args:
      - .actual_access:  read_only
        .address_space:  global
        .offset:         0
        .size:           8
        .value_kind:     global_buffer
      - .actual_access:  read_only
        .address_space:  global
        .offset:         8
        .size:           8
        .value_kind:     global_buffer
      - .actual_access:  write_only
        .address_space:  global
        .offset:         16
        .size:           8
        .value_kind:     global_buffer
      - .actual_access:  write_only
        .address_space:  global
        .offset:         24
        .size:           8
        .value_kind:     global_buffer
      - .offset:         32
        .size:           8
        .value_kind:     by_value
      - .offset:         40
        .size:           4
        .value_kind:     by_value
      - .offset:         44
        .size:           4
        .value_kind:     by_value
      - .offset:         48
        .size:           4
        .value_kind:     by_value
      - .offset:         52
        .size:           4
        .value_kind:     by_value
      - .offset:         56
        .size:           4
        .value_kind:     by_value
      - .offset:         64
        .size:           4
        .value_kind:     hidden_block_count_x
      - .offset:         68
        .size:           4
        .value_kind:     hidden_block_count_y
      - .offset:         72
        .size:           4
        .value_kind:     hidden_block_count_z
      - .offset:         76
        .size:           2
        .value_kind:     hidden_group_size_x
      - .offset:         78
        .size:           2
        .value_kind:     hidden_group_size_y
      - .offset:         80
        .size:           2
        .value_kind:     hidden_group_size_z
      - .offset:         82
        .size:           2
        .value_kind:     hidden_remainder_x
      - .offset:         84
        .size:           2
        .value_kind:     hidden_remainder_y
      - .offset:         86
        .size:           2
        .value_kind:     hidden_remainder_z
      - .offset:         104
        .size:           8
        .value_kind:     hidden_global_offset_x
      - .offset:         112
        .size:           8
        .value_kind:     hidden_global_offset_y
      - .offset:         120
        .size:           8
        .value_kind:     hidden_global_offset_z
      - .offset:         128
        .size:           2
        .value_kind:     hidden_grid_dims
      - .offset:         184
        .size:           4
        .value_kind:     hidden_dynamic_lds_size
    .group_segment_fixed_size: 0
    .kernarg_segment_align: 8
    .kernarg_segment_size: 320
    .language:       OpenCL C
    .language_version:
      - 2
      - 0
    .max_flat_workgroup_size: 1024
    .name:           _ZN5aiter19grouped_topk_kernelIN3c108BFloat16EDv2_fLi4ELb1ELb1ELb0EEEvPT_PKS4_PfPimiiiif
    .private_segment_fixed_size: 0
    .sgpr_count:     35
    .sgpr_spill_count: 0
    .symbol:         _ZN5aiter19grouped_topk_kernelIN3c108BFloat16EDv2_fLi4ELb1ELb1ELb0EEEvPT_PKS4_PfPimiiiif.kd
    .uniform_work_group_size: 1
    .uses_dynamic_stack: false
    .vgpr_count:     24
    .vgpr_spill_count: 0
    .wavefront_size: 64
  - .agpr_count:     0
    .args:
      - .actual_access:  read_only
        .address_space:  global
        .offset:         0
        .size:           8
        .value_kind:     global_buffer
      - .actual_access:  read_only
        .address_space:  global
        .offset:         8
        .size:           8
        .value_kind:     global_buffer
      - .actual_access:  write_only
        .address_space:  global
        .offset:         16
        .size:           8
        .value_kind:     global_buffer
      - .actual_access:  write_only
        .address_space:  global
        .offset:         24
        .size:           8
        .value_kind:     global_buffer
      - .offset:         32
        .size:           8
        .value_kind:     by_value
      - .offset:         40
        .size:           4
        .value_kind:     by_value
      - .offset:         44
        .size:           4
        .value_kind:     by_value
      - .offset:         48
        .size:           4
        .value_kind:     by_value
      - .offset:         52
        .size:           4
        .value_kind:     by_value
      - .offset:         56
        .size:           4
        .value_kind:     by_value
      - .offset:         64
        .size:           4
        .value_kind:     hidden_block_count_x
      - .offset:         68
        .size:           4
        .value_kind:     hidden_block_count_y
      - .offset:         72
        .size:           4
        .value_kind:     hidden_block_count_z
      - .offset:         76
        .size:           2
        .value_kind:     hidden_group_size_x
      - .offset:         78
        .size:           2
        .value_kind:     hidden_group_size_y
      - .offset:         80
        .size:           2
        .value_kind:     hidden_group_size_z
      - .offset:         82
        .size:           2
        .value_kind:     hidden_remainder_x
      - .offset:         84
        .size:           2
        .value_kind:     hidden_remainder_y
      - .offset:         86
        .size:           2
        .value_kind:     hidden_remainder_z
      - .offset:         104
        .size:           8
        .value_kind:     hidden_global_offset_x
      - .offset:         112
        .size:           8
        .value_kind:     hidden_global_offset_y
      - .offset:         120
        .size:           8
        .value_kind:     hidden_global_offset_z
      - .offset:         128
        .size:           2
        .value_kind:     hidden_grid_dims
      - .offset:         184
        .size:           4
        .value_kind:     hidden_dynamic_lds_size
    .group_segment_fixed_size: 0
    .kernarg_segment_align: 8
    .kernarg_segment_size: 320
    .language:       OpenCL C
    .language_version:
      - 2
      - 0
    .max_flat_workgroup_size: 1024
    .name:           _ZN5aiter19grouped_topk_kernelIfDv2_fLi4ELb1ELb0ELb1EEEvPT_PKS2_PfPimiiiif
    .private_segment_fixed_size: 0
    .sgpr_count:     28
    .sgpr_spill_count: 0
    .symbol:         _ZN5aiter19grouped_topk_kernelIfDv2_fLi4ELb1ELb0ELb1EEEvPT_PKS2_PfPimiiiif.kd
    .uniform_work_group_size: 1
    .uses_dynamic_stack: false
    .vgpr_count:     15
    .vgpr_spill_count: 0
    .wavefront_size: 64
  - .agpr_count:     0
    .args:
      - .actual_access:  read_only
        .address_space:  global
        .offset:         0
        .size:           8
        .value_kind:     global_buffer
      - .actual_access:  read_only
        .address_space:  global
        .offset:         8
        .size:           8
        .value_kind:     global_buffer
      - .actual_access:  write_only
        .address_space:  global
        .offset:         16
        .size:           8
        .value_kind:     global_buffer
      - .actual_access:  write_only
        .address_space:  global
        .offset:         24
        .size:           8
        .value_kind:     global_buffer
      - .offset:         32
        .size:           8
        .value_kind:     by_value
      - .offset:         40
        .size:           4
        .value_kind:     by_value
      - .offset:         44
        .size:           4
        .value_kind:     by_value
      - .offset:         48
        .size:           4
        .value_kind:     by_value
      - .offset:         52
        .size:           4
        .value_kind:     by_value
      - .offset:         56
        .size:           4
        .value_kind:     by_value
      - .offset:         64
        .size:           4
        .value_kind:     hidden_block_count_x
      - .offset:         68
        .size:           4
        .value_kind:     hidden_block_count_y
      - .offset:         72
        .size:           4
        .value_kind:     hidden_block_count_z
      - .offset:         76
        .size:           2
        .value_kind:     hidden_group_size_x
      - .offset:         78
        .size:           2
        .value_kind:     hidden_group_size_y
      - .offset:         80
        .size:           2
        .value_kind:     hidden_group_size_z
      - .offset:         82
        .size:           2
        .value_kind:     hidden_remainder_x
      - .offset:         84
        .size:           2
        .value_kind:     hidden_remainder_y
      - .offset:         86
        .size:           2
        .value_kind:     hidden_remainder_z
      - .offset:         104
        .size:           8
        .value_kind:     hidden_global_offset_x
      - .offset:         112
        .size:           8
        .value_kind:     hidden_global_offset_y
      - .offset:         120
        .size:           8
        .value_kind:     hidden_global_offset_z
      - .offset:         128
        .size:           2
        .value_kind:     hidden_grid_dims
      - .offset:         184
        .size:           4
        .value_kind:     hidden_dynamic_lds_size
    .group_segment_fixed_size: 0
    .kernarg_segment_align: 8
    .kernarg_segment_size: 320
    .language:       OpenCL C
    .language_version:
      - 2
      - 0
    .max_flat_workgroup_size: 1024
    .name:           _ZN5aiter19grouped_topk_kernelIN3c104HalfEDv2_fLi4ELb1ELb0ELb1EEEvPT_PKS4_PfPimiiiif
    .private_segment_fixed_size: 0
    .sgpr_count:     28
    .sgpr_spill_count: 0
    .symbol:         _ZN5aiter19grouped_topk_kernelIN3c104HalfEDv2_fLi4ELb1ELb0ELb1EEEvPT_PKS4_PfPimiiiif.kd
    .uniform_work_group_size: 1
    .uses_dynamic_stack: false
    .vgpr_count:     15
    .vgpr_spill_count: 0
    .wavefront_size: 64
  - .agpr_count:     0
    .args:
      - .actual_access:  read_only
        .address_space:  global
        .offset:         0
        .size:           8
        .value_kind:     global_buffer
      - .actual_access:  read_only
        .address_space:  global
        .offset:         8
        .size:           8
        .value_kind:     global_buffer
      - .actual_access:  write_only
        .address_space:  global
        .offset:         16
        .size:           8
        .value_kind:     global_buffer
      - .actual_access:  write_only
        .address_space:  global
        .offset:         24
        .size:           8
        .value_kind:     global_buffer
      - .offset:         32
        .size:           8
        .value_kind:     by_value
      - .offset:         40
        .size:           4
        .value_kind:     by_value
      - .offset:         44
        .size:           4
        .value_kind:     by_value
      - .offset:         48
        .size:           4
        .value_kind:     by_value
      - .offset:         52
        .size:           4
        .value_kind:     by_value
      - .offset:         56
        .size:           4
        .value_kind:     by_value
      - .offset:         64
        .size:           4
        .value_kind:     hidden_block_count_x
      - .offset:         68
        .size:           4
        .value_kind:     hidden_block_count_y
      - .offset:         72
        .size:           4
        .value_kind:     hidden_block_count_z
      - .offset:         76
        .size:           2
        .value_kind:     hidden_group_size_x
      - .offset:         78
        .size:           2
        .value_kind:     hidden_group_size_y
      - .offset:         80
        .size:           2
        .value_kind:     hidden_group_size_z
      - .offset:         82
        .size:           2
        .value_kind:     hidden_remainder_x
      - .offset:         84
        .size:           2
        .value_kind:     hidden_remainder_y
      - .offset:         86
        .size:           2
        .value_kind:     hidden_remainder_z
      - .offset:         104
        .size:           8
        .value_kind:     hidden_global_offset_x
      - .offset:         112
        .size:           8
        .value_kind:     hidden_global_offset_y
      - .offset:         120
        .size:           8
        .value_kind:     hidden_global_offset_z
      - .offset:         128
        .size:           2
        .value_kind:     hidden_grid_dims
      - .offset:         184
        .size:           4
        .value_kind:     hidden_dynamic_lds_size
    .group_segment_fixed_size: 0
    .kernarg_segment_align: 8
    .kernarg_segment_size: 320
    .language:       OpenCL C
    .language_version:
      - 2
      - 0
    .max_flat_workgroup_size: 1024
    .name:           _ZN5aiter19grouped_topk_kernelIN3c108BFloat16EDv2_fLi4ELb1ELb0ELb1EEEvPT_PKS4_PfPimiiiif
    .private_segment_fixed_size: 0
    .sgpr_count:     28
    .sgpr_spill_count: 0
    .symbol:         _ZN5aiter19grouped_topk_kernelIN3c108BFloat16EDv2_fLi4ELb1ELb0ELb1EEEvPT_PKS4_PfPimiiiif.kd
    .uniform_work_group_size: 1
    .uses_dynamic_stack: false
    .vgpr_count:     15
    .vgpr_spill_count: 0
    .wavefront_size: 64
  - .agpr_count:     0
    .args:
      - .actual_access:  read_only
        .address_space:  global
        .offset:         0
        .size:           8
        .value_kind:     global_buffer
      - .actual_access:  read_only
        .address_space:  global
        .offset:         8
        .size:           8
        .value_kind:     global_buffer
      - .actual_access:  write_only
        .address_space:  global
        .offset:         16
        .size:           8
        .value_kind:     global_buffer
      - .actual_access:  write_only
        .address_space:  global
        .offset:         24
        .size:           8
        .value_kind:     global_buffer
      - .offset:         32
        .size:           8
        .value_kind:     by_value
      - .offset:         40
        .size:           4
        .value_kind:     by_value
      - .offset:         44
        .size:           4
        .value_kind:     by_value
      - .offset:         48
        .size:           4
        .value_kind:     by_value
      - .offset:         52
        .size:           4
        .value_kind:     by_value
      - .offset:         56
        .size:           4
        .value_kind:     by_value
      - .offset:         64
        .size:           4
        .value_kind:     hidden_block_count_x
      - .offset:         68
        .size:           4
        .value_kind:     hidden_block_count_y
      - .offset:         72
        .size:           4
        .value_kind:     hidden_block_count_z
      - .offset:         76
        .size:           2
        .value_kind:     hidden_group_size_x
      - .offset:         78
        .size:           2
        .value_kind:     hidden_group_size_y
      - .offset:         80
        .size:           2
        .value_kind:     hidden_group_size_z
      - .offset:         82
        .size:           2
        .value_kind:     hidden_remainder_x
      - .offset:         84
        .size:           2
        .value_kind:     hidden_remainder_y
      - .offset:         86
        .size:           2
        .value_kind:     hidden_remainder_z
      - .offset:         104
        .size:           8
        .value_kind:     hidden_global_offset_x
      - .offset:         112
        .size:           8
        .value_kind:     hidden_global_offset_y
      - .offset:         120
        .size:           8
        .value_kind:     hidden_global_offset_z
      - .offset:         128
        .size:           2
        .value_kind:     hidden_grid_dims
      - .offset:         184
        .size:           4
        .value_kind:     hidden_dynamic_lds_size
    .group_segment_fixed_size: 0
    .kernarg_segment_align: 8
    .kernarg_segment_size: 320
    .language:       OpenCL C
    .language_version:
      - 2
      - 0
    .max_flat_workgroup_size: 1024
    .name:           _ZN5aiter19grouped_topk_kernelIfDv2_fLi4ELb1ELb0ELb0EEEvPT_PKS2_PfPimiiiif
    .private_segment_fixed_size: 0
    .sgpr_count:     29
    .sgpr_spill_count: 0
    .symbol:         _ZN5aiter19grouped_topk_kernelIfDv2_fLi4ELb1ELb0ELb0EEEvPT_PKS2_PfPimiiiif.kd
    .uniform_work_group_size: 1
    .uses_dynamic_stack: false
    .vgpr_count:     19
    .vgpr_spill_count: 0
    .wavefront_size: 64
  - .agpr_count:     0
    .args:
      - .actual_access:  read_only
        .address_space:  global
        .offset:         0
        .size:           8
        .value_kind:     global_buffer
      - .actual_access:  read_only
        .address_space:  global
        .offset:         8
        .size:           8
        .value_kind:     global_buffer
      - .actual_access:  write_only
        .address_space:  global
        .offset:         16
        .size:           8
        .value_kind:     global_buffer
      - .actual_access:  write_only
        .address_space:  global
        .offset:         24
        .size:           8
        .value_kind:     global_buffer
      - .offset:         32
        .size:           8
        .value_kind:     by_value
      - .offset:         40
        .size:           4
        .value_kind:     by_value
      - .offset:         44
        .size:           4
        .value_kind:     by_value
      - .offset:         48
        .size:           4
        .value_kind:     by_value
      - .offset:         52
        .size:           4
        .value_kind:     by_value
      - .offset:         56
        .size:           4
        .value_kind:     by_value
      - .offset:         64
        .size:           4
        .value_kind:     hidden_block_count_x
      - .offset:         68
        .size:           4
        .value_kind:     hidden_block_count_y
      - .offset:         72
        .size:           4
        .value_kind:     hidden_block_count_z
      - .offset:         76
        .size:           2
        .value_kind:     hidden_group_size_x
      - .offset:         78
        .size:           2
        .value_kind:     hidden_group_size_y
      - .offset:         80
        .size:           2
        .value_kind:     hidden_group_size_z
      - .offset:         82
        .size:           2
        .value_kind:     hidden_remainder_x
      - .offset:         84
        .size:           2
        .value_kind:     hidden_remainder_y
      - .offset:         86
        .size:           2
        .value_kind:     hidden_remainder_z
      - .offset:         104
        .size:           8
        .value_kind:     hidden_global_offset_x
      - .offset:         112
        .size:           8
        .value_kind:     hidden_global_offset_y
      - .offset:         120
        .size:           8
        .value_kind:     hidden_global_offset_z
      - .offset:         128
        .size:           2
        .value_kind:     hidden_grid_dims
      - .offset:         184
        .size:           4
        .value_kind:     hidden_dynamic_lds_size
    .group_segment_fixed_size: 0
    .kernarg_segment_align: 8
    .kernarg_segment_size: 320
    .language:       OpenCL C
    .language_version:
      - 2
      - 0
    .max_flat_workgroup_size: 1024
    .name:           _ZN5aiter19grouped_topk_kernelIN3c104HalfEDv2_fLi4ELb1ELb0ELb0EEEvPT_PKS4_PfPimiiiif
    .private_segment_fixed_size: 0
    .sgpr_count:     31
    .sgpr_spill_count: 0
    .symbol:         _ZN5aiter19grouped_topk_kernelIN3c104HalfEDv2_fLi4ELb1ELb0ELb0EEEvPT_PKS4_PfPimiiiif.kd
    .uniform_work_group_size: 1
    .uses_dynamic_stack: false
    .vgpr_count:     20
    .vgpr_spill_count: 0
    .wavefront_size: 64
  - .agpr_count:     0
    .args:
      - .actual_access:  read_only
        .address_space:  global
        .offset:         0
        .size:           8
        .value_kind:     global_buffer
      - .actual_access:  read_only
        .address_space:  global
        .offset:         8
        .size:           8
        .value_kind:     global_buffer
      - .actual_access:  write_only
        .address_space:  global
        .offset:         16
        .size:           8
        .value_kind:     global_buffer
      - .actual_access:  write_only
        .address_space:  global
        .offset:         24
        .size:           8
        .value_kind:     global_buffer
      - .offset:         32
        .size:           8
        .value_kind:     by_value
      - .offset:         40
        .size:           4
        .value_kind:     by_value
      - .offset:         44
        .size:           4
        .value_kind:     by_value
      - .offset:         48
        .size:           4
        .value_kind:     by_value
      - .offset:         52
        .size:           4
        .value_kind:     by_value
      - .offset:         56
        .size:           4
        .value_kind:     by_value
      - .offset:         64
        .size:           4
        .value_kind:     hidden_block_count_x
      - .offset:         68
        .size:           4
        .value_kind:     hidden_block_count_y
      - .offset:         72
        .size:           4
        .value_kind:     hidden_block_count_z
      - .offset:         76
        .size:           2
        .value_kind:     hidden_group_size_x
      - .offset:         78
        .size:           2
        .value_kind:     hidden_group_size_y
      - .offset:         80
        .size:           2
        .value_kind:     hidden_group_size_z
      - .offset:         82
        .size:           2
        .value_kind:     hidden_remainder_x
      - .offset:         84
        .size:           2
        .value_kind:     hidden_remainder_y
      - .offset:         86
        .size:           2
        .value_kind:     hidden_remainder_z
      - .offset:         104
        .size:           8
        .value_kind:     hidden_global_offset_x
      - .offset:         112
        .size:           8
        .value_kind:     hidden_global_offset_y
      - .offset:         120
        .size:           8
        .value_kind:     hidden_global_offset_z
      - .offset:         128
        .size:           2
        .value_kind:     hidden_grid_dims
      - .offset:         184
        .size:           4
        .value_kind:     hidden_dynamic_lds_size
    .group_segment_fixed_size: 0
    .kernarg_segment_align: 8
    .kernarg_segment_size: 320
    .language:       OpenCL C
    .language_version:
      - 2
      - 0
    .max_flat_workgroup_size: 1024
    .name:           _ZN5aiter19grouped_topk_kernelIN3c108BFloat16EDv2_fLi4ELb1ELb0ELb0EEEvPT_PKS4_PfPimiiiif
    .private_segment_fixed_size: 0
    .sgpr_count:     30
    .sgpr_spill_count: 0
    .symbol:         _ZN5aiter19grouped_topk_kernelIN3c108BFloat16EDv2_fLi4ELb1ELb0ELb0EEEvPT_PKS4_PfPimiiiif.kd
    .uniform_work_group_size: 1
    .uses_dynamic_stack: false
    .vgpr_count:     20
    .vgpr_spill_count: 0
    .wavefront_size: 64
  - .agpr_count:     0
    .args:
      - .actual_access:  read_only
        .address_space:  global
        .offset:         0
        .size:           8
        .value_kind:     global_buffer
      - .actual_access:  read_only
        .address_space:  global
        .offset:         8
        .size:           8
        .value_kind:     global_buffer
      - .actual_access:  read_only
        .address_space:  global
        .offset:         16
        .size:           8
        .value_kind:     global_buffer
      - .actual_access:  read_only
        .address_space:  global
        .offset:         24
        .size:           8
        .value_kind:     global_buffer
      - .offset:         32
        .size:           8
        .value_kind:     by_value
      - .offset:         40
        .size:           4
        .value_kind:     by_value
      - .offset:         44
        .size:           4
        .value_kind:     by_value
      - .offset:         48
        .size:           4
        .value_kind:     by_value
      - .offset:         52
        .size:           4
        .value_kind:     by_value
      - .offset:         56
        .size:           4
        .value_kind:     by_value
    .group_segment_fixed_size: 0
    .kernarg_segment_align: 8
    .kernarg_segment_size: 60
    .language:       OpenCL C
    .language_version:
      - 2
      - 0
    .max_flat_workgroup_size: 1024
    .name:           _ZN5aiter28grouped_topk_opt_sort_kernelIfDv2_fLi4ELb0ELb1ELb0EEEvPT_PKS2_PfPimiiiif
    .private_segment_fixed_size: 0
    .sgpr_count:     13
    .sgpr_spill_count: 0
    .symbol:         _ZN5aiter28grouped_topk_opt_sort_kernelIfDv2_fLi4ELb0ELb1ELb0EEEvPT_PKS2_PfPimiiiif.kd
    .uniform_work_group_size: 1
    .uses_dynamic_stack: false
    .vgpr_count:     17
    .vgpr_spill_count: 0
    .wavefront_size: 64
  - .agpr_count:     0
    .args:
      - .actual_access:  read_only
        .address_space:  global
        .offset:         0
        .size:           8
        .value_kind:     global_buffer
      - .actual_access:  read_only
        .address_space:  global
        .offset:         8
        .size:           8
        .value_kind:     global_buffer
      - .actual_access:  read_only
        .address_space:  global
        .offset:         16
        .size:           8
        .value_kind:     global_buffer
      - .actual_access:  read_only
        .address_space:  global
        .offset:         24
        .size:           8
        .value_kind:     global_buffer
      - .offset:         32
        .size:           8
        .value_kind:     by_value
      - .offset:         40
        .size:           4
        .value_kind:     by_value
      - .offset:         44
        .size:           4
        .value_kind:     by_value
      - .offset:         48
        .size:           4
        .value_kind:     by_value
      - .offset:         52
        .size:           4
        .value_kind:     by_value
      - .offset:         56
        .size:           4
        .value_kind:     by_value
    .group_segment_fixed_size: 0
    .kernarg_segment_align: 8
    .kernarg_segment_size: 60
    .language:       OpenCL C
    .language_version:
      - 2
      - 0
    .max_flat_workgroup_size: 1024
    .name:           _ZN5aiter28grouped_topk_opt_sort_kernelIN3c104HalfEDv2_fLi4ELb0ELb1ELb0EEEvPT_PKS4_PfPimiiiif
    .private_segment_fixed_size: 0
    .sgpr_count:     13
    .sgpr_spill_count: 0
    .symbol:         _ZN5aiter28grouped_topk_opt_sort_kernelIN3c104HalfEDv2_fLi4ELb0ELb1ELb0EEEvPT_PKS4_PfPimiiiif.kd
    .uniform_work_group_size: 1
    .uses_dynamic_stack: false
    .vgpr_count:     16
    .vgpr_spill_count: 0
    .wavefront_size: 64
  - .agpr_count:     0
    .args:
      - .actual_access:  read_only
        .address_space:  global
        .offset:         0
        .size:           8
        .value_kind:     global_buffer
      - .actual_access:  read_only
        .address_space:  global
        .offset:         8
        .size:           8
        .value_kind:     global_buffer
      - .actual_access:  read_only
        .address_space:  global
        .offset:         16
        .size:           8
        .value_kind:     global_buffer
      - .actual_access:  read_only
        .address_space:  global
        .offset:         24
        .size:           8
        .value_kind:     global_buffer
      - .offset:         32
        .size:           8
        .value_kind:     by_value
      - .offset:         40
        .size:           4
        .value_kind:     by_value
      - .offset:         44
        .size:           4
        .value_kind:     by_value
      - .offset:         48
        .size:           4
        .value_kind:     by_value
      - .offset:         52
        .size:           4
        .value_kind:     by_value
      - .offset:         56
        .size:           4
        .value_kind:     by_value
    .group_segment_fixed_size: 0
    .kernarg_segment_align: 8
    .kernarg_segment_size: 60
    .language:       OpenCL C
    .language_version:
      - 2
      - 0
    .max_flat_workgroup_size: 1024
    .name:           _ZN5aiter28grouped_topk_opt_sort_kernelIN3c108BFloat16EDv2_fLi4ELb0ELb1ELb0EEEvPT_PKS4_PfPimiiiif
    .private_segment_fixed_size: 0
    .sgpr_count:     13
    .sgpr_spill_count: 0
    .symbol:         _ZN5aiter28grouped_topk_opt_sort_kernelIN3c108BFloat16EDv2_fLi4ELb0ELb1ELb0EEEvPT_PKS4_PfPimiiiif.kd
    .uniform_work_group_size: 1
    .uses_dynamic_stack: false
    .vgpr_count:     16
    .vgpr_spill_count: 0
    .wavefront_size: 64
  - .agpr_count:     0
    .args:
      - .actual_access:  read_only
        .address_space:  global
        .offset:         0
        .size:           8
        .value_kind:     global_buffer
      - .actual_access:  read_only
        .address_space:  global
        .offset:         8
        .size:           8
        .value_kind:     global_buffer
      - .actual_access:  write_only
        .address_space:  global
        .offset:         16
        .size:           8
        .value_kind:     global_buffer
      - .actual_access:  write_only
        .address_space:  global
        .offset:         24
        .size:           8
        .value_kind:     global_buffer
      - .offset:         32
        .size:           8
        .value_kind:     by_value
      - .offset:         40
        .size:           4
        .value_kind:     by_value
      - .offset:         44
        .size:           4
        .value_kind:     by_value
      - .offset:         48
        .size:           4
        .value_kind:     by_value
      - .offset:         52
        .size:           4
        .value_kind:     by_value
      - .offset:         56
        .size:           4
        .value_kind:     by_value
      - .offset:         64
        .size:           4
        .value_kind:     hidden_block_count_x
      - .offset:         68
        .size:           4
        .value_kind:     hidden_block_count_y
      - .offset:         72
        .size:           4
        .value_kind:     hidden_block_count_z
      - .offset:         76
        .size:           2
        .value_kind:     hidden_group_size_x
      - .offset:         78
        .size:           2
        .value_kind:     hidden_group_size_y
      - .offset:         80
        .size:           2
        .value_kind:     hidden_group_size_z
      - .offset:         82
        .size:           2
        .value_kind:     hidden_remainder_x
      - .offset:         84
        .size:           2
        .value_kind:     hidden_remainder_y
      - .offset:         86
        .size:           2
        .value_kind:     hidden_remainder_z
      - .offset:         104
        .size:           8
        .value_kind:     hidden_global_offset_x
      - .offset:         112
        .size:           8
        .value_kind:     hidden_global_offset_y
      - .offset:         120
        .size:           8
        .value_kind:     hidden_global_offset_z
      - .offset:         128
        .size:           2
        .value_kind:     hidden_grid_dims
      - .offset:         184
        .size:           4
        .value_kind:     hidden_dynamic_lds_size
    .group_segment_fixed_size: 0
    .kernarg_segment_align: 8
    .kernarg_segment_size: 320
    .language:       OpenCL C
    .language_version:
      - 2
      - 0
    .max_flat_workgroup_size: 1024
    .name:           _ZN5aiter19grouped_topk_kernelIfDv2_fLi4ELb0ELb1ELb0EEEvPT_PKS2_PfPimiiiif
    .private_segment_fixed_size: 0
    .sgpr_count:     35
    .sgpr_spill_count: 0
    .symbol:         _ZN5aiter19grouped_topk_kernelIfDv2_fLi4ELb0ELb1ELb0EEEvPT_PKS2_PfPimiiiif.kd
    .uniform_work_group_size: 1
    .uses_dynamic_stack: false
    .vgpr_count:     23
    .vgpr_spill_count: 0
    .wavefront_size: 64
  - .agpr_count:     0
    .args:
      - .actual_access:  read_only
        .address_space:  global
        .offset:         0
        .size:           8
        .value_kind:     global_buffer
      - .actual_access:  read_only
        .address_space:  global
        .offset:         8
        .size:           8
        .value_kind:     global_buffer
      - .actual_access:  write_only
        .address_space:  global
        .offset:         16
        .size:           8
        .value_kind:     global_buffer
      - .actual_access:  write_only
        .address_space:  global
        .offset:         24
        .size:           8
        .value_kind:     global_buffer
      - .offset:         32
        .size:           8
        .value_kind:     by_value
      - .offset:         40
        .size:           4
        .value_kind:     by_value
      - .offset:         44
        .size:           4
        .value_kind:     by_value
      - .offset:         48
        .size:           4
        .value_kind:     by_value
      - .offset:         52
        .size:           4
        .value_kind:     by_value
      - .offset:         56
        .size:           4
        .value_kind:     by_value
      - .offset:         64
        .size:           4
        .value_kind:     hidden_block_count_x
      - .offset:         68
        .size:           4
        .value_kind:     hidden_block_count_y
      - .offset:         72
        .size:           4
        .value_kind:     hidden_block_count_z
      - .offset:         76
        .size:           2
        .value_kind:     hidden_group_size_x
      - .offset:         78
        .size:           2
        .value_kind:     hidden_group_size_y
      - .offset:         80
        .size:           2
        .value_kind:     hidden_group_size_z
      - .offset:         82
        .size:           2
        .value_kind:     hidden_remainder_x
      - .offset:         84
        .size:           2
        .value_kind:     hidden_remainder_y
      - .offset:         86
        .size:           2
        .value_kind:     hidden_remainder_z
      - .offset:         104
        .size:           8
        .value_kind:     hidden_global_offset_x
      - .offset:         112
        .size:           8
        .value_kind:     hidden_global_offset_y
      - .offset:         120
        .size:           8
        .value_kind:     hidden_global_offset_z
      - .offset:         128
        .size:           2
        .value_kind:     hidden_grid_dims
      - .offset:         184
        .size:           4
        .value_kind:     hidden_dynamic_lds_size
    .group_segment_fixed_size: 0
    .kernarg_segment_align: 8
    .kernarg_segment_size: 320
    .language:       OpenCL C
    .language_version:
      - 2
      - 0
    .max_flat_workgroup_size: 1024
    .name:           _ZN5aiter19grouped_topk_kernelIN3c104HalfEDv2_fLi4ELb0ELb1ELb0EEEvPT_PKS4_PfPimiiiif
    .private_segment_fixed_size: 0
    .sgpr_count:     35
    .sgpr_spill_count: 0
    .symbol:         _ZN5aiter19grouped_topk_kernelIN3c104HalfEDv2_fLi4ELb0ELb1ELb0EEEvPT_PKS4_PfPimiiiif.kd
    .uniform_work_group_size: 1
    .uses_dynamic_stack: false
    .vgpr_count:     24
    .vgpr_spill_count: 0
    .wavefront_size: 64
  - .agpr_count:     0
    .args:
      - .actual_access:  read_only
        .address_space:  global
        .offset:         0
        .size:           8
        .value_kind:     global_buffer
      - .actual_access:  read_only
        .address_space:  global
        .offset:         8
        .size:           8
        .value_kind:     global_buffer
      - .actual_access:  write_only
        .address_space:  global
        .offset:         16
        .size:           8
        .value_kind:     global_buffer
      - .actual_access:  write_only
        .address_space:  global
        .offset:         24
        .size:           8
        .value_kind:     global_buffer
      - .offset:         32
        .size:           8
        .value_kind:     by_value
      - .offset:         40
        .size:           4
        .value_kind:     by_value
      - .offset:         44
        .size:           4
        .value_kind:     by_value
      - .offset:         48
        .size:           4
        .value_kind:     by_value
      - .offset:         52
        .size:           4
        .value_kind:     by_value
      - .offset:         56
        .size:           4
        .value_kind:     by_value
      - .offset:         64
        .size:           4
        .value_kind:     hidden_block_count_x
      - .offset:         68
        .size:           4
        .value_kind:     hidden_block_count_y
      - .offset:         72
        .size:           4
        .value_kind:     hidden_block_count_z
      - .offset:         76
        .size:           2
        .value_kind:     hidden_group_size_x
      - .offset:         78
        .size:           2
        .value_kind:     hidden_group_size_y
      - .offset:         80
        .size:           2
        .value_kind:     hidden_group_size_z
      - .offset:         82
        .size:           2
        .value_kind:     hidden_remainder_x
      - .offset:         84
        .size:           2
        .value_kind:     hidden_remainder_y
      - .offset:         86
        .size:           2
        .value_kind:     hidden_remainder_z
      - .offset:         104
        .size:           8
        .value_kind:     hidden_global_offset_x
      - .offset:         112
        .size:           8
        .value_kind:     hidden_global_offset_y
      - .offset:         120
        .size:           8
        .value_kind:     hidden_global_offset_z
      - .offset:         128
        .size:           2
        .value_kind:     hidden_grid_dims
      - .offset:         184
        .size:           4
        .value_kind:     hidden_dynamic_lds_size
    .group_segment_fixed_size: 0
    .kernarg_segment_align: 8
    .kernarg_segment_size: 320
    .language:       OpenCL C
    .language_version:
      - 2
      - 0
    .max_flat_workgroup_size: 1024
    .name:           _ZN5aiter19grouped_topk_kernelIN3c108BFloat16EDv2_fLi4ELb0ELb1ELb0EEEvPT_PKS4_PfPimiiiif
    .private_segment_fixed_size: 0
    .sgpr_count:     35
    .sgpr_spill_count: 0
    .symbol:         _ZN5aiter19grouped_topk_kernelIN3c108BFloat16EDv2_fLi4ELb0ELb1ELb0EEEvPT_PKS4_PfPimiiiif.kd
    .uniform_work_group_size: 1
    .uses_dynamic_stack: false
    .vgpr_count:     24
    .vgpr_spill_count: 0
    .wavefront_size: 64
  - .agpr_count:     0
    .args:
      - .actual_access:  read_only
        .address_space:  global
        .offset:         0
        .size:           8
        .value_kind:     global_buffer
      - .actual_access:  read_only
        .address_space:  global
        .offset:         8
        .size:           8
        .value_kind:     global_buffer
      - .actual_access:  write_only
        .address_space:  global
        .offset:         16
        .size:           8
        .value_kind:     global_buffer
      - .actual_access:  write_only
        .address_space:  global
        .offset:         24
        .size:           8
        .value_kind:     global_buffer
      - .offset:         32
        .size:           8
        .value_kind:     by_value
      - .offset:         40
        .size:           4
        .value_kind:     by_value
      - .offset:         44
        .size:           4
        .value_kind:     by_value
      - .offset:         48
        .size:           4
        .value_kind:     by_value
      - .offset:         52
        .size:           4
        .value_kind:     by_value
      - .offset:         56
        .size:           4
        .value_kind:     by_value
      - .offset:         64
        .size:           4
        .value_kind:     hidden_block_count_x
      - .offset:         68
        .size:           4
        .value_kind:     hidden_block_count_y
      - .offset:         72
        .size:           4
        .value_kind:     hidden_block_count_z
      - .offset:         76
        .size:           2
        .value_kind:     hidden_group_size_x
      - .offset:         78
        .size:           2
        .value_kind:     hidden_group_size_y
      - .offset:         80
        .size:           2
        .value_kind:     hidden_group_size_z
      - .offset:         82
        .size:           2
        .value_kind:     hidden_remainder_x
      - .offset:         84
        .size:           2
        .value_kind:     hidden_remainder_y
      - .offset:         86
        .size:           2
        .value_kind:     hidden_remainder_z
      - .offset:         104
        .size:           8
        .value_kind:     hidden_global_offset_x
      - .offset:         112
        .size:           8
        .value_kind:     hidden_global_offset_y
      - .offset:         120
        .size:           8
        .value_kind:     hidden_global_offset_z
      - .offset:         128
        .size:           2
        .value_kind:     hidden_grid_dims
      - .offset:         184
        .size:           4
        .value_kind:     hidden_dynamic_lds_size
    .group_segment_fixed_size: 0
    .kernarg_segment_align: 8
    .kernarg_segment_size: 320
    .language:       OpenCL C
    .language_version:
      - 2
      - 0
    .max_flat_workgroup_size: 1024
    .name:           _ZN5aiter19grouped_topk_kernelIfDv2_fLi4ELb0ELb0ELb1EEEvPT_PKS2_PfPimiiiif
    .private_segment_fixed_size: 0
    .sgpr_count:     28
    .sgpr_spill_count: 0
    .symbol:         _ZN5aiter19grouped_topk_kernelIfDv2_fLi4ELb0ELb0ELb1EEEvPT_PKS2_PfPimiiiif.kd
    .uniform_work_group_size: 1
    .uses_dynamic_stack: false
    .vgpr_count:     14
    .vgpr_spill_count: 0
    .wavefront_size: 64
  - .agpr_count:     0
    .args:
      - .actual_access:  read_only
        .address_space:  global
        .offset:         0
        .size:           8
        .value_kind:     global_buffer
      - .actual_access:  read_only
        .address_space:  global
        .offset:         8
        .size:           8
        .value_kind:     global_buffer
      - .actual_access:  write_only
        .address_space:  global
        .offset:         16
        .size:           8
        .value_kind:     global_buffer
      - .actual_access:  write_only
        .address_space:  global
        .offset:         24
        .size:           8
        .value_kind:     global_buffer
      - .offset:         32
        .size:           8
        .value_kind:     by_value
      - .offset:         40
        .size:           4
        .value_kind:     by_value
      - .offset:         44
        .size:           4
        .value_kind:     by_value
      - .offset:         48
        .size:           4
        .value_kind:     by_value
      - .offset:         52
        .size:           4
        .value_kind:     by_value
      - .offset:         56
        .size:           4
        .value_kind:     by_value
      - .offset:         64
        .size:           4
        .value_kind:     hidden_block_count_x
      - .offset:         68
        .size:           4
        .value_kind:     hidden_block_count_y
      - .offset:         72
        .size:           4
        .value_kind:     hidden_block_count_z
      - .offset:         76
        .size:           2
        .value_kind:     hidden_group_size_x
      - .offset:         78
        .size:           2
        .value_kind:     hidden_group_size_y
      - .offset:         80
        .size:           2
        .value_kind:     hidden_group_size_z
      - .offset:         82
        .size:           2
        .value_kind:     hidden_remainder_x
      - .offset:         84
        .size:           2
        .value_kind:     hidden_remainder_y
      - .offset:         86
        .size:           2
        .value_kind:     hidden_remainder_z
      - .offset:         104
        .size:           8
        .value_kind:     hidden_global_offset_x
      - .offset:         112
        .size:           8
        .value_kind:     hidden_global_offset_y
      - .offset:         120
        .size:           8
        .value_kind:     hidden_global_offset_z
      - .offset:         128
        .size:           2
        .value_kind:     hidden_grid_dims
      - .offset:         184
        .size:           4
        .value_kind:     hidden_dynamic_lds_size
    .group_segment_fixed_size: 0
    .kernarg_segment_align: 8
    .kernarg_segment_size: 320
    .language:       OpenCL C
    .language_version:
      - 2
      - 0
    .max_flat_workgroup_size: 1024
    .name:           _ZN5aiter19grouped_topk_kernelIN3c104HalfEDv2_fLi4ELb0ELb0ELb1EEEvPT_PKS4_PfPimiiiif
    .private_segment_fixed_size: 0
    .sgpr_count:     28
    .sgpr_spill_count: 0
    .symbol:         _ZN5aiter19grouped_topk_kernelIN3c104HalfEDv2_fLi4ELb0ELb0ELb1EEEvPT_PKS4_PfPimiiiif.kd
    .uniform_work_group_size: 1
    .uses_dynamic_stack: false
    .vgpr_count:     14
    .vgpr_spill_count: 0
    .wavefront_size: 64
  - .agpr_count:     0
    .args:
      - .actual_access:  read_only
        .address_space:  global
        .offset:         0
        .size:           8
        .value_kind:     global_buffer
      - .actual_access:  read_only
        .address_space:  global
        .offset:         8
        .size:           8
        .value_kind:     global_buffer
      - .actual_access:  write_only
        .address_space:  global
        .offset:         16
        .size:           8
        .value_kind:     global_buffer
      - .actual_access:  write_only
        .address_space:  global
        .offset:         24
        .size:           8
        .value_kind:     global_buffer
      - .offset:         32
        .size:           8
        .value_kind:     by_value
      - .offset:         40
        .size:           4
        .value_kind:     by_value
      - .offset:         44
        .size:           4
        .value_kind:     by_value
      - .offset:         48
        .size:           4
        .value_kind:     by_value
      - .offset:         52
        .size:           4
        .value_kind:     by_value
      - .offset:         56
        .size:           4
        .value_kind:     by_value
      - .offset:         64
        .size:           4
        .value_kind:     hidden_block_count_x
      - .offset:         68
        .size:           4
        .value_kind:     hidden_block_count_y
      - .offset:         72
        .size:           4
        .value_kind:     hidden_block_count_z
      - .offset:         76
        .size:           2
        .value_kind:     hidden_group_size_x
      - .offset:         78
        .size:           2
        .value_kind:     hidden_group_size_y
      - .offset:         80
        .size:           2
        .value_kind:     hidden_group_size_z
      - .offset:         82
        .size:           2
        .value_kind:     hidden_remainder_x
      - .offset:         84
        .size:           2
        .value_kind:     hidden_remainder_y
      - .offset:         86
        .size:           2
        .value_kind:     hidden_remainder_z
      - .offset:         104
        .size:           8
        .value_kind:     hidden_global_offset_x
      - .offset:         112
        .size:           8
        .value_kind:     hidden_global_offset_y
      - .offset:         120
        .size:           8
        .value_kind:     hidden_global_offset_z
      - .offset:         128
        .size:           2
        .value_kind:     hidden_grid_dims
      - .offset:         184
        .size:           4
        .value_kind:     hidden_dynamic_lds_size
    .group_segment_fixed_size: 0
    .kernarg_segment_align: 8
    .kernarg_segment_size: 320
    .language:       OpenCL C
    .language_version:
      - 2
      - 0
    .max_flat_workgroup_size: 1024
    .name:           _ZN5aiter19grouped_topk_kernelIN3c108BFloat16EDv2_fLi4ELb0ELb0ELb1EEEvPT_PKS4_PfPimiiiif
    .private_segment_fixed_size: 0
    .sgpr_count:     28
    .sgpr_spill_count: 0
    .symbol:         _ZN5aiter19grouped_topk_kernelIN3c108BFloat16EDv2_fLi4ELb0ELb0ELb1EEEvPT_PKS4_PfPimiiiif.kd
    .uniform_work_group_size: 1
    .uses_dynamic_stack: false
    .vgpr_count:     14
    .vgpr_spill_count: 0
    .wavefront_size: 64
  - .agpr_count:     0
    .args:
      - .actual_access:  read_only
        .address_space:  global
        .offset:         0
        .size:           8
        .value_kind:     global_buffer
      - .actual_access:  read_only
        .address_space:  global
        .offset:         8
        .size:           8
        .value_kind:     global_buffer
      - .actual_access:  write_only
        .address_space:  global
        .offset:         16
        .size:           8
        .value_kind:     global_buffer
      - .actual_access:  write_only
        .address_space:  global
        .offset:         24
        .size:           8
        .value_kind:     global_buffer
      - .offset:         32
        .size:           8
        .value_kind:     by_value
      - .offset:         40
        .size:           4
        .value_kind:     by_value
      - .offset:         44
        .size:           4
        .value_kind:     by_value
      - .offset:         48
        .size:           4
        .value_kind:     by_value
      - .offset:         52
        .size:           4
        .value_kind:     by_value
      - .offset:         56
        .size:           4
        .value_kind:     by_value
      - .offset:         64
        .size:           4
        .value_kind:     hidden_block_count_x
      - .offset:         68
        .size:           4
        .value_kind:     hidden_block_count_y
      - .offset:         72
        .size:           4
        .value_kind:     hidden_block_count_z
      - .offset:         76
        .size:           2
        .value_kind:     hidden_group_size_x
      - .offset:         78
        .size:           2
        .value_kind:     hidden_group_size_y
      - .offset:         80
        .size:           2
        .value_kind:     hidden_group_size_z
      - .offset:         82
        .size:           2
        .value_kind:     hidden_remainder_x
      - .offset:         84
        .size:           2
        .value_kind:     hidden_remainder_y
      - .offset:         86
        .size:           2
        .value_kind:     hidden_remainder_z
      - .offset:         104
        .size:           8
        .value_kind:     hidden_global_offset_x
      - .offset:         112
        .size:           8
        .value_kind:     hidden_global_offset_y
      - .offset:         120
        .size:           8
        .value_kind:     hidden_global_offset_z
      - .offset:         128
        .size:           2
        .value_kind:     hidden_grid_dims
      - .offset:         184
        .size:           4
        .value_kind:     hidden_dynamic_lds_size
    .group_segment_fixed_size: 0
    .kernarg_segment_align: 8
    .kernarg_segment_size: 320
    .language:       OpenCL C
    .language_version:
      - 2
      - 0
    .max_flat_workgroup_size: 1024
    .name:           _ZN5aiter19grouped_topk_kernelIfDv2_fLi4ELb0ELb0ELb0EEEvPT_PKS2_PfPimiiiif
    .private_segment_fixed_size: 0
    .sgpr_count:     29
    .sgpr_spill_count: 0
    .symbol:         _ZN5aiter19grouped_topk_kernelIfDv2_fLi4ELb0ELb0ELb0EEEvPT_PKS2_PfPimiiiif.kd
    .uniform_work_group_size: 1
    .uses_dynamic_stack: false
    .vgpr_count:     19
    .vgpr_spill_count: 0
    .wavefront_size: 64
  - .agpr_count:     0
    .args:
      - .actual_access:  read_only
        .address_space:  global
        .offset:         0
        .size:           8
        .value_kind:     global_buffer
      - .actual_access:  read_only
        .address_space:  global
        .offset:         8
        .size:           8
        .value_kind:     global_buffer
      - .actual_access:  write_only
        .address_space:  global
        .offset:         16
        .size:           8
        .value_kind:     global_buffer
      - .actual_access:  write_only
        .address_space:  global
        .offset:         24
        .size:           8
        .value_kind:     global_buffer
      - .offset:         32
        .size:           8
        .value_kind:     by_value
      - .offset:         40
        .size:           4
        .value_kind:     by_value
      - .offset:         44
        .size:           4
        .value_kind:     by_value
      - .offset:         48
        .size:           4
        .value_kind:     by_value
      - .offset:         52
        .size:           4
        .value_kind:     by_value
      - .offset:         56
        .size:           4
        .value_kind:     by_value
      - .offset:         64
        .size:           4
        .value_kind:     hidden_block_count_x
      - .offset:         68
        .size:           4
        .value_kind:     hidden_block_count_y
      - .offset:         72
        .size:           4
        .value_kind:     hidden_block_count_z
      - .offset:         76
        .size:           2
        .value_kind:     hidden_group_size_x
      - .offset:         78
        .size:           2
        .value_kind:     hidden_group_size_y
      - .offset:         80
        .size:           2
        .value_kind:     hidden_group_size_z
      - .offset:         82
        .size:           2
        .value_kind:     hidden_remainder_x
      - .offset:         84
        .size:           2
        .value_kind:     hidden_remainder_y
      - .offset:         86
        .size:           2
        .value_kind:     hidden_remainder_z
      - .offset:         104
        .size:           8
        .value_kind:     hidden_global_offset_x
      - .offset:         112
        .size:           8
        .value_kind:     hidden_global_offset_y
      - .offset:         120
        .size:           8
        .value_kind:     hidden_global_offset_z
      - .offset:         128
        .size:           2
        .value_kind:     hidden_grid_dims
      - .offset:         184
        .size:           4
        .value_kind:     hidden_dynamic_lds_size
    .group_segment_fixed_size: 0
    .kernarg_segment_align: 8
    .kernarg_segment_size: 320
    .language:       OpenCL C
    .language_version:
      - 2
      - 0
    .max_flat_workgroup_size: 1024
    .name:           _ZN5aiter19grouped_topk_kernelIN3c104HalfEDv2_fLi4ELb0ELb0ELb0EEEvPT_PKS4_PfPimiiiif
    .private_segment_fixed_size: 0
    .sgpr_count:     31
    .sgpr_spill_count: 0
    .symbol:         _ZN5aiter19grouped_topk_kernelIN3c104HalfEDv2_fLi4ELb0ELb0ELb0EEEvPT_PKS4_PfPimiiiif.kd
    .uniform_work_group_size: 1
    .uses_dynamic_stack: false
    .vgpr_count:     20
    .vgpr_spill_count: 0
    .wavefront_size: 64
  - .agpr_count:     0
    .args:
      - .actual_access:  read_only
        .address_space:  global
        .offset:         0
        .size:           8
        .value_kind:     global_buffer
      - .actual_access:  read_only
        .address_space:  global
        .offset:         8
        .size:           8
        .value_kind:     global_buffer
      - .actual_access:  write_only
        .address_space:  global
        .offset:         16
        .size:           8
        .value_kind:     global_buffer
      - .actual_access:  write_only
        .address_space:  global
        .offset:         24
        .size:           8
        .value_kind:     global_buffer
      - .offset:         32
        .size:           8
        .value_kind:     by_value
      - .offset:         40
        .size:           4
        .value_kind:     by_value
      - .offset:         44
        .size:           4
        .value_kind:     by_value
      - .offset:         48
        .size:           4
        .value_kind:     by_value
      - .offset:         52
        .size:           4
        .value_kind:     by_value
      - .offset:         56
        .size:           4
        .value_kind:     by_value
      - .offset:         64
        .size:           4
        .value_kind:     hidden_block_count_x
      - .offset:         68
        .size:           4
        .value_kind:     hidden_block_count_y
      - .offset:         72
        .size:           4
        .value_kind:     hidden_block_count_z
      - .offset:         76
        .size:           2
        .value_kind:     hidden_group_size_x
      - .offset:         78
        .size:           2
        .value_kind:     hidden_group_size_y
      - .offset:         80
        .size:           2
        .value_kind:     hidden_group_size_z
      - .offset:         82
        .size:           2
        .value_kind:     hidden_remainder_x
      - .offset:         84
        .size:           2
        .value_kind:     hidden_remainder_y
      - .offset:         86
        .size:           2
        .value_kind:     hidden_remainder_z
      - .offset:         104
        .size:           8
        .value_kind:     hidden_global_offset_x
      - .offset:         112
        .size:           8
        .value_kind:     hidden_global_offset_y
      - .offset:         120
        .size:           8
        .value_kind:     hidden_global_offset_z
      - .offset:         128
        .size:           2
        .value_kind:     hidden_grid_dims
      - .offset:         184
        .size:           4
        .value_kind:     hidden_dynamic_lds_size
    .group_segment_fixed_size: 0
    .kernarg_segment_align: 8
    .kernarg_segment_size: 320
    .language:       OpenCL C
    .language_version:
      - 2
      - 0
    .max_flat_workgroup_size: 1024
    .name:           _ZN5aiter19grouped_topk_kernelIN3c108BFloat16EDv2_fLi4ELb0ELb0ELb0EEEvPT_PKS4_PfPimiiiif
    .private_segment_fixed_size: 0
    .sgpr_count:     30
    .sgpr_spill_count: 0
    .symbol:         _ZN5aiter19grouped_topk_kernelIN3c108BFloat16EDv2_fLi4ELb0ELb0ELb0EEEvPT_PKS4_PfPimiiiif.kd
    .uniform_work_group_size: 1
    .uses_dynamic_stack: false
    .vgpr_count:     20
    .vgpr_spill_count: 0
    .wavefront_size: 64
  - .agpr_count:     0
    .args:
      - .actual_access:  read_only
        .address_space:  global
        .offset:         0
        .size:           8
        .value_kind:     global_buffer
      - .actual_access:  read_only
        .address_space:  global
        .offset:         8
        .size:           8
        .value_kind:     global_buffer
      - .actual_access:  read_only
        .address_space:  global
        .offset:         16
        .size:           8
        .value_kind:     global_buffer
      - .actual_access:  read_only
        .address_space:  global
        .offset:         24
        .size:           8
        .value_kind:     global_buffer
      - .offset:         32
        .size:           8
        .value_kind:     by_value
      - .offset:         40
        .size:           4
        .value_kind:     by_value
      - .offset:         44
        .size:           4
        .value_kind:     by_value
      - .offset:         48
        .size:           4
        .value_kind:     by_value
      - .offset:         52
        .size:           4
        .value_kind:     by_value
      - .offset:         56
        .size:           4
        .value_kind:     by_value
    .group_segment_fixed_size: 0
    .kernarg_segment_align: 8
    .kernarg_segment_size: 60
    .language:       OpenCL C
    .language_version:
      - 2
      - 0
    .max_flat_workgroup_size: 1024
    .name:           _ZN5aiter28grouped_topk_opt_sort_kernelIfDv2_fLi2ELb1ELb1ELb0EEEvPT_PKS2_PfPimiiiif
    .private_segment_fixed_size: 0
    .sgpr_count:     13
    .sgpr_spill_count: 0
    .symbol:         _ZN5aiter28grouped_topk_opt_sort_kernelIfDv2_fLi2ELb1ELb1ELb0EEEvPT_PKS2_PfPimiiiif.kd
    .uniform_work_group_size: 1
    .uses_dynamic_stack: false
    .vgpr_count:     14
    .vgpr_spill_count: 0
    .wavefront_size: 64
  - .agpr_count:     0
    .args:
      - .actual_access:  read_only
        .address_space:  global
        .offset:         0
        .size:           8
        .value_kind:     global_buffer
      - .actual_access:  read_only
        .address_space:  global
        .offset:         8
        .size:           8
        .value_kind:     global_buffer
      - .actual_access:  read_only
        .address_space:  global
        .offset:         16
        .size:           8
        .value_kind:     global_buffer
      - .actual_access:  read_only
        .address_space:  global
        .offset:         24
        .size:           8
        .value_kind:     global_buffer
      - .offset:         32
        .size:           8
        .value_kind:     by_value
      - .offset:         40
        .size:           4
        .value_kind:     by_value
      - .offset:         44
        .size:           4
        .value_kind:     by_value
      - .offset:         48
        .size:           4
        .value_kind:     by_value
      - .offset:         52
        .size:           4
        .value_kind:     by_value
      - .offset:         56
        .size:           4
        .value_kind:     by_value
    .group_segment_fixed_size: 0
    .kernarg_segment_align: 8
    .kernarg_segment_size: 60
    .language:       OpenCL C
    .language_version:
      - 2
      - 0
    .max_flat_workgroup_size: 1024
    .name:           _ZN5aiter28grouped_topk_opt_sort_kernelIN3c104HalfEDv2_fLi2ELb1ELb1ELb0EEEvPT_PKS4_PfPimiiiif
    .private_segment_fixed_size: 0
    .sgpr_count:     13
    .sgpr_spill_count: 0
    .symbol:         _ZN5aiter28grouped_topk_opt_sort_kernelIN3c104HalfEDv2_fLi2ELb1ELb1ELb0EEEvPT_PKS4_PfPimiiiif.kd
    .uniform_work_group_size: 1
    .uses_dynamic_stack: false
    .vgpr_count:     13
    .vgpr_spill_count: 0
    .wavefront_size: 64
  - .agpr_count:     0
    .args:
      - .actual_access:  read_only
        .address_space:  global
        .offset:         0
        .size:           8
        .value_kind:     global_buffer
      - .actual_access:  read_only
        .address_space:  global
        .offset:         8
        .size:           8
        .value_kind:     global_buffer
      - .actual_access:  read_only
        .address_space:  global
        .offset:         16
        .size:           8
        .value_kind:     global_buffer
      - .actual_access:  read_only
        .address_space:  global
        .offset:         24
        .size:           8
        .value_kind:     global_buffer
      - .offset:         32
        .size:           8
        .value_kind:     by_value
      - .offset:         40
        .size:           4
        .value_kind:     by_value
      - .offset:         44
        .size:           4
        .value_kind:     by_value
      - .offset:         48
        .size:           4
        .value_kind:     by_value
      - .offset:         52
        .size:           4
        .value_kind:     by_value
      - .offset:         56
        .size:           4
        .value_kind:     by_value
    .group_segment_fixed_size: 0
    .kernarg_segment_align: 8
    .kernarg_segment_size: 60
    .language:       OpenCL C
    .language_version:
      - 2
      - 0
    .max_flat_workgroup_size: 1024
    .name:           _ZN5aiter28grouped_topk_opt_sort_kernelIN3c108BFloat16EDv2_fLi2ELb1ELb1ELb0EEEvPT_PKS4_PfPimiiiif
    .private_segment_fixed_size: 0
    .sgpr_count:     13
    .sgpr_spill_count: 0
    .symbol:         _ZN5aiter28grouped_topk_opt_sort_kernelIN3c108BFloat16EDv2_fLi2ELb1ELb1ELb0EEEvPT_PKS4_PfPimiiiif.kd
    .uniform_work_group_size: 1
    .uses_dynamic_stack: false
    .vgpr_count:     13
    .vgpr_spill_count: 0
    .wavefront_size: 64
  - .agpr_count:     0
    .args:
      - .actual_access:  read_only
        .address_space:  global
        .offset:         0
        .size:           8
        .value_kind:     global_buffer
      - .actual_access:  read_only
        .address_space:  global
        .offset:         8
        .size:           8
        .value_kind:     global_buffer
      - .actual_access:  write_only
        .address_space:  global
        .offset:         16
        .size:           8
        .value_kind:     global_buffer
      - .actual_access:  write_only
        .address_space:  global
        .offset:         24
        .size:           8
        .value_kind:     global_buffer
      - .offset:         32
        .size:           8
        .value_kind:     by_value
      - .offset:         40
        .size:           4
        .value_kind:     by_value
      - .offset:         44
        .size:           4
        .value_kind:     by_value
      - .offset:         48
        .size:           4
        .value_kind:     by_value
      - .offset:         52
        .size:           4
        .value_kind:     by_value
      - .offset:         56
        .size:           4
        .value_kind:     by_value
      - .offset:         64
        .size:           4
        .value_kind:     hidden_block_count_x
      - .offset:         68
        .size:           4
        .value_kind:     hidden_block_count_y
      - .offset:         72
        .size:           4
        .value_kind:     hidden_block_count_z
      - .offset:         76
        .size:           2
        .value_kind:     hidden_group_size_x
      - .offset:         78
        .size:           2
        .value_kind:     hidden_group_size_y
      - .offset:         80
        .size:           2
        .value_kind:     hidden_group_size_z
      - .offset:         82
        .size:           2
        .value_kind:     hidden_remainder_x
      - .offset:         84
        .size:           2
        .value_kind:     hidden_remainder_y
      - .offset:         86
        .size:           2
        .value_kind:     hidden_remainder_z
      - .offset:         104
        .size:           8
        .value_kind:     hidden_global_offset_x
      - .offset:         112
        .size:           8
        .value_kind:     hidden_global_offset_y
      - .offset:         120
        .size:           8
        .value_kind:     hidden_global_offset_z
      - .offset:         128
        .size:           2
        .value_kind:     hidden_grid_dims
      - .offset:         184
        .size:           4
        .value_kind:     hidden_dynamic_lds_size
    .group_segment_fixed_size: 0
    .kernarg_segment_align: 8
    .kernarg_segment_size: 320
    .language:       OpenCL C
    .language_version:
      - 2
      - 0
    .max_flat_workgroup_size: 1024
    .name:           _ZN5aiter19grouped_topk_kernelIfDv2_fLi2ELb1ELb1ELb0EEEvPT_PKS2_PfPimiiiif
    .private_segment_fixed_size: 0
    .sgpr_count:     34
    .sgpr_spill_count: 0
    .symbol:         _ZN5aiter19grouped_topk_kernelIfDv2_fLi2ELb1ELb1ELb0EEEvPT_PKS2_PfPimiiiif.kd
    .uniform_work_group_size: 1
    .uses_dynamic_stack: false
    .vgpr_count:     23
    .vgpr_spill_count: 0
    .wavefront_size: 64
  - .agpr_count:     0
    .args:
      - .actual_access:  read_only
        .address_space:  global
        .offset:         0
        .size:           8
        .value_kind:     global_buffer
      - .actual_access:  read_only
        .address_space:  global
        .offset:         8
        .size:           8
        .value_kind:     global_buffer
      - .actual_access:  write_only
        .address_space:  global
        .offset:         16
        .size:           8
        .value_kind:     global_buffer
      - .actual_access:  write_only
        .address_space:  global
        .offset:         24
        .size:           8
        .value_kind:     global_buffer
      - .offset:         32
        .size:           8
        .value_kind:     by_value
      - .offset:         40
        .size:           4
        .value_kind:     by_value
      - .offset:         44
        .size:           4
        .value_kind:     by_value
      - .offset:         48
        .size:           4
        .value_kind:     by_value
      - .offset:         52
        .size:           4
        .value_kind:     by_value
      - .offset:         56
        .size:           4
        .value_kind:     by_value
      - .offset:         64
        .size:           4
        .value_kind:     hidden_block_count_x
      - .offset:         68
        .size:           4
        .value_kind:     hidden_block_count_y
      - .offset:         72
        .size:           4
        .value_kind:     hidden_block_count_z
      - .offset:         76
        .size:           2
        .value_kind:     hidden_group_size_x
      - .offset:         78
        .size:           2
        .value_kind:     hidden_group_size_y
      - .offset:         80
        .size:           2
        .value_kind:     hidden_group_size_z
      - .offset:         82
        .size:           2
        .value_kind:     hidden_remainder_x
      - .offset:         84
        .size:           2
        .value_kind:     hidden_remainder_y
      - .offset:         86
        .size:           2
        .value_kind:     hidden_remainder_z
      - .offset:         104
        .size:           8
        .value_kind:     hidden_global_offset_x
      - .offset:         112
        .size:           8
        .value_kind:     hidden_global_offset_y
      - .offset:         120
        .size:           8
        .value_kind:     hidden_global_offset_z
      - .offset:         128
        .size:           2
        .value_kind:     hidden_grid_dims
      - .offset:         184
        .size:           4
        .value_kind:     hidden_dynamic_lds_size
    .group_segment_fixed_size: 0
    .kernarg_segment_align: 8
    .kernarg_segment_size: 320
    .language:       OpenCL C
    .language_version:
      - 2
      - 0
    .max_flat_workgroup_size: 1024
    .name:           _ZN5aiter19grouped_topk_kernelIN3c104HalfEDv2_fLi2ELb1ELb1ELb0EEEvPT_PKS4_PfPimiiiif
    .private_segment_fixed_size: 0
    .sgpr_count:     34
    .sgpr_spill_count: 0
    .symbol:         _ZN5aiter19grouped_topk_kernelIN3c104HalfEDv2_fLi2ELb1ELb1ELb0EEEvPT_PKS4_PfPimiiiif.kd
    .uniform_work_group_size: 1
    .uses_dynamic_stack: false
    .vgpr_count:     24
    .vgpr_spill_count: 0
    .wavefront_size: 64
  - .agpr_count:     0
    .args:
      - .actual_access:  read_only
        .address_space:  global
        .offset:         0
        .size:           8
        .value_kind:     global_buffer
      - .actual_access:  read_only
        .address_space:  global
        .offset:         8
        .size:           8
        .value_kind:     global_buffer
      - .actual_access:  write_only
        .address_space:  global
        .offset:         16
        .size:           8
        .value_kind:     global_buffer
      - .actual_access:  write_only
        .address_space:  global
        .offset:         24
        .size:           8
        .value_kind:     global_buffer
      - .offset:         32
        .size:           8
        .value_kind:     by_value
      - .offset:         40
        .size:           4
        .value_kind:     by_value
      - .offset:         44
        .size:           4
        .value_kind:     by_value
      - .offset:         48
        .size:           4
        .value_kind:     by_value
      - .offset:         52
        .size:           4
        .value_kind:     by_value
      - .offset:         56
        .size:           4
        .value_kind:     by_value
      - .offset:         64
        .size:           4
        .value_kind:     hidden_block_count_x
      - .offset:         68
        .size:           4
        .value_kind:     hidden_block_count_y
      - .offset:         72
        .size:           4
        .value_kind:     hidden_block_count_z
      - .offset:         76
        .size:           2
        .value_kind:     hidden_group_size_x
      - .offset:         78
        .size:           2
        .value_kind:     hidden_group_size_y
      - .offset:         80
        .size:           2
        .value_kind:     hidden_group_size_z
      - .offset:         82
        .size:           2
        .value_kind:     hidden_remainder_x
      - .offset:         84
        .size:           2
        .value_kind:     hidden_remainder_y
      - .offset:         86
        .size:           2
        .value_kind:     hidden_remainder_z
      - .offset:         104
        .size:           8
        .value_kind:     hidden_global_offset_x
      - .offset:         112
        .size:           8
        .value_kind:     hidden_global_offset_y
      - .offset:         120
        .size:           8
        .value_kind:     hidden_global_offset_z
      - .offset:         128
        .size:           2
        .value_kind:     hidden_grid_dims
      - .offset:         184
        .size:           4
        .value_kind:     hidden_dynamic_lds_size
    .group_segment_fixed_size: 0
    .kernarg_segment_align: 8
    .kernarg_segment_size: 320
    .language:       OpenCL C
    .language_version:
      - 2
      - 0
    .max_flat_workgroup_size: 1024
    .name:           _ZN5aiter19grouped_topk_kernelIN3c108BFloat16EDv2_fLi2ELb1ELb1ELb0EEEvPT_PKS4_PfPimiiiif
    .private_segment_fixed_size: 0
    .sgpr_count:     34
    .sgpr_spill_count: 0
    .symbol:         _ZN5aiter19grouped_topk_kernelIN3c108BFloat16EDv2_fLi2ELb1ELb1ELb0EEEvPT_PKS4_PfPimiiiif.kd
    .uniform_work_group_size: 1
    .uses_dynamic_stack: false
    .vgpr_count:     24
    .vgpr_spill_count: 0
    .wavefront_size: 64
  - .agpr_count:     0
    .args:
      - .actual_access:  read_only
        .address_space:  global
        .offset:         0
        .size:           8
        .value_kind:     global_buffer
      - .actual_access:  read_only
        .address_space:  global
        .offset:         8
        .size:           8
        .value_kind:     global_buffer
      - .actual_access:  write_only
        .address_space:  global
        .offset:         16
        .size:           8
        .value_kind:     global_buffer
      - .actual_access:  write_only
        .address_space:  global
        .offset:         24
        .size:           8
        .value_kind:     global_buffer
      - .offset:         32
        .size:           8
        .value_kind:     by_value
      - .offset:         40
        .size:           4
        .value_kind:     by_value
      - .offset:         44
        .size:           4
        .value_kind:     by_value
      - .offset:         48
        .size:           4
        .value_kind:     by_value
      - .offset:         52
        .size:           4
        .value_kind:     by_value
      - .offset:         56
        .size:           4
        .value_kind:     by_value
      - .offset:         64
        .size:           4
        .value_kind:     hidden_block_count_x
      - .offset:         68
        .size:           4
        .value_kind:     hidden_block_count_y
      - .offset:         72
        .size:           4
        .value_kind:     hidden_block_count_z
      - .offset:         76
        .size:           2
        .value_kind:     hidden_group_size_x
      - .offset:         78
        .size:           2
        .value_kind:     hidden_group_size_y
      - .offset:         80
        .size:           2
        .value_kind:     hidden_group_size_z
      - .offset:         82
        .size:           2
        .value_kind:     hidden_remainder_x
      - .offset:         84
        .size:           2
        .value_kind:     hidden_remainder_y
      - .offset:         86
        .size:           2
        .value_kind:     hidden_remainder_z
      - .offset:         104
        .size:           8
        .value_kind:     hidden_global_offset_x
      - .offset:         112
        .size:           8
        .value_kind:     hidden_global_offset_y
      - .offset:         120
        .size:           8
        .value_kind:     hidden_global_offset_z
      - .offset:         128
        .size:           2
        .value_kind:     hidden_grid_dims
      - .offset:         184
        .size:           4
        .value_kind:     hidden_dynamic_lds_size
    .group_segment_fixed_size: 0
    .kernarg_segment_align: 8
    .kernarg_segment_size: 320
    .language:       OpenCL C
    .language_version:
      - 2
      - 0
    .max_flat_workgroup_size: 1024
    .name:           _ZN5aiter19grouped_topk_kernelIfDv2_fLi2ELb1ELb0ELb1EEEvPT_PKS2_PfPimiiiif
    .private_segment_fixed_size: 0
    .sgpr_count:     28
    .sgpr_spill_count: 0
    .symbol:         _ZN5aiter19grouped_topk_kernelIfDv2_fLi2ELb1ELb0ELb1EEEvPT_PKS2_PfPimiiiif.kd
    .uniform_work_group_size: 1
    .uses_dynamic_stack: false
    .vgpr_count:     15
    .vgpr_spill_count: 0
    .wavefront_size: 64
  - .agpr_count:     0
    .args:
      - .actual_access:  read_only
        .address_space:  global
        .offset:         0
        .size:           8
        .value_kind:     global_buffer
      - .actual_access:  read_only
        .address_space:  global
        .offset:         8
        .size:           8
        .value_kind:     global_buffer
      - .actual_access:  write_only
        .address_space:  global
        .offset:         16
        .size:           8
        .value_kind:     global_buffer
      - .actual_access:  write_only
        .address_space:  global
        .offset:         24
        .size:           8
        .value_kind:     global_buffer
      - .offset:         32
        .size:           8
        .value_kind:     by_value
      - .offset:         40
        .size:           4
        .value_kind:     by_value
      - .offset:         44
        .size:           4
        .value_kind:     by_value
      - .offset:         48
        .size:           4
        .value_kind:     by_value
      - .offset:         52
        .size:           4
        .value_kind:     by_value
      - .offset:         56
        .size:           4
        .value_kind:     by_value
      - .offset:         64
        .size:           4
        .value_kind:     hidden_block_count_x
      - .offset:         68
        .size:           4
        .value_kind:     hidden_block_count_y
      - .offset:         72
        .size:           4
        .value_kind:     hidden_block_count_z
      - .offset:         76
        .size:           2
        .value_kind:     hidden_group_size_x
      - .offset:         78
        .size:           2
        .value_kind:     hidden_group_size_y
      - .offset:         80
        .size:           2
        .value_kind:     hidden_group_size_z
      - .offset:         82
        .size:           2
        .value_kind:     hidden_remainder_x
      - .offset:         84
        .size:           2
        .value_kind:     hidden_remainder_y
      - .offset:         86
        .size:           2
        .value_kind:     hidden_remainder_z
      - .offset:         104
        .size:           8
        .value_kind:     hidden_global_offset_x
      - .offset:         112
        .size:           8
        .value_kind:     hidden_global_offset_y
      - .offset:         120
        .size:           8
        .value_kind:     hidden_global_offset_z
      - .offset:         128
        .size:           2
        .value_kind:     hidden_grid_dims
      - .offset:         184
        .size:           4
        .value_kind:     hidden_dynamic_lds_size
    .group_segment_fixed_size: 0
    .kernarg_segment_align: 8
    .kernarg_segment_size: 320
    .language:       OpenCL C
    .language_version:
      - 2
      - 0
    .max_flat_workgroup_size: 1024
    .name:           _ZN5aiter19grouped_topk_kernelIN3c104HalfEDv2_fLi2ELb1ELb0ELb1EEEvPT_PKS4_PfPimiiiif
    .private_segment_fixed_size: 0
    .sgpr_count:     28
    .sgpr_spill_count: 0
    .symbol:         _ZN5aiter19grouped_topk_kernelIN3c104HalfEDv2_fLi2ELb1ELb0ELb1EEEvPT_PKS4_PfPimiiiif.kd
    .uniform_work_group_size: 1
    .uses_dynamic_stack: false
    .vgpr_count:     15
    .vgpr_spill_count: 0
    .wavefront_size: 64
  - .agpr_count:     0
    .args:
      - .actual_access:  read_only
        .address_space:  global
        .offset:         0
        .size:           8
        .value_kind:     global_buffer
      - .actual_access:  read_only
        .address_space:  global
        .offset:         8
        .size:           8
        .value_kind:     global_buffer
      - .actual_access:  write_only
        .address_space:  global
        .offset:         16
        .size:           8
        .value_kind:     global_buffer
      - .actual_access:  write_only
        .address_space:  global
        .offset:         24
        .size:           8
        .value_kind:     global_buffer
      - .offset:         32
        .size:           8
        .value_kind:     by_value
      - .offset:         40
        .size:           4
        .value_kind:     by_value
      - .offset:         44
        .size:           4
        .value_kind:     by_value
      - .offset:         48
        .size:           4
        .value_kind:     by_value
      - .offset:         52
        .size:           4
        .value_kind:     by_value
      - .offset:         56
        .size:           4
        .value_kind:     by_value
      - .offset:         64
        .size:           4
        .value_kind:     hidden_block_count_x
      - .offset:         68
        .size:           4
        .value_kind:     hidden_block_count_y
      - .offset:         72
        .size:           4
        .value_kind:     hidden_block_count_z
      - .offset:         76
        .size:           2
        .value_kind:     hidden_group_size_x
      - .offset:         78
        .size:           2
        .value_kind:     hidden_group_size_y
      - .offset:         80
        .size:           2
        .value_kind:     hidden_group_size_z
      - .offset:         82
        .size:           2
        .value_kind:     hidden_remainder_x
      - .offset:         84
        .size:           2
        .value_kind:     hidden_remainder_y
      - .offset:         86
        .size:           2
        .value_kind:     hidden_remainder_z
      - .offset:         104
        .size:           8
        .value_kind:     hidden_global_offset_x
      - .offset:         112
        .size:           8
        .value_kind:     hidden_global_offset_y
      - .offset:         120
        .size:           8
        .value_kind:     hidden_global_offset_z
      - .offset:         128
        .size:           2
        .value_kind:     hidden_grid_dims
      - .offset:         184
        .size:           4
        .value_kind:     hidden_dynamic_lds_size
    .group_segment_fixed_size: 0
    .kernarg_segment_align: 8
    .kernarg_segment_size: 320
    .language:       OpenCL C
    .language_version:
      - 2
      - 0
    .max_flat_workgroup_size: 1024
    .name:           _ZN5aiter19grouped_topk_kernelIN3c108BFloat16EDv2_fLi2ELb1ELb0ELb1EEEvPT_PKS4_PfPimiiiif
    .private_segment_fixed_size: 0
    .sgpr_count:     28
    .sgpr_spill_count: 0
    .symbol:         _ZN5aiter19grouped_topk_kernelIN3c108BFloat16EDv2_fLi2ELb1ELb0ELb1EEEvPT_PKS4_PfPimiiiif.kd
    .uniform_work_group_size: 1
    .uses_dynamic_stack: false
    .vgpr_count:     15
    .vgpr_spill_count: 0
    .wavefront_size: 64
  - .agpr_count:     0
    .args:
      - .actual_access:  read_only
        .address_space:  global
        .offset:         0
        .size:           8
        .value_kind:     global_buffer
      - .actual_access:  read_only
        .address_space:  global
        .offset:         8
        .size:           8
        .value_kind:     global_buffer
      - .actual_access:  write_only
        .address_space:  global
        .offset:         16
        .size:           8
        .value_kind:     global_buffer
      - .actual_access:  write_only
        .address_space:  global
        .offset:         24
        .size:           8
        .value_kind:     global_buffer
      - .offset:         32
        .size:           8
        .value_kind:     by_value
      - .offset:         40
        .size:           4
        .value_kind:     by_value
      - .offset:         44
        .size:           4
        .value_kind:     by_value
      - .offset:         48
        .size:           4
        .value_kind:     by_value
      - .offset:         52
        .size:           4
        .value_kind:     by_value
      - .offset:         56
        .size:           4
        .value_kind:     by_value
      - .offset:         64
        .size:           4
        .value_kind:     hidden_block_count_x
      - .offset:         68
        .size:           4
        .value_kind:     hidden_block_count_y
      - .offset:         72
        .size:           4
        .value_kind:     hidden_block_count_z
      - .offset:         76
        .size:           2
        .value_kind:     hidden_group_size_x
      - .offset:         78
        .size:           2
        .value_kind:     hidden_group_size_y
      - .offset:         80
        .size:           2
        .value_kind:     hidden_group_size_z
      - .offset:         82
        .size:           2
        .value_kind:     hidden_remainder_x
      - .offset:         84
        .size:           2
        .value_kind:     hidden_remainder_y
      - .offset:         86
        .size:           2
        .value_kind:     hidden_remainder_z
      - .offset:         104
        .size:           8
        .value_kind:     hidden_global_offset_x
      - .offset:         112
        .size:           8
        .value_kind:     hidden_global_offset_y
      - .offset:         120
        .size:           8
        .value_kind:     hidden_global_offset_z
      - .offset:         128
        .size:           2
        .value_kind:     hidden_grid_dims
      - .offset:         184
        .size:           4
        .value_kind:     hidden_dynamic_lds_size
    .group_segment_fixed_size: 0
    .kernarg_segment_align: 8
    .kernarg_segment_size: 320
    .language:       OpenCL C
    .language_version:
      - 2
      - 0
    .max_flat_workgroup_size: 1024
    .name:           _ZN5aiter19grouped_topk_kernelIfDv2_fLi2ELb1ELb0ELb0EEEvPT_PKS2_PfPimiiiif
    .private_segment_fixed_size: 0
    .sgpr_count:     29
    .sgpr_spill_count: 0
    .symbol:         _ZN5aiter19grouped_topk_kernelIfDv2_fLi2ELb1ELb0ELb0EEEvPT_PKS2_PfPimiiiif.kd
    .uniform_work_group_size: 1
    .uses_dynamic_stack: false
    .vgpr_count:     19
    .vgpr_spill_count: 0
    .wavefront_size: 64
  - .agpr_count:     0
    .args:
      - .actual_access:  read_only
        .address_space:  global
        .offset:         0
        .size:           8
        .value_kind:     global_buffer
      - .actual_access:  read_only
        .address_space:  global
        .offset:         8
        .size:           8
        .value_kind:     global_buffer
      - .actual_access:  write_only
        .address_space:  global
        .offset:         16
        .size:           8
        .value_kind:     global_buffer
      - .actual_access:  write_only
        .address_space:  global
        .offset:         24
        .size:           8
        .value_kind:     global_buffer
      - .offset:         32
        .size:           8
        .value_kind:     by_value
      - .offset:         40
        .size:           4
        .value_kind:     by_value
      - .offset:         44
        .size:           4
        .value_kind:     by_value
      - .offset:         48
        .size:           4
        .value_kind:     by_value
      - .offset:         52
        .size:           4
        .value_kind:     by_value
      - .offset:         56
        .size:           4
        .value_kind:     by_value
      - .offset:         64
        .size:           4
        .value_kind:     hidden_block_count_x
      - .offset:         68
        .size:           4
        .value_kind:     hidden_block_count_y
      - .offset:         72
        .size:           4
        .value_kind:     hidden_block_count_z
      - .offset:         76
        .size:           2
        .value_kind:     hidden_group_size_x
      - .offset:         78
        .size:           2
        .value_kind:     hidden_group_size_y
      - .offset:         80
        .size:           2
        .value_kind:     hidden_group_size_z
      - .offset:         82
        .size:           2
        .value_kind:     hidden_remainder_x
      - .offset:         84
        .size:           2
        .value_kind:     hidden_remainder_y
      - .offset:         86
        .size:           2
        .value_kind:     hidden_remainder_z
      - .offset:         104
        .size:           8
        .value_kind:     hidden_global_offset_x
      - .offset:         112
        .size:           8
        .value_kind:     hidden_global_offset_y
      - .offset:         120
        .size:           8
        .value_kind:     hidden_global_offset_z
      - .offset:         128
        .size:           2
        .value_kind:     hidden_grid_dims
      - .offset:         184
        .size:           4
        .value_kind:     hidden_dynamic_lds_size
    .group_segment_fixed_size: 0
    .kernarg_segment_align: 8
    .kernarg_segment_size: 320
    .language:       OpenCL C
    .language_version:
      - 2
      - 0
    .max_flat_workgroup_size: 1024
    .name:           _ZN5aiter19grouped_topk_kernelIN3c104HalfEDv2_fLi2ELb1ELb0ELb0EEEvPT_PKS4_PfPimiiiif
    .private_segment_fixed_size: 0
    .sgpr_count:     31
    .sgpr_spill_count: 0
    .symbol:         _ZN5aiter19grouped_topk_kernelIN3c104HalfEDv2_fLi2ELb1ELb0ELb0EEEvPT_PKS4_PfPimiiiif.kd
    .uniform_work_group_size: 1
    .uses_dynamic_stack: false
    .vgpr_count:     20
    .vgpr_spill_count: 0
    .wavefront_size: 64
  - .agpr_count:     0
    .args:
      - .actual_access:  read_only
        .address_space:  global
        .offset:         0
        .size:           8
        .value_kind:     global_buffer
      - .actual_access:  read_only
        .address_space:  global
        .offset:         8
        .size:           8
        .value_kind:     global_buffer
      - .actual_access:  write_only
        .address_space:  global
        .offset:         16
        .size:           8
        .value_kind:     global_buffer
      - .actual_access:  write_only
        .address_space:  global
        .offset:         24
        .size:           8
        .value_kind:     global_buffer
      - .offset:         32
        .size:           8
        .value_kind:     by_value
      - .offset:         40
        .size:           4
        .value_kind:     by_value
      - .offset:         44
        .size:           4
        .value_kind:     by_value
      - .offset:         48
        .size:           4
        .value_kind:     by_value
      - .offset:         52
        .size:           4
        .value_kind:     by_value
      - .offset:         56
        .size:           4
        .value_kind:     by_value
      - .offset:         64
        .size:           4
        .value_kind:     hidden_block_count_x
      - .offset:         68
        .size:           4
        .value_kind:     hidden_block_count_y
      - .offset:         72
        .size:           4
        .value_kind:     hidden_block_count_z
      - .offset:         76
        .size:           2
        .value_kind:     hidden_group_size_x
      - .offset:         78
        .size:           2
        .value_kind:     hidden_group_size_y
      - .offset:         80
        .size:           2
        .value_kind:     hidden_group_size_z
      - .offset:         82
        .size:           2
        .value_kind:     hidden_remainder_x
      - .offset:         84
        .size:           2
        .value_kind:     hidden_remainder_y
      - .offset:         86
        .size:           2
        .value_kind:     hidden_remainder_z
      - .offset:         104
        .size:           8
        .value_kind:     hidden_global_offset_x
      - .offset:         112
        .size:           8
        .value_kind:     hidden_global_offset_y
      - .offset:         120
        .size:           8
        .value_kind:     hidden_global_offset_z
      - .offset:         128
        .size:           2
        .value_kind:     hidden_grid_dims
      - .offset:         184
        .size:           4
        .value_kind:     hidden_dynamic_lds_size
    .group_segment_fixed_size: 0
    .kernarg_segment_align: 8
    .kernarg_segment_size: 320
    .language:       OpenCL C
    .language_version:
      - 2
      - 0
    .max_flat_workgroup_size: 1024
    .name:           _ZN5aiter19grouped_topk_kernelIN3c108BFloat16EDv2_fLi2ELb1ELb0ELb0EEEvPT_PKS4_PfPimiiiif
    .private_segment_fixed_size: 0
    .sgpr_count:     30
    .sgpr_spill_count: 0
    .symbol:         _ZN5aiter19grouped_topk_kernelIN3c108BFloat16EDv2_fLi2ELb1ELb0ELb0EEEvPT_PKS4_PfPimiiiif.kd
    .uniform_work_group_size: 1
    .uses_dynamic_stack: false
    .vgpr_count:     20
    .vgpr_spill_count: 0
    .wavefront_size: 64
  - .agpr_count:     0
    .args:
      - .actual_access:  read_only
        .address_space:  global
        .offset:         0
        .size:           8
        .value_kind:     global_buffer
      - .actual_access:  read_only
        .address_space:  global
        .offset:         8
        .size:           8
        .value_kind:     global_buffer
      - .actual_access:  read_only
        .address_space:  global
        .offset:         16
        .size:           8
        .value_kind:     global_buffer
      - .actual_access:  read_only
        .address_space:  global
        .offset:         24
        .size:           8
        .value_kind:     global_buffer
      - .offset:         32
        .size:           8
        .value_kind:     by_value
      - .offset:         40
        .size:           4
        .value_kind:     by_value
      - .offset:         44
        .size:           4
        .value_kind:     by_value
      - .offset:         48
        .size:           4
        .value_kind:     by_value
      - .offset:         52
        .size:           4
        .value_kind:     by_value
      - .offset:         56
        .size:           4
        .value_kind:     by_value
    .group_segment_fixed_size: 0
    .kernarg_segment_align: 8
    .kernarg_segment_size: 60
    .language:       OpenCL C
    .language_version:
      - 2
      - 0
    .max_flat_workgroup_size: 1024
    .name:           _ZN5aiter28grouped_topk_opt_sort_kernelIfDv2_fLi2ELb0ELb1ELb0EEEvPT_PKS2_PfPimiiiif
    .private_segment_fixed_size: 0
    .sgpr_count:     13
    .sgpr_spill_count: 0
    .symbol:         _ZN5aiter28grouped_topk_opt_sort_kernelIfDv2_fLi2ELb0ELb1ELb0EEEvPT_PKS2_PfPimiiiif.kd
    .uniform_work_group_size: 1
    .uses_dynamic_stack: false
    .vgpr_count:     14
    .vgpr_spill_count: 0
    .wavefront_size: 64
  - .agpr_count:     0
    .args:
      - .actual_access:  read_only
        .address_space:  global
        .offset:         0
        .size:           8
        .value_kind:     global_buffer
      - .actual_access:  read_only
        .address_space:  global
        .offset:         8
        .size:           8
        .value_kind:     global_buffer
      - .actual_access:  read_only
        .address_space:  global
        .offset:         16
        .size:           8
        .value_kind:     global_buffer
      - .actual_access:  read_only
        .address_space:  global
        .offset:         24
        .size:           8
        .value_kind:     global_buffer
      - .offset:         32
        .size:           8
        .value_kind:     by_value
      - .offset:         40
        .size:           4
        .value_kind:     by_value
      - .offset:         44
        .size:           4
        .value_kind:     by_value
      - .offset:         48
        .size:           4
        .value_kind:     by_value
      - .offset:         52
        .size:           4
        .value_kind:     by_value
      - .offset:         56
        .size:           4
        .value_kind:     by_value
    .group_segment_fixed_size: 0
    .kernarg_segment_align: 8
    .kernarg_segment_size: 60
    .language:       OpenCL C
    .language_version:
      - 2
      - 0
    .max_flat_workgroup_size: 1024
    .name:           _ZN5aiter28grouped_topk_opt_sort_kernelIN3c104HalfEDv2_fLi2ELb0ELb1ELb0EEEvPT_PKS4_PfPimiiiif
    .private_segment_fixed_size: 0
    .sgpr_count:     13
    .sgpr_spill_count: 0
    .symbol:         _ZN5aiter28grouped_topk_opt_sort_kernelIN3c104HalfEDv2_fLi2ELb0ELb1ELb0EEEvPT_PKS4_PfPimiiiif.kd
    .uniform_work_group_size: 1
    .uses_dynamic_stack: false
    .vgpr_count:     13
    .vgpr_spill_count: 0
    .wavefront_size: 64
  - .agpr_count:     0
    .args:
      - .actual_access:  read_only
        .address_space:  global
        .offset:         0
        .size:           8
        .value_kind:     global_buffer
      - .actual_access:  read_only
        .address_space:  global
        .offset:         8
        .size:           8
        .value_kind:     global_buffer
      - .actual_access:  read_only
        .address_space:  global
        .offset:         16
        .size:           8
        .value_kind:     global_buffer
      - .actual_access:  read_only
        .address_space:  global
        .offset:         24
        .size:           8
        .value_kind:     global_buffer
      - .offset:         32
        .size:           8
        .value_kind:     by_value
      - .offset:         40
        .size:           4
        .value_kind:     by_value
      - .offset:         44
        .size:           4
        .value_kind:     by_value
      - .offset:         48
        .size:           4
        .value_kind:     by_value
      - .offset:         52
        .size:           4
        .value_kind:     by_value
      - .offset:         56
        .size:           4
        .value_kind:     by_value
    .group_segment_fixed_size: 0
    .kernarg_segment_align: 8
    .kernarg_segment_size: 60
    .language:       OpenCL C
    .language_version:
      - 2
      - 0
    .max_flat_workgroup_size: 1024
    .name:           _ZN5aiter28grouped_topk_opt_sort_kernelIN3c108BFloat16EDv2_fLi2ELb0ELb1ELb0EEEvPT_PKS4_PfPimiiiif
    .private_segment_fixed_size: 0
    .sgpr_count:     13
    .sgpr_spill_count: 0
    .symbol:         _ZN5aiter28grouped_topk_opt_sort_kernelIN3c108BFloat16EDv2_fLi2ELb0ELb1ELb0EEEvPT_PKS4_PfPimiiiif.kd
    .uniform_work_group_size: 1
    .uses_dynamic_stack: false
    .vgpr_count:     13
    .vgpr_spill_count: 0
    .wavefront_size: 64
  - .agpr_count:     0
    .args:
      - .actual_access:  read_only
        .address_space:  global
        .offset:         0
        .size:           8
        .value_kind:     global_buffer
      - .actual_access:  read_only
        .address_space:  global
        .offset:         8
        .size:           8
        .value_kind:     global_buffer
      - .actual_access:  write_only
        .address_space:  global
        .offset:         16
        .size:           8
        .value_kind:     global_buffer
      - .actual_access:  write_only
        .address_space:  global
        .offset:         24
        .size:           8
        .value_kind:     global_buffer
      - .offset:         32
        .size:           8
        .value_kind:     by_value
      - .offset:         40
        .size:           4
        .value_kind:     by_value
      - .offset:         44
        .size:           4
        .value_kind:     by_value
      - .offset:         48
        .size:           4
        .value_kind:     by_value
      - .offset:         52
        .size:           4
        .value_kind:     by_value
      - .offset:         56
        .size:           4
        .value_kind:     by_value
      - .offset:         64
        .size:           4
        .value_kind:     hidden_block_count_x
      - .offset:         68
        .size:           4
        .value_kind:     hidden_block_count_y
      - .offset:         72
        .size:           4
        .value_kind:     hidden_block_count_z
      - .offset:         76
        .size:           2
        .value_kind:     hidden_group_size_x
      - .offset:         78
        .size:           2
        .value_kind:     hidden_group_size_y
      - .offset:         80
        .size:           2
        .value_kind:     hidden_group_size_z
      - .offset:         82
        .size:           2
        .value_kind:     hidden_remainder_x
      - .offset:         84
        .size:           2
        .value_kind:     hidden_remainder_y
      - .offset:         86
        .size:           2
        .value_kind:     hidden_remainder_z
      - .offset:         104
        .size:           8
        .value_kind:     hidden_global_offset_x
      - .offset:         112
        .size:           8
        .value_kind:     hidden_global_offset_y
      - .offset:         120
        .size:           8
        .value_kind:     hidden_global_offset_z
      - .offset:         128
        .size:           2
        .value_kind:     hidden_grid_dims
      - .offset:         184
        .size:           4
        .value_kind:     hidden_dynamic_lds_size
    .group_segment_fixed_size: 0
    .kernarg_segment_align: 8
    .kernarg_segment_size: 320
    .language:       OpenCL C
    .language_version:
      - 2
      - 0
    .max_flat_workgroup_size: 1024
    .name:           _ZN5aiter19grouped_topk_kernelIfDv2_fLi2ELb0ELb1ELb0EEEvPT_PKS2_PfPimiiiif
    .private_segment_fixed_size: 0
    .sgpr_count:     34
    .sgpr_spill_count: 0
    .symbol:         _ZN5aiter19grouped_topk_kernelIfDv2_fLi2ELb0ELb1ELb0EEEvPT_PKS2_PfPimiiiif.kd
    .uniform_work_group_size: 1
    .uses_dynamic_stack: false
    .vgpr_count:     23
    .vgpr_spill_count: 0
    .wavefront_size: 64
  - .agpr_count:     0
    .args:
      - .actual_access:  read_only
        .address_space:  global
        .offset:         0
        .size:           8
        .value_kind:     global_buffer
      - .actual_access:  read_only
        .address_space:  global
        .offset:         8
        .size:           8
        .value_kind:     global_buffer
      - .actual_access:  write_only
        .address_space:  global
        .offset:         16
        .size:           8
        .value_kind:     global_buffer
      - .actual_access:  write_only
        .address_space:  global
        .offset:         24
        .size:           8
        .value_kind:     global_buffer
      - .offset:         32
        .size:           8
        .value_kind:     by_value
      - .offset:         40
        .size:           4
        .value_kind:     by_value
      - .offset:         44
        .size:           4
        .value_kind:     by_value
      - .offset:         48
        .size:           4
        .value_kind:     by_value
      - .offset:         52
        .size:           4
        .value_kind:     by_value
      - .offset:         56
        .size:           4
        .value_kind:     by_value
      - .offset:         64
        .size:           4
        .value_kind:     hidden_block_count_x
      - .offset:         68
        .size:           4
        .value_kind:     hidden_block_count_y
      - .offset:         72
        .size:           4
        .value_kind:     hidden_block_count_z
      - .offset:         76
        .size:           2
        .value_kind:     hidden_group_size_x
      - .offset:         78
        .size:           2
        .value_kind:     hidden_group_size_y
      - .offset:         80
        .size:           2
        .value_kind:     hidden_group_size_z
      - .offset:         82
        .size:           2
        .value_kind:     hidden_remainder_x
      - .offset:         84
        .size:           2
        .value_kind:     hidden_remainder_y
      - .offset:         86
        .size:           2
        .value_kind:     hidden_remainder_z
      - .offset:         104
        .size:           8
        .value_kind:     hidden_global_offset_x
      - .offset:         112
        .size:           8
        .value_kind:     hidden_global_offset_y
      - .offset:         120
        .size:           8
        .value_kind:     hidden_global_offset_z
      - .offset:         128
        .size:           2
        .value_kind:     hidden_grid_dims
      - .offset:         184
        .size:           4
        .value_kind:     hidden_dynamic_lds_size
    .group_segment_fixed_size: 0
    .kernarg_segment_align: 8
    .kernarg_segment_size: 320
    .language:       OpenCL C
    .language_version:
      - 2
      - 0
    .max_flat_workgroup_size: 1024
    .name:           _ZN5aiter19grouped_topk_kernelIN3c104HalfEDv2_fLi2ELb0ELb1ELb0EEEvPT_PKS4_PfPimiiiif
    .private_segment_fixed_size: 0
    .sgpr_count:     34
    .sgpr_spill_count: 0
    .symbol:         _ZN5aiter19grouped_topk_kernelIN3c104HalfEDv2_fLi2ELb0ELb1ELb0EEEvPT_PKS4_PfPimiiiif.kd
    .uniform_work_group_size: 1
    .uses_dynamic_stack: false
    .vgpr_count:     24
    .vgpr_spill_count: 0
    .wavefront_size: 64
  - .agpr_count:     0
    .args:
      - .actual_access:  read_only
        .address_space:  global
        .offset:         0
        .size:           8
        .value_kind:     global_buffer
      - .actual_access:  read_only
        .address_space:  global
        .offset:         8
        .size:           8
        .value_kind:     global_buffer
      - .actual_access:  write_only
        .address_space:  global
        .offset:         16
        .size:           8
        .value_kind:     global_buffer
      - .actual_access:  write_only
        .address_space:  global
        .offset:         24
        .size:           8
        .value_kind:     global_buffer
      - .offset:         32
        .size:           8
        .value_kind:     by_value
      - .offset:         40
        .size:           4
        .value_kind:     by_value
      - .offset:         44
        .size:           4
        .value_kind:     by_value
      - .offset:         48
        .size:           4
        .value_kind:     by_value
      - .offset:         52
        .size:           4
        .value_kind:     by_value
      - .offset:         56
        .size:           4
        .value_kind:     by_value
      - .offset:         64
        .size:           4
        .value_kind:     hidden_block_count_x
      - .offset:         68
        .size:           4
        .value_kind:     hidden_block_count_y
      - .offset:         72
        .size:           4
        .value_kind:     hidden_block_count_z
      - .offset:         76
        .size:           2
        .value_kind:     hidden_group_size_x
      - .offset:         78
        .size:           2
        .value_kind:     hidden_group_size_y
      - .offset:         80
        .size:           2
        .value_kind:     hidden_group_size_z
      - .offset:         82
        .size:           2
        .value_kind:     hidden_remainder_x
      - .offset:         84
        .size:           2
        .value_kind:     hidden_remainder_y
      - .offset:         86
        .size:           2
        .value_kind:     hidden_remainder_z
      - .offset:         104
        .size:           8
        .value_kind:     hidden_global_offset_x
      - .offset:         112
        .size:           8
        .value_kind:     hidden_global_offset_y
      - .offset:         120
        .size:           8
        .value_kind:     hidden_global_offset_z
      - .offset:         128
        .size:           2
        .value_kind:     hidden_grid_dims
      - .offset:         184
        .size:           4
        .value_kind:     hidden_dynamic_lds_size
    .group_segment_fixed_size: 0
    .kernarg_segment_align: 8
    .kernarg_segment_size: 320
    .language:       OpenCL C
    .language_version:
      - 2
      - 0
    .max_flat_workgroup_size: 1024
    .name:           _ZN5aiter19grouped_topk_kernelIN3c108BFloat16EDv2_fLi2ELb0ELb1ELb0EEEvPT_PKS4_PfPimiiiif
    .private_segment_fixed_size: 0
    .sgpr_count:     34
    .sgpr_spill_count: 0
    .symbol:         _ZN5aiter19grouped_topk_kernelIN3c108BFloat16EDv2_fLi2ELb0ELb1ELb0EEEvPT_PKS4_PfPimiiiif.kd
    .uniform_work_group_size: 1
    .uses_dynamic_stack: false
    .vgpr_count:     24
    .vgpr_spill_count: 0
    .wavefront_size: 64
  - .agpr_count:     0
    .args:
      - .actual_access:  read_only
        .address_space:  global
        .offset:         0
        .size:           8
        .value_kind:     global_buffer
      - .actual_access:  read_only
        .address_space:  global
        .offset:         8
        .size:           8
        .value_kind:     global_buffer
      - .actual_access:  write_only
        .address_space:  global
        .offset:         16
        .size:           8
        .value_kind:     global_buffer
      - .actual_access:  write_only
        .address_space:  global
        .offset:         24
        .size:           8
        .value_kind:     global_buffer
      - .offset:         32
        .size:           8
        .value_kind:     by_value
      - .offset:         40
        .size:           4
        .value_kind:     by_value
      - .offset:         44
        .size:           4
        .value_kind:     by_value
      - .offset:         48
        .size:           4
        .value_kind:     by_value
      - .offset:         52
        .size:           4
        .value_kind:     by_value
      - .offset:         56
        .size:           4
        .value_kind:     by_value
      - .offset:         64
        .size:           4
        .value_kind:     hidden_block_count_x
      - .offset:         68
        .size:           4
        .value_kind:     hidden_block_count_y
      - .offset:         72
        .size:           4
        .value_kind:     hidden_block_count_z
      - .offset:         76
        .size:           2
        .value_kind:     hidden_group_size_x
      - .offset:         78
        .size:           2
        .value_kind:     hidden_group_size_y
      - .offset:         80
        .size:           2
        .value_kind:     hidden_group_size_z
      - .offset:         82
        .size:           2
        .value_kind:     hidden_remainder_x
      - .offset:         84
        .size:           2
        .value_kind:     hidden_remainder_y
      - .offset:         86
        .size:           2
        .value_kind:     hidden_remainder_z
      - .offset:         104
        .size:           8
        .value_kind:     hidden_global_offset_x
      - .offset:         112
        .size:           8
        .value_kind:     hidden_global_offset_y
      - .offset:         120
        .size:           8
        .value_kind:     hidden_global_offset_z
      - .offset:         128
        .size:           2
        .value_kind:     hidden_grid_dims
      - .offset:         184
        .size:           4
        .value_kind:     hidden_dynamic_lds_size
    .group_segment_fixed_size: 0
    .kernarg_segment_align: 8
    .kernarg_segment_size: 320
    .language:       OpenCL C
    .language_version:
      - 2
      - 0
    .max_flat_workgroup_size: 1024
    .name:           _ZN5aiter19grouped_topk_kernelIfDv2_fLi2ELb0ELb0ELb1EEEvPT_PKS2_PfPimiiiif
    .private_segment_fixed_size: 0
    .sgpr_count:     28
    .sgpr_spill_count: 0
    .symbol:         _ZN5aiter19grouped_topk_kernelIfDv2_fLi2ELb0ELb0ELb1EEEvPT_PKS2_PfPimiiiif.kd
    .uniform_work_group_size: 1
    .uses_dynamic_stack: false
    .vgpr_count:     14
    .vgpr_spill_count: 0
    .wavefront_size: 64
  - .agpr_count:     0
    .args:
      - .actual_access:  read_only
        .address_space:  global
        .offset:         0
        .size:           8
        .value_kind:     global_buffer
      - .actual_access:  read_only
        .address_space:  global
        .offset:         8
        .size:           8
        .value_kind:     global_buffer
      - .actual_access:  write_only
        .address_space:  global
        .offset:         16
        .size:           8
        .value_kind:     global_buffer
      - .actual_access:  write_only
        .address_space:  global
        .offset:         24
        .size:           8
        .value_kind:     global_buffer
      - .offset:         32
        .size:           8
        .value_kind:     by_value
      - .offset:         40
        .size:           4
        .value_kind:     by_value
      - .offset:         44
        .size:           4
        .value_kind:     by_value
      - .offset:         48
        .size:           4
        .value_kind:     by_value
      - .offset:         52
        .size:           4
        .value_kind:     by_value
      - .offset:         56
        .size:           4
        .value_kind:     by_value
      - .offset:         64
        .size:           4
        .value_kind:     hidden_block_count_x
      - .offset:         68
        .size:           4
        .value_kind:     hidden_block_count_y
      - .offset:         72
        .size:           4
        .value_kind:     hidden_block_count_z
      - .offset:         76
        .size:           2
        .value_kind:     hidden_group_size_x
      - .offset:         78
        .size:           2
        .value_kind:     hidden_group_size_y
      - .offset:         80
        .size:           2
        .value_kind:     hidden_group_size_z
      - .offset:         82
        .size:           2
        .value_kind:     hidden_remainder_x
      - .offset:         84
        .size:           2
        .value_kind:     hidden_remainder_y
      - .offset:         86
        .size:           2
        .value_kind:     hidden_remainder_z
      - .offset:         104
        .size:           8
        .value_kind:     hidden_global_offset_x
      - .offset:         112
        .size:           8
        .value_kind:     hidden_global_offset_y
      - .offset:         120
        .size:           8
        .value_kind:     hidden_global_offset_z
      - .offset:         128
        .size:           2
        .value_kind:     hidden_grid_dims
      - .offset:         184
        .size:           4
        .value_kind:     hidden_dynamic_lds_size
    .group_segment_fixed_size: 0
    .kernarg_segment_align: 8
    .kernarg_segment_size: 320
    .language:       OpenCL C
    .language_version:
      - 2
      - 0
    .max_flat_workgroup_size: 1024
    .name:           _ZN5aiter19grouped_topk_kernelIN3c104HalfEDv2_fLi2ELb0ELb0ELb1EEEvPT_PKS4_PfPimiiiif
    .private_segment_fixed_size: 0
    .sgpr_count:     28
    .sgpr_spill_count: 0
    .symbol:         _ZN5aiter19grouped_topk_kernelIN3c104HalfEDv2_fLi2ELb0ELb0ELb1EEEvPT_PKS4_PfPimiiiif.kd
    .uniform_work_group_size: 1
    .uses_dynamic_stack: false
    .vgpr_count:     14
    .vgpr_spill_count: 0
    .wavefront_size: 64
  - .agpr_count:     0
    .args:
      - .actual_access:  read_only
        .address_space:  global
        .offset:         0
        .size:           8
        .value_kind:     global_buffer
      - .actual_access:  read_only
        .address_space:  global
        .offset:         8
        .size:           8
        .value_kind:     global_buffer
      - .actual_access:  write_only
        .address_space:  global
        .offset:         16
        .size:           8
        .value_kind:     global_buffer
      - .actual_access:  write_only
        .address_space:  global
        .offset:         24
        .size:           8
        .value_kind:     global_buffer
      - .offset:         32
        .size:           8
        .value_kind:     by_value
      - .offset:         40
        .size:           4
        .value_kind:     by_value
      - .offset:         44
        .size:           4
        .value_kind:     by_value
      - .offset:         48
        .size:           4
        .value_kind:     by_value
      - .offset:         52
        .size:           4
        .value_kind:     by_value
      - .offset:         56
        .size:           4
        .value_kind:     by_value
      - .offset:         64
        .size:           4
        .value_kind:     hidden_block_count_x
      - .offset:         68
        .size:           4
        .value_kind:     hidden_block_count_y
      - .offset:         72
        .size:           4
        .value_kind:     hidden_block_count_z
      - .offset:         76
        .size:           2
        .value_kind:     hidden_group_size_x
      - .offset:         78
        .size:           2
        .value_kind:     hidden_group_size_y
      - .offset:         80
        .size:           2
        .value_kind:     hidden_group_size_z
      - .offset:         82
        .size:           2
        .value_kind:     hidden_remainder_x
      - .offset:         84
        .size:           2
        .value_kind:     hidden_remainder_y
      - .offset:         86
        .size:           2
        .value_kind:     hidden_remainder_z
      - .offset:         104
        .size:           8
        .value_kind:     hidden_global_offset_x
      - .offset:         112
        .size:           8
        .value_kind:     hidden_global_offset_y
      - .offset:         120
        .size:           8
        .value_kind:     hidden_global_offset_z
      - .offset:         128
        .size:           2
        .value_kind:     hidden_grid_dims
      - .offset:         184
        .size:           4
        .value_kind:     hidden_dynamic_lds_size
    .group_segment_fixed_size: 0
    .kernarg_segment_align: 8
    .kernarg_segment_size: 320
    .language:       OpenCL C
    .language_version:
      - 2
      - 0
    .max_flat_workgroup_size: 1024
    .name:           _ZN5aiter19grouped_topk_kernelIN3c108BFloat16EDv2_fLi2ELb0ELb0ELb1EEEvPT_PKS4_PfPimiiiif
    .private_segment_fixed_size: 0
    .sgpr_count:     28
    .sgpr_spill_count: 0
    .symbol:         _ZN5aiter19grouped_topk_kernelIN3c108BFloat16EDv2_fLi2ELb0ELb0ELb1EEEvPT_PKS4_PfPimiiiif.kd
    .uniform_work_group_size: 1
    .uses_dynamic_stack: false
    .vgpr_count:     14
    .vgpr_spill_count: 0
    .wavefront_size: 64
  - .agpr_count:     0
    .args:
      - .actual_access:  read_only
        .address_space:  global
        .offset:         0
        .size:           8
        .value_kind:     global_buffer
      - .actual_access:  read_only
        .address_space:  global
        .offset:         8
        .size:           8
        .value_kind:     global_buffer
      - .actual_access:  write_only
        .address_space:  global
        .offset:         16
        .size:           8
        .value_kind:     global_buffer
      - .actual_access:  write_only
        .address_space:  global
        .offset:         24
        .size:           8
        .value_kind:     global_buffer
      - .offset:         32
        .size:           8
        .value_kind:     by_value
      - .offset:         40
        .size:           4
        .value_kind:     by_value
      - .offset:         44
        .size:           4
        .value_kind:     by_value
      - .offset:         48
        .size:           4
        .value_kind:     by_value
      - .offset:         52
        .size:           4
        .value_kind:     by_value
      - .offset:         56
        .size:           4
        .value_kind:     by_value
      - .offset:         64
        .size:           4
        .value_kind:     hidden_block_count_x
      - .offset:         68
        .size:           4
        .value_kind:     hidden_block_count_y
      - .offset:         72
        .size:           4
        .value_kind:     hidden_block_count_z
      - .offset:         76
        .size:           2
        .value_kind:     hidden_group_size_x
      - .offset:         78
        .size:           2
        .value_kind:     hidden_group_size_y
      - .offset:         80
        .size:           2
        .value_kind:     hidden_group_size_z
      - .offset:         82
        .size:           2
        .value_kind:     hidden_remainder_x
      - .offset:         84
        .size:           2
        .value_kind:     hidden_remainder_y
      - .offset:         86
        .size:           2
        .value_kind:     hidden_remainder_z
      - .offset:         104
        .size:           8
        .value_kind:     hidden_global_offset_x
      - .offset:         112
        .size:           8
        .value_kind:     hidden_global_offset_y
      - .offset:         120
        .size:           8
        .value_kind:     hidden_global_offset_z
      - .offset:         128
        .size:           2
        .value_kind:     hidden_grid_dims
      - .offset:         184
        .size:           4
        .value_kind:     hidden_dynamic_lds_size
    .group_segment_fixed_size: 0
    .kernarg_segment_align: 8
    .kernarg_segment_size: 320
    .language:       OpenCL C
    .language_version:
      - 2
      - 0
    .max_flat_workgroup_size: 1024
    .name:           _ZN5aiter19grouped_topk_kernelIfDv2_fLi2ELb0ELb0ELb0EEEvPT_PKS2_PfPimiiiif
    .private_segment_fixed_size: 0
    .sgpr_count:     29
    .sgpr_spill_count: 0
    .symbol:         _ZN5aiter19grouped_topk_kernelIfDv2_fLi2ELb0ELb0ELb0EEEvPT_PKS2_PfPimiiiif.kd
    .uniform_work_group_size: 1
    .uses_dynamic_stack: false
    .vgpr_count:     19
    .vgpr_spill_count: 0
    .wavefront_size: 64
  - .agpr_count:     0
    .args:
      - .actual_access:  read_only
        .address_space:  global
        .offset:         0
        .size:           8
        .value_kind:     global_buffer
      - .actual_access:  read_only
        .address_space:  global
        .offset:         8
        .size:           8
        .value_kind:     global_buffer
      - .actual_access:  write_only
        .address_space:  global
        .offset:         16
        .size:           8
        .value_kind:     global_buffer
      - .actual_access:  write_only
        .address_space:  global
        .offset:         24
        .size:           8
        .value_kind:     global_buffer
      - .offset:         32
        .size:           8
        .value_kind:     by_value
      - .offset:         40
        .size:           4
        .value_kind:     by_value
      - .offset:         44
        .size:           4
        .value_kind:     by_value
      - .offset:         48
        .size:           4
        .value_kind:     by_value
      - .offset:         52
        .size:           4
        .value_kind:     by_value
      - .offset:         56
        .size:           4
        .value_kind:     by_value
      - .offset:         64
        .size:           4
        .value_kind:     hidden_block_count_x
      - .offset:         68
        .size:           4
        .value_kind:     hidden_block_count_y
      - .offset:         72
        .size:           4
        .value_kind:     hidden_block_count_z
      - .offset:         76
        .size:           2
        .value_kind:     hidden_group_size_x
      - .offset:         78
        .size:           2
        .value_kind:     hidden_group_size_y
      - .offset:         80
        .size:           2
        .value_kind:     hidden_group_size_z
      - .offset:         82
        .size:           2
        .value_kind:     hidden_remainder_x
      - .offset:         84
        .size:           2
        .value_kind:     hidden_remainder_y
      - .offset:         86
        .size:           2
        .value_kind:     hidden_remainder_z
      - .offset:         104
        .size:           8
        .value_kind:     hidden_global_offset_x
      - .offset:         112
        .size:           8
        .value_kind:     hidden_global_offset_y
      - .offset:         120
        .size:           8
        .value_kind:     hidden_global_offset_z
      - .offset:         128
        .size:           2
        .value_kind:     hidden_grid_dims
      - .offset:         184
        .size:           4
        .value_kind:     hidden_dynamic_lds_size
    .group_segment_fixed_size: 0
    .kernarg_segment_align: 8
    .kernarg_segment_size: 320
    .language:       OpenCL C
    .language_version:
      - 2
      - 0
    .max_flat_workgroup_size: 1024
    .name:           _ZN5aiter19grouped_topk_kernelIN3c104HalfEDv2_fLi2ELb0ELb0ELb0EEEvPT_PKS4_PfPimiiiif
    .private_segment_fixed_size: 0
    .sgpr_count:     31
    .sgpr_spill_count: 0
    .symbol:         _ZN5aiter19grouped_topk_kernelIN3c104HalfEDv2_fLi2ELb0ELb0ELb0EEEvPT_PKS4_PfPimiiiif.kd
    .uniform_work_group_size: 1
    .uses_dynamic_stack: false
    .vgpr_count:     20
    .vgpr_spill_count: 0
    .wavefront_size: 64
  - .agpr_count:     0
    .args:
      - .actual_access:  read_only
        .address_space:  global
        .offset:         0
        .size:           8
        .value_kind:     global_buffer
      - .actual_access:  read_only
        .address_space:  global
        .offset:         8
        .size:           8
        .value_kind:     global_buffer
      - .actual_access:  write_only
        .address_space:  global
        .offset:         16
        .size:           8
        .value_kind:     global_buffer
      - .actual_access:  write_only
        .address_space:  global
        .offset:         24
        .size:           8
        .value_kind:     global_buffer
      - .offset:         32
        .size:           8
        .value_kind:     by_value
      - .offset:         40
        .size:           4
        .value_kind:     by_value
      - .offset:         44
        .size:           4
        .value_kind:     by_value
      - .offset:         48
        .size:           4
        .value_kind:     by_value
      - .offset:         52
        .size:           4
        .value_kind:     by_value
      - .offset:         56
        .size:           4
        .value_kind:     by_value
      - .offset:         64
        .size:           4
        .value_kind:     hidden_block_count_x
      - .offset:         68
        .size:           4
        .value_kind:     hidden_block_count_y
      - .offset:         72
        .size:           4
        .value_kind:     hidden_block_count_z
      - .offset:         76
        .size:           2
        .value_kind:     hidden_group_size_x
      - .offset:         78
        .size:           2
        .value_kind:     hidden_group_size_y
      - .offset:         80
        .size:           2
        .value_kind:     hidden_group_size_z
      - .offset:         82
        .size:           2
        .value_kind:     hidden_remainder_x
      - .offset:         84
        .size:           2
        .value_kind:     hidden_remainder_y
      - .offset:         86
        .size:           2
        .value_kind:     hidden_remainder_z
      - .offset:         104
        .size:           8
        .value_kind:     hidden_global_offset_x
      - .offset:         112
        .size:           8
        .value_kind:     hidden_global_offset_y
      - .offset:         120
        .size:           8
        .value_kind:     hidden_global_offset_z
      - .offset:         128
        .size:           2
        .value_kind:     hidden_grid_dims
      - .offset:         184
        .size:           4
        .value_kind:     hidden_dynamic_lds_size
    .group_segment_fixed_size: 0
    .kernarg_segment_align: 8
    .kernarg_segment_size: 320
    .language:       OpenCL C
    .language_version:
      - 2
      - 0
    .max_flat_workgroup_size: 1024
    .name:           _ZN5aiter19grouped_topk_kernelIN3c108BFloat16EDv2_fLi2ELb0ELb0ELb0EEEvPT_PKS4_PfPimiiiif
    .private_segment_fixed_size: 0
    .sgpr_count:     30
    .sgpr_spill_count: 0
    .symbol:         _ZN5aiter19grouped_topk_kernelIN3c108BFloat16EDv2_fLi2ELb0ELb0ELb0EEEvPT_PKS4_PfPimiiiif.kd
    .uniform_work_group_size: 1
    .uses_dynamic_stack: false
    .vgpr_count:     20
    .vgpr_spill_count: 0
    .wavefront_size: 64
  - .agpr_count:     0
    .args:
      - .actual_access:  read_only
        .address_space:  global
        .offset:         0
        .size:           8
        .value_kind:     global_buffer
      - .actual_access:  read_only
        .address_space:  global
        .offset:         8
        .size:           8
        .value_kind:     global_buffer
      - .actual_access:  read_only
        .address_space:  global
        .offset:         16
        .size:           8
        .value_kind:     global_buffer
      - .actual_access:  read_only
        .address_space:  global
        .offset:         24
        .size:           8
        .value_kind:     global_buffer
      - .offset:         32
        .size:           8
        .value_kind:     by_value
      - .offset:         40
        .size:           4
        .value_kind:     by_value
      - .offset:         44
        .size:           4
        .value_kind:     by_value
      - .offset:         48
        .size:           4
        .value_kind:     by_value
      - .offset:         52
        .size:           4
        .value_kind:     by_value
      - .offset:         56
        .size:           4
        .value_kind:     by_value
    .group_segment_fixed_size: 0
    .kernarg_segment_align: 8
    .kernarg_segment_size: 60
    .language:       OpenCL C
    .language_version:
      - 2
      - 0
    .max_flat_workgroup_size: 1024
    .name:           _ZN5aiter28grouped_topk_opt_sort_kernelIfDv2_fLi1ELb1ELb1ELb0EEEvPT_PKS2_PfPimiiiif
    .private_segment_fixed_size: 0
    .sgpr_count:     16
    .sgpr_spill_count: 0
    .symbol:         _ZN5aiter28grouped_topk_opt_sort_kernelIfDv2_fLi1ELb1ELb1ELb0EEEvPT_PKS2_PfPimiiiif.kd
    .uniform_work_group_size: 1
    .uses_dynamic_stack: false
    .vgpr_count:     9
    .vgpr_spill_count: 0
    .wavefront_size: 64
  - .agpr_count:     0
    .args:
      - .actual_access:  read_only
        .address_space:  global
        .offset:         0
        .size:           8
        .value_kind:     global_buffer
      - .actual_access:  read_only
        .address_space:  global
        .offset:         8
        .size:           8
        .value_kind:     global_buffer
      - .actual_access:  read_only
        .address_space:  global
        .offset:         16
        .size:           8
        .value_kind:     global_buffer
      - .actual_access:  read_only
        .address_space:  global
        .offset:         24
        .size:           8
        .value_kind:     global_buffer
      - .offset:         32
        .size:           8
        .value_kind:     by_value
      - .offset:         40
        .size:           4
        .value_kind:     by_value
      - .offset:         44
        .size:           4
        .value_kind:     by_value
      - .offset:         48
        .size:           4
        .value_kind:     by_value
      - .offset:         52
        .size:           4
        .value_kind:     by_value
      - .offset:         56
        .size:           4
        .value_kind:     by_value
    .group_segment_fixed_size: 0
    .kernarg_segment_align: 8
    .kernarg_segment_size: 60
    .language:       OpenCL C
    .language_version:
      - 2
      - 0
    .max_flat_workgroup_size: 1024
    .name:           _ZN5aiter28grouped_topk_opt_sort_kernelIN3c104HalfEDv2_fLi1ELb1ELb1ELb0EEEvPT_PKS4_PfPimiiiif
    .private_segment_fixed_size: 0
    .sgpr_count:     16
    .sgpr_spill_count: 0
    .symbol:         _ZN5aiter28grouped_topk_opt_sort_kernelIN3c104HalfEDv2_fLi1ELb1ELb1ELb0EEEvPT_PKS4_PfPimiiiif.kd
    .uniform_work_group_size: 1
    .uses_dynamic_stack: false
    .vgpr_count:     9
    .vgpr_spill_count: 0
    .wavefront_size: 64
  - .agpr_count:     0
    .args:
      - .actual_access:  read_only
        .address_space:  global
        .offset:         0
        .size:           8
        .value_kind:     global_buffer
      - .actual_access:  read_only
        .address_space:  global
        .offset:         8
        .size:           8
        .value_kind:     global_buffer
      - .actual_access:  read_only
        .address_space:  global
        .offset:         16
        .size:           8
        .value_kind:     global_buffer
      - .actual_access:  read_only
        .address_space:  global
        .offset:         24
        .size:           8
        .value_kind:     global_buffer
      - .offset:         32
        .size:           8
        .value_kind:     by_value
      - .offset:         40
        .size:           4
        .value_kind:     by_value
      - .offset:         44
        .size:           4
        .value_kind:     by_value
      - .offset:         48
        .size:           4
        .value_kind:     by_value
      - .offset:         52
        .size:           4
        .value_kind:     by_value
      - .offset:         56
        .size:           4
        .value_kind:     by_value
    .group_segment_fixed_size: 0
    .kernarg_segment_align: 8
    .kernarg_segment_size: 60
    .language:       OpenCL C
    .language_version:
      - 2
      - 0
    .max_flat_workgroup_size: 1024
    .name:           _ZN5aiter28grouped_topk_opt_sort_kernelIN3c108BFloat16EDv2_fLi1ELb1ELb1ELb0EEEvPT_PKS4_PfPimiiiif
    .private_segment_fixed_size: 0
    .sgpr_count:     16
    .sgpr_spill_count: 0
    .symbol:         _ZN5aiter28grouped_topk_opt_sort_kernelIN3c108BFloat16EDv2_fLi1ELb1ELb1ELb0EEEvPT_PKS4_PfPimiiiif.kd
    .uniform_work_group_size: 1
    .uses_dynamic_stack: false
    .vgpr_count:     9
    .vgpr_spill_count: 0
    .wavefront_size: 64
  - .agpr_count:     0
    .args:
      - .actual_access:  read_only
        .address_space:  global
        .offset:         0
        .size:           8
        .value_kind:     global_buffer
      - .actual_access:  read_only
        .address_space:  global
        .offset:         8
        .size:           8
        .value_kind:     global_buffer
      - .actual_access:  write_only
        .address_space:  global
        .offset:         16
        .size:           8
        .value_kind:     global_buffer
      - .actual_access:  write_only
        .address_space:  global
        .offset:         24
        .size:           8
        .value_kind:     global_buffer
      - .offset:         32
        .size:           8
        .value_kind:     by_value
      - .offset:         40
        .size:           4
        .value_kind:     by_value
      - .offset:         44
        .size:           4
        .value_kind:     by_value
      - .offset:         48
        .size:           4
        .value_kind:     by_value
      - .offset:         52
        .size:           4
        .value_kind:     by_value
      - .offset:         56
        .size:           4
        .value_kind:     by_value
      - .offset:         64
        .size:           4
        .value_kind:     hidden_block_count_x
      - .offset:         68
        .size:           4
        .value_kind:     hidden_block_count_y
      - .offset:         72
        .size:           4
        .value_kind:     hidden_block_count_z
      - .offset:         76
        .size:           2
        .value_kind:     hidden_group_size_x
      - .offset:         78
        .size:           2
        .value_kind:     hidden_group_size_y
      - .offset:         80
        .size:           2
        .value_kind:     hidden_group_size_z
      - .offset:         82
        .size:           2
        .value_kind:     hidden_remainder_x
      - .offset:         84
        .size:           2
        .value_kind:     hidden_remainder_y
      - .offset:         86
        .size:           2
        .value_kind:     hidden_remainder_z
      - .offset:         104
        .size:           8
        .value_kind:     hidden_global_offset_x
      - .offset:         112
        .size:           8
        .value_kind:     hidden_global_offset_y
      - .offset:         120
        .size:           8
        .value_kind:     hidden_global_offset_z
      - .offset:         128
        .size:           2
        .value_kind:     hidden_grid_dims
      - .offset:         184
        .size:           4
        .value_kind:     hidden_dynamic_lds_size
    .group_segment_fixed_size: 0
    .kernarg_segment_align: 8
    .kernarg_segment_size: 320
    .language:       OpenCL C
    .language_version:
      - 2
      - 0
    .max_flat_workgroup_size: 1024
    .name:           _ZN5aiter19grouped_topk_kernelIfDv2_fLi1ELb1ELb1ELb0EEEvPT_PKS2_PfPimiiiif
    .private_segment_fixed_size: 0
    .sgpr_count:     29
    .sgpr_spill_count: 0
    .symbol:         _ZN5aiter19grouped_topk_kernelIfDv2_fLi1ELb1ELb1ELb0EEEvPT_PKS2_PfPimiiiif.kd
    .uniform_work_group_size: 1
    .uses_dynamic_stack: false
    .vgpr_count:     23
    .vgpr_spill_count: 0
    .wavefront_size: 64
  - .agpr_count:     0
    .args:
      - .actual_access:  read_only
        .address_space:  global
        .offset:         0
        .size:           8
        .value_kind:     global_buffer
      - .actual_access:  read_only
        .address_space:  global
        .offset:         8
        .size:           8
        .value_kind:     global_buffer
      - .actual_access:  write_only
        .address_space:  global
        .offset:         16
        .size:           8
        .value_kind:     global_buffer
      - .actual_access:  write_only
        .address_space:  global
        .offset:         24
        .size:           8
        .value_kind:     global_buffer
      - .offset:         32
        .size:           8
        .value_kind:     by_value
      - .offset:         40
        .size:           4
        .value_kind:     by_value
      - .offset:         44
        .size:           4
        .value_kind:     by_value
      - .offset:         48
        .size:           4
        .value_kind:     by_value
      - .offset:         52
        .size:           4
        .value_kind:     by_value
      - .offset:         56
        .size:           4
        .value_kind:     by_value
      - .offset:         64
        .size:           4
        .value_kind:     hidden_block_count_x
      - .offset:         68
        .size:           4
        .value_kind:     hidden_block_count_y
      - .offset:         72
        .size:           4
        .value_kind:     hidden_block_count_z
      - .offset:         76
        .size:           2
        .value_kind:     hidden_group_size_x
      - .offset:         78
        .size:           2
        .value_kind:     hidden_group_size_y
      - .offset:         80
        .size:           2
        .value_kind:     hidden_group_size_z
      - .offset:         82
        .size:           2
        .value_kind:     hidden_remainder_x
      - .offset:         84
        .size:           2
        .value_kind:     hidden_remainder_y
      - .offset:         86
        .size:           2
        .value_kind:     hidden_remainder_z
      - .offset:         104
        .size:           8
        .value_kind:     hidden_global_offset_x
      - .offset:         112
        .size:           8
        .value_kind:     hidden_global_offset_y
      - .offset:         120
        .size:           8
        .value_kind:     hidden_global_offset_z
      - .offset:         128
        .size:           2
        .value_kind:     hidden_grid_dims
      - .offset:         184
        .size:           4
        .value_kind:     hidden_dynamic_lds_size
    .group_segment_fixed_size: 0
    .kernarg_segment_align: 8
    .kernarg_segment_size: 320
    .language:       OpenCL C
    .language_version:
      - 2
      - 0
    .max_flat_workgroup_size: 1024
    .name:           _ZN5aiter19grouped_topk_kernelIN3c104HalfEDv2_fLi1ELb1ELb1ELb0EEEvPT_PKS4_PfPimiiiif
    .private_segment_fixed_size: 0
    .sgpr_count:     31
    .sgpr_spill_count: 0
    .symbol:         _ZN5aiter19grouped_topk_kernelIN3c104HalfEDv2_fLi1ELb1ELb1ELb0EEEvPT_PKS4_PfPimiiiif.kd
    .uniform_work_group_size: 1
    .uses_dynamic_stack: false
    .vgpr_count:     24
    .vgpr_spill_count: 0
    .wavefront_size: 64
  - .agpr_count:     0
    .args:
      - .actual_access:  read_only
        .address_space:  global
        .offset:         0
        .size:           8
        .value_kind:     global_buffer
      - .actual_access:  read_only
        .address_space:  global
        .offset:         8
        .size:           8
        .value_kind:     global_buffer
      - .actual_access:  write_only
        .address_space:  global
        .offset:         16
        .size:           8
        .value_kind:     global_buffer
      - .actual_access:  write_only
        .address_space:  global
        .offset:         24
        .size:           8
        .value_kind:     global_buffer
      - .offset:         32
        .size:           8
        .value_kind:     by_value
      - .offset:         40
        .size:           4
        .value_kind:     by_value
      - .offset:         44
        .size:           4
        .value_kind:     by_value
      - .offset:         48
        .size:           4
        .value_kind:     by_value
      - .offset:         52
        .size:           4
        .value_kind:     by_value
      - .offset:         56
        .size:           4
        .value_kind:     by_value
      - .offset:         64
        .size:           4
        .value_kind:     hidden_block_count_x
      - .offset:         68
        .size:           4
        .value_kind:     hidden_block_count_y
      - .offset:         72
        .size:           4
        .value_kind:     hidden_block_count_z
      - .offset:         76
        .size:           2
        .value_kind:     hidden_group_size_x
      - .offset:         78
        .size:           2
        .value_kind:     hidden_group_size_y
      - .offset:         80
        .size:           2
        .value_kind:     hidden_group_size_z
      - .offset:         82
        .size:           2
        .value_kind:     hidden_remainder_x
      - .offset:         84
        .size:           2
        .value_kind:     hidden_remainder_y
      - .offset:         86
        .size:           2
        .value_kind:     hidden_remainder_z
      - .offset:         104
        .size:           8
        .value_kind:     hidden_global_offset_x
      - .offset:         112
        .size:           8
        .value_kind:     hidden_global_offset_y
      - .offset:         120
        .size:           8
        .value_kind:     hidden_global_offset_z
      - .offset:         128
        .size:           2
        .value_kind:     hidden_grid_dims
      - .offset:         184
        .size:           4
        .value_kind:     hidden_dynamic_lds_size
    .group_segment_fixed_size: 0
    .kernarg_segment_align: 8
    .kernarg_segment_size: 320
    .language:       OpenCL C
    .language_version:
      - 2
      - 0
    .max_flat_workgroup_size: 1024
    .name:           _ZN5aiter19grouped_topk_kernelIN3c108BFloat16EDv2_fLi1ELb1ELb1ELb0EEEvPT_PKS4_PfPimiiiif
    .private_segment_fixed_size: 0
    .sgpr_count:     30
    .sgpr_spill_count: 0
    .symbol:         _ZN5aiter19grouped_topk_kernelIN3c108BFloat16EDv2_fLi1ELb1ELb1ELb0EEEvPT_PKS4_PfPimiiiif.kd
    .uniform_work_group_size: 1
    .uses_dynamic_stack: false
    .vgpr_count:     24
    .vgpr_spill_count: 0
    .wavefront_size: 64
  - .agpr_count:     0
    .args:
      - .actual_access:  read_only
        .address_space:  global
        .offset:         0
        .size:           8
        .value_kind:     global_buffer
      - .actual_access:  read_only
        .address_space:  global
        .offset:         8
        .size:           8
        .value_kind:     global_buffer
      - .actual_access:  write_only
        .address_space:  global
        .offset:         16
        .size:           8
        .value_kind:     global_buffer
      - .actual_access:  write_only
        .address_space:  global
        .offset:         24
        .size:           8
        .value_kind:     global_buffer
      - .offset:         32
        .size:           8
        .value_kind:     by_value
      - .offset:         40
        .size:           4
        .value_kind:     by_value
      - .offset:         44
        .size:           4
        .value_kind:     by_value
      - .offset:         48
        .size:           4
        .value_kind:     by_value
      - .offset:         52
        .size:           4
        .value_kind:     by_value
      - .offset:         56
        .size:           4
        .value_kind:     by_value
      - .offset:         64
        .size:           4
        .value_kind:     hidden_block_count_x
      - .offset:         68
        .size:           4
        .value_kind:     hidden_block_count_y
      - .offset:         72
        .size:           4
        .value_kind:     hidden_block_count_z
      - .offset:         76
        .size:           2
        .value_kind:     hidden_group_size_x
      - .offset:         78
        .size:           2
        .value_kind:     hidden_group_size_y
      - .offset:         80
        .size:           2
        .value_kind:     hidden_group_size_z
      - .offset:         82
        .size:           2
        .value_kind:     hidden_remainder_x
      - .offset:         84
        .size:           2
        .value_kind:     hidden_remainder_y
      - .offset:         86
        .size:           2
        .value_kind:     hidden_remainder_z
      - .offset:         104
        .size:           8
        .value_kind:     hidden_global_offset_x
      - .offset:         112
        .size:           8
        .value_kind:     hidden_global_offset_y
      - .offset:         120
        .size:           8
        .value_kind:     hidden_global_offset_z
      - .offset:         128
        .size:           2
        .value_kind:     hidden_grid_dims
      - .offset:         184
        .size:           4
        .value_kind:     hidden_dynamic_lds_size
    .group_segment_fixed_size: 0
    .kernarg_segment_align: 8
    .kernarg_segment_size: 320
    .language:       OpenCL C
    .language_version:
      - 2
      - 0
    .max_flat_workgroup_size: 1024
    .name:           _ZN5aiter19grouped_topk_kernelIfDv2_fLi1ELb1ELb0ELb1EEEvPT_PKS2_PfPimiiiif
    .private_segment_fixed_size: 0
    .sgpr_count:     25
    .sgpr_spill_count: 0
    .symbol:         _ZN5aiter19grouped_topk_kernelIfDv2_fLi1ELb1ELb0ELb1EEEvPT_PKS2_PfPimiiiif.kd
    .uniform_work_group_size: 1
    .uses_dynamic_stack: false
    .vgpr_count:     15
    .vgpr_spill_count: 0
    .wavefront_size: 64
  - .agpr_count:     0
    .args:
      - .actual_access:  read_only
        .address_space:  global
        .offset:         0
        .size:           8
        .value_kind:     global_buffer
      - .actual_access:  read_only
        .address_space:  global
        .offset:         8
        .size:           8
        .value_kind:     global_buffer
      - .actual_access:  write_only
        .address_space:  global
        .offset:         16
        .size:           8
        .value_kind:     global_buffer
      - .actual_access:  write_only
        .address_space:  global
        .offset:         24
        .size:           8
        .value_kind:     global_buffer
      - .offset:         32
        .size:           8
        .value_kind:     by_value
      - .offset:         40
        .size:           4
        .value_kind:     by_value
      - .offset:         44
        .size:           4
        .value_kind:     by_value
      - .offset:         48
        .size:           4
        .value_kind:     by_value
      - .offset:         52
        .size:           4
        .value_kind:     by_value
      - .offset:         56
        .size:           4
        .value_kind:     by_value
      - .offset:         64
        .size:           4
        .value_kind:     hidden_block_count_x
      - .offset:         68
        .size:           4
        .value_kind:     hidden_block_count_y
      - .offset:         72
        .size:           4
        .value_kind:     hidden_block_count_z
      - .offset:         76
        .size:           2
        .value_kind:     hidden_group_size_x
      - .offset:         78
        .size:           2
        .value_kind:     hidden_group_size_y
      - .offset:         80
        .size:           2
        .value_kind:     hidden_group_size_z
      - .offset:         82
        .size:           2
        .value_kind:     hidden_remainder_x
      - .offset:         84
        .size:           2
        .value_kind:     hidden_remainder_y
      - .offset:         86
        .size:           2
        .value_kind:     hidden_remainder_z
      - .offset:         104
        .size:           8
        .value_kind:     hidden_global_offset_x
      - .offset:         112
        .size:           8
        .value_kind:     hidden_global_offset_y
      - .offset:         120
        .size:           8
        .value_kind:     hidden_global_offset_z
      - .offset:         128
        .size:           2
        .value_kind:     hidden_grid_dims
      - .offset:         184
        .size:           4
        .value_kind:     hidden_dynamic_lds_size
    .group_segment_fixed_size: 0
    .kernarg_segment_align: 8
    .kernarg_segment_size: 320
    .language:       OpenCL C
    .language_version:
      - 2
      - 0
    .max_flat_workgroup_size: 1024
    .name:           _ZN5aiter19grouped_topk_kernelIN3c104HalfEDv2_fLi1ELb1ELb0ELb1EEEvPT_PKS4_PfPimiiiif
    .private_segment_fixed_size: 0
    .sgpr_count:     25
    .sgpr_spill_count: 0
    .symbol:         _ZN5aiter19grouped_topk_kernelIN3c104HalfEDv2_fLi1ELb1ELb0ELb1EEEvPT_PKS4_PfPimiiiif.kd
    .uniform_work_group_size: 1
    .uses_dynamic_stack: false
    .vgpr_count:     15
    .vgpr_spill_count: 0
    .wavefront_size: 64
  - .agpr_count:     0
    .args:
      - .actual_access:  read_only
        .address_space:  global
        .offset:         0
        .size:           8
        .value_kind:     global_buffer
      - .actual_access:  read_only
        .address_space:  global
        .offset:         8
        .size:           8
        .value_kind:     global_buffer
      - .actual_access:  write_only
        .address_space:  global
        .offset:         16
        .size:           8
        .value_kind:     global_buffer
      - .actual_access:  write_only
        .address_space:  global
        .offset:         24
        .size:           8
        .value_kind:     global_buffer
      - .offset:         32
        .size:           8
        .value_kind:     by_value
      - .offset:         40
        .size:           4
        .value_kind:     by_value
      - .offset:         44
        .size:           4
        .value_kind:     by_value
      - .offset:         48
        .size:           4
        .value_kind:     by_value
      - .offset:         52
        .size:           4
        .value_kind:     by_value
      - .offset:         56
        .size:           4
        .value_kind:     by_value
      - .offset:         64
        .size:           4
        .value_kind:     hidden_block_count_x
      - .offset:         68
        .size:           4
        .value_kind:     hidden_block_count_y
      - .offset:         72
        .size:           4
        .value_kind:     hidden_block_count_z
      - .offset:         76
        .size:           2
        .value_kind:     hidden_group_size_x
      - .offset:         78
        .size:           2
        .value_kind:     hidden_group_size_y
      - .offset:         80
        .size:           2
        .value_kind:     hidden_group_size_z
      - .offset:         82
        .size:           2
        .value_kind:     hidden_remainder_x
      - .offset:         84
        .size:           2
        .value_kind:     hidden_remainder_y
      - .offset:         86
        .size:           2
        .value_kind:     hidden_remainder_z
      - .offset:         104
        .size:           8
        .value_kind:     hidden_global_offset_x
      - .offset:         112
        .size:           8
        .value_kind:     hidden_global_offset_y
      - .offset:         120
        .size:           8
        .value_kind:     hidden_global_offset_z
      - .offset:         128
        .size:           2
        .value_kind:     hidden_grid_dims
      - .offset:         184
        .size:           4
        .value_kind:     hidden_dynamic_lds_size
    .group_segment_fixed_size: 0
    .kernarg_segment_align: 8
    .kernarg_segment_size: 320
    .language:       OpenCL C
    .language_version:
      - 2
      - 0
    .max_flat_workgroup_size: 1024
    .name:           _ZN5aiter19grouped_topk_kernelIN3c108BFloat16EDv2_fLi1ELb1ELb0ELb1EEEvPT_PKS4_PfPimiiiif
    .private_segment_fixed_size: 0
    .sgpr_count:     25
    .sgpr_spill_count: 0
    .symbol:         _ZN5aiter19grouped_topk_kernelIN3c108BFloat16EDv2_fLi1ELb1ELb0ELb1EEEvPT_PKS4_PfPimiiiif.kd
    .uniform_work_group_size: 1
    .uses_dynamic_stack: false
    .vgpr_count:     15
    .vgpr_spill_count: 0
    .wavefront_size: 64
  - .agpr_count:     0
    .args:
      - .actual_access:  read_only
        .address_space:  global
        .offset:         0
        .size:           8
        .value_kind:     global_buffer
      - .actual_access:  read_only
        .address_space:  global
        .offset:         8
        .size:           8
        .value_kind:     global_buffer
      - .actual_access:  write_only
        .address_space:  global
        .offset:         16
        .size:           8
        .value_kind:     global_buffer
      - .actual_access:  write_only
        .address_space:  global
        .offset:         24
        .size:           8
        .value_kind:     global_buffer
      - .offset:         32
        .size:           8
        .value_kind:     by_value
      - .offset:         40
        .size:           4
        .value_kind:     by_value
      - .offset:         44
        .size:           4
        .value_kind:     by_value
      - .offset:         48
        .size:           4
        .value_kind:     by_value
      - .offset:         52
        .size:           4
        .value_kind:     by_value
      - .offset:         56
        .size:           4
        .value_kind:     by_value
      - .offset:         64
        .size:           4
        .value_kind:     hidden_block_count_x
      - .offset:         68
        .size:           4
        .value_kind:     hidden_block_count_y
      - .offset:         72
        .size:           4
        .value_kind:     hidden_block_count_z
      - .offset:         76
        .size:           2
        .value_kind:     hidden_group_size_x
      - .offset:         78
        .size:           2
        .value_kind:     hidden_group_size_y
      - .offset:         80
        .size:           2
        .value_kind:     hidden_group_size_z
      - .offset:         82
        .size:           2
        .value_kind:     hidden_remainder_x
      - .offset:         84
        .size:           2
        .value_kind:     hidden_remainder_y
      - .offset:         86
        .size:           2
        .value_kind:     hidden_remainder_z
      - .offset:         104
        .size:           8
        .value_kind:     hidden_global_offset_x
      - .offset:         112
        .size:           8
        .value_kind:     hidden_global_offset_y
      - .offset:         120
        .size:           8
        .value_kind:     hidden_global_offset_z
      - .offset:         128
        .size:           2
        .value_kind:     hidden_grid_dims
      - .offset:         184
        .size:           4
        .value_kind:     hidden_dynamic_lds_size
    .group_segment_fixed_size: 0
    .kernarg_segment_align: 8
    .kernarg_segment_size: 320
    .language:       OpenCL C
    .language_version:
      - 2
      - 0
    .max_flat_workgroup_size: 1024
    .name:           _ZN5aiter19grouped_topk_kernelIfDv2_fLi1ELb1ELb0ELb0EEEvPT_PKS2_PfPimiiiif
    .private_segment_fixed_size: 0
    .sgpr_count:     27
    .sgpr_spill_count: 0
    .symbol:         _ZN5aiter19grouped_topk_kernelIfDv2_fLi1ELb1ELb0ELb0EEEvPT_PKS2_PfPimiiiif.kd
    .uniform_work_group_size: 1
    .uses_dynamic_stack: false
    .vgpr_count:     19
    .vgpr_spill_count: 0
    .wavefront_size: 64
  - .agpr_count:     0
    .args:
      - .actual_access:  read_only
        .address_space:  global
        .offset:         0
        .size:           8
        .value_kind:     global_buffer
      - .actual_access:  read_only
        .address_space:  global
        .offset:         8
        .size:           8
        .value_kind:     global_buffer
      - .actual_access:  write_only
        .address_space:  global
        .offset:         16
        .size:           8
        .value_kind:     global_buffer
      - .actual_access:  write_only
        .address_space:  global
        .offset:         24
        .size:           8
        .value_kind:     global_buffer
      - .offset:         32
        .size:           8
        .value_kind:     by_value
      - .offset:         40
        .size:           4
        .value_kind:     by_value
      - .offset:         44
        .size:           4
        .value_kind:     by_value
      - .offset:         48
        .size:           4
        .value_kind:     by_value
      - .offset:         52
        .size:           4
        .value_kind:     by_value
      - .offset:         56
        .size:           4
        .value_kind:     by_value
      - .offset:         64
        .size:           4
        .value_kind:     hidden_block_count_x
      - .offset:         68
        .size:           4
        .value_kind:     hidden_block_count_y
      - .offset:         72
        .size:           4
        .value_kind:     hidden_block_count_z
      - .offset:         76
        .size:           2
        .value_kind:     hidden_group_size_x
      - .offset:         78
        .size:           2
        .value_kind:     hidden_group_size_y
      - .offset:         80
        .size:           2
        .value_kind:     hidden_group_size_z
      - .offset:         82
        .size:           2
        .value_kind:     hidden_remainder_x
      - .offset:         84
        .size:           2
        .value_kind:     hidden_remainder_y
      - .offset:         86
        .size:           2
        .value_kind:     hidden_remainder_z
      - .offset:         104
        .size:           8
        .value_kind:     hidden_global_offset_x
      - .offset:         112
        .size:           8
        .value_kind:     hidden_global_offset_y
      - .offset:         120
        .size:           8
        .value_kind:     hidden_global_offset_z
      - .offset:         128
        .size:           2
        .value_kind:     hidden_grid_dims
      - .offset:         184
        .size:           4
        .value_kind:     hidden_dynamic_lds_size
    .group_segment_fixed_size: 0
    .kernarg_segment_align: 8
    .kernarg_segment_size: 320
    .language:       OpenCL C
    .language_version:
      - 2
      - 0
    .max_flat_workgroup_size: 1024
    .name:           _ZN5aiter19grouped_topk_kernelIN3c104HalfEDv2_fLi1ELb1ELb0ELb0EEEvPT_PKS4_PfPimiiiif
    .private_segment_fixed_size: 0
    .sgpr_count:     29
    .sgpr_spill_count: 0
    .symbol:         _ZN5aiter19grouped_topk_kernelIN3c104HalfEDv2_fLi1ELb1ELb0ELb0EEEvPT_PKS4_PfPimiiiif.kd
    .uniform_work_group_size: 1
    .uses_dynamic_stack: false
    .vgpr_count:     20
    .vgpr_spill_count: 0
    .wavefront_size: 64
  - .agpr_count:     0
    .args:
      - .actual_access:  read_only
        .address_space:  global
        .offset:         0
        .size:           8
        .value_kind:     global_buffer
      - .actual_access:  read_only
        .address_space:  global
        .offset:         8
        .size:           8
        .value_kind:     global_buffer
      - .actual_access:  write_only
        .address_space:  global
        .offset:         16
        .size:           8
        .value_kind:     global_buffer
      - .actual_access:  write_only
        .address_space:  global
        .offset:         24
        .size:           8
        .value_kind:     global_buffer
      - .offset:         32
        .size:           8
        .value_kind:     by_value
      - .offset:         40
        .size:           4
        .value_kind:     by_value
      - .offset:         44
        .size:           4
        .value_kind:     by_value
      - .offset:         48
        .size:           4
        .value_kind:     by_value
      - .offset:         52
        .size:           4
        .value_kind:     by_value
      - .offset:         56
        .size:           4
        .value_kind:     by_value
      - .offset:         64
        .size:           4
        .value_kind:     hidden_block_count_x
      - .offset:         68
        .size:           4
        .value_kind:     hidden_block_count_y
      - .offset:         72
        .size:           4
        .value_kind:     hidden_block_count_z
      - .offset:         76
        .size:           2
        .value_kind:     hidden_group_size_x
      - .offset:         78
        .size:           2
        .value_kind:     hidden_group_size_y
      - .offset:         80
        .size:           2
        .value_kind:     hidden_group_size_z
      - .offset:         82
        .size:           2
        .value_kind:     hidden_remainder_x
      - .offset:         84
        .size:           2
        .value_kind:     hidden_remainder_y
      - .offset:         86
        .size:           2
        .value_kind:     hidden_remainder_z
      - .offset:         104
        .size:           8
        .value_kind:     hidden_global_offset_x
      - .offset:         112
        .size:           8
        .value_kind:     hidden_global_offset_y
      - .offset:         120
        .size:           8
        .value_kind:     hidden_global_offset_z
      - .offset:         128
        .size:           2
        .value_kind:     hidden_grid_dims
      - .offset:         184
        .size:           4
        .value_kind:     hidden_dynamic_lds_size
    .group_segment_fixed_size: 0
    .kernarg_segment_align: 8
    .kernarg_segment_size: 320
    .language:       OpenCL C
    .language_version:
      - 2
      - 0
    .max_flat_workgroup_size: 1024
    .name:           _ZN5aiter19grouped_topk_kernelIN3c108BFloat16EDv2_fLi1ELb1ELb0ELb0EEEvPT_PKS4_PfPimiiiif
    .private_segment_fixed_size: 0
    .sgpr_count:     28
    .sgpr_spill_count: 0
    .symbol:         _ZN5aiter19grouped_topk_kernelIN3c108BFloat16EDv2_fLi1ELb1ELb0ELb0EEEvPT_PKS4_PfPimiiiif.kd
    .uniform_work_group_size: 1
    .uses_dynamic_stack: false
    .vgpr_count:     20
    .vgpr_spill_count: 0
    .wavefront_size: 64
  - .agpr_count:     0
    .args:
      - .actual_access:  read_only
        .address_space:  global
        .offset:         0
        .size:           8
        .value_kind:     global_buffer
      - .actual_access:  read_only
        .address_space:  global
        .offset:         8
        .size:           8
        .value_kind:     global_buffer
      - .actual_access:  read_only
        .address_space:  global
        .offset:         16
        .size:           8
        .value_kind:     global_buffer
      - .actual_access:  read_only
        .address_space:  global
        .offset:         24
        .size:           8
        .value_kind:     global_buffer
      - .offset:         32
        .size:           8
        .value_kind:     by_value
      - .offset:         40
        .size:           4
        .value_kind:     by_value
      - .offset:         44
        .size:           4
        .value_kind:     by_value
      - .offset:         48
        .size:           4
        .value_kind:     by_value
      - .offset:         52
        .size:           4
        .value_kind:     by_value
      - .offset:         56
        .size:           4
        .value_kind:     by_value
    .group_segment_fixed_size: 0
    .kernarg_segment_align: 8
    .kernarg_segment_size: 60
    .language:       OpenCL C
    .language_version:
      - 2
      - 0
    .max_flat_workgroup_size: 1024
    .name:           _ZN5aiter28grouped_topk_opt_sort_kernelIfDv2_fLi1ELb0ELb1ELb0EEEvPT_PKS2_PfPimiiiif
    .private_segment_fixed_size: 0
    .sgpr_count:     16
    .sgpr_spill_count: 0
    .symbol:         _ZN5aiter28grouped_topk_opt_sort_kernelIfDv2_fLi1ELb0ELb1ELb0EEEvPT_PKS2_PfPimiiiif.kd
    .uniform_work_group_size: 1
    .uses_dynamic_stack: false
    .vgpr_count:     9
    .vgpr_spill_count: 0
    .wavefront_size: 64
  - .agpr_count:     0
    .args:
      - .actual_access:  read_only
        .address_space:  global
        .offset:         0
        .size:           8
        .value_kind:     global_buffer
      - .actual_access:  read_only
        .address_space:  global
        .offset:         8
        .size:           8
        .value_kind:     global_buffer
      - .actual_access:  read_only
        .address_space:  global
        .offset:         16
        .size:           8
        .value_kind:     global_buffer
      - .actual_access:  read_only
        .address_space:  global
        .offset:         24
        .size:           8
        .value_kind:     global_buffer
      - .offset:         32
        .size:           8
        .value_kind:     by_value
      - .offset:         40
        .size:           4
        .value_kind:     by_value
      - .offset:         44
        .size:           4
        .value_kind:     by_value
      - .offset:         48
        .size:           4
        .value_kind:     by_value
      - .offset:         52
        .size:           4
        .value_kind:     by_value
      - .offset:         56
        .size:           4
        .value_kind:     by_value
    .group_segment_fixed_size: 0
    .kernarg_segment_align: 8
    .kernarg_segment_size: 60
    .language:       OpenCL C
    .language_version:
      - 2
      - 0
    .max_flat_workgroup_size: 1024
    .name:           _ZN5aiter28grouped_topk_opt_sort_kernelIN3c104HalfEDv2_fLi1ELb0ELb1ELb0EEEvPT_PKS4_PfPimiiiif
    .private_segment_fixed_size: 0
    .sgpr_count:     16
    .sgpr_spill_count: 0
    .symbol:         _ZN5aiter28grouped_topk_opt_sort_kernelIN3c104HalfEDv2_fLi1ELb0ELb1ELb0EEEvPT_PKS4_PfPimiiiif.kd
    .uniform_work_group_size: 1
    .uses_dynamic_stack: false
    .vgpr_count:     9
    .vgpr_spill_count: 0
    .wavefront_size: 64
  - .agpr_count:     0
    .args:
      - .actual_access:  read_only
        .address_space:  global
        .offset:         0
        .size:           8
        .value_kind:     global_buffer
      - .actual_access:  read_only
        .address_space:  global
        .offset:         8
        .size:           8
        .value_kind:     global_buffer
      - .actual_access:  read_only
        .address_space:  global
        .offset:         16
        .size:           8
        .value_kind:     global_buffer
      - .actual_access:  read_only
        .address_space:  global
        .offset:         24
        .size:           8
        .value_kind:     global_buffer
      - .offset:         32
        .size:           8
        .value_kind:     by_value
      - .offset:         40
        .size:           4
        .value_kind:     by_value
      - .offset:         44
        .size:           4
        .value_kind:     by_value
      - .offset:         48
        .size:           4
        .value_kind:     by_value
      - .offset:         52
        .size:           4
        .value_kind:     by_value
      - .offset:         56
        .size:           4
        .value_kind:     by_value
    .group_segment_fixed_size: 0
    .kernarg_segment_align: 8
    .kernarg_segment_size: 60
    .language:       OpenCL C
    .language_version:
      - 2
      - 0
    .max_flat_workgroup_size: 1024
    .name:           _ZN5aiter28grouped_topk_opt_sort_kernelIN3c108BFloat16EDv2_fLi1ELb0ELb1ELb0EEEvPT_PKS4_PfPimiiiif
    .private_segment_fixed_size: 0
    .sgpr_count:     16
    .sgpr_spill_count: 0
    .symbol:         _ZN5aiter28grouped_topk_opt_sort_kernelIN3c108BFloat16EDv2_fLi1ELb0ELb1ELb0EEEvPT_PKS4_PfPimiiiif.kd
    .uniform_work_group_size: 1
    .uses_dynamic_stack: false
    .vgpr_count:     9
    .vgpr_spill_count: 0
    .wavefront_size: 64
  - .agpr_count:     0
    .args:
      - .actual_access:  read_only
        .address_space:  global
        .offset:         0
        .size:           8
        .value_kind:     global_buffer
      - .actual_access:  read_only
        .address_space:  global
        .offset:         8
        .size:           8
        .value_kind:     global_buffer
      - .actual_access:  write_only
        .address_space:  global
        .offset:         16
        .size:           8
        .value_kind:     global_buffer
      - .actual_access:  write_only
        .address_space:  global
        .offset:         24
        .size:           8
        .value_kind:     global_buffer
      - .offset:         32
        .size:           8
        .value_kind:     by_value
      - .offset:         40
        .size:           4
        .value_kind:     by_value
      - .offset:         44
        .size:           4
        .value_kind:     by_value
      - .offset:         48
        .size:           4
        .value_kind:     by_value
      - .offset:         52
        .size:           4
        .value_kind:     by_value
      - .offset:         56
        .size:           4
        .value_kind:     by_value
      - .offset:         64
        .size:           4
        .value_kind:     hidden_block_count_x
      - .offset:         68
        .size:           4
        .value_kind:     hidden_block_count_y
      - .offset:         72
        .size:           4
        .value_kind:     hidden_block_count_z
      - .offset:         76
        .size:           2
        .value_kind:     hidden_group_size_x
      - .offset:         78
        .size:           2
        .value_kind:     hidden_group_size_y
      - .offset:         80
        .size:           2
        .value_kind:     hidden_group_size_z
      - .offset:         82
        .size:           2
        .value_kind:     hidden_remainder_x
      - .offset:         84
        .size:           2
        .value_kind:     hidden_remainder_y
      - .offset:         86
        .size:           2
        .value_kind:     hidden_remainder_z
      - .offset:         104
        .size:           8
        .value_kind:     hidden_global_offset_x
      - .offset:         112
        .size:           8
        .value_kind:     hidden_global_offset_y
      - .offset:         120
        .size:           8
        .value_kind:     hidden_global_offset_z
      - .offset:         128
        .size:           2
        .value_kind:     hidden_grid_dims
      - .offset:         184
        .size:           4
        .value_kind:     hidden_dynamic_lds_size
    .group_segment_fixed_size: 0
    .kernarg_segment_align: 8
    .kernarg_segment_size: 320
    .language:       OpenCL C
    .language_version:
      - 2
      - 0
    .max_flat_workgroup_size: 1024
    .name:           _ZN5aiter19grouped_topk_kernelIfDv2_fLi1ELb0ELb1ELb0EEEvPT_PKS2_PfPimiiiif
    .private_segment_fixed_size: 0
    .sgpr_count:     29
    .sgpr_spill_count: 0
    .symbol:         _ZN5aiter19grouped_topk_kernelIfDv2_fLi1ELb0ELb1ELb0EEEvPT_PKS2_PfPimiiiif.kd
    .uniform_work_group_size: 1
    .uses_dynamic_stack: false
    .vgpr_count:     23
    .vgpr_spill_count: 0
    .wavefront_size: 64
  - .agpr_count:     0
    .args:
      - .actual_access:  read_only
        .address_space:  global
        .offset:         0
        .size:           8
        .value_kind:     global_buffer
      - .actual_access:  read_only
        .address_space:  global
        .offset:         8
        .size:           8
        .value_kind:     global_buffer
      - .actual_access:  write_only
        .address_space:  global
        .offset:         16
        .size:           8
        .value_kind:     global_buffer
      - .actual_access:  write_only
        .address_space:  global
        .offset:         24
        .size:           8
        .value_kind:     global_buffer
      - .offset:         32
        .size:           8
        .value_kind:     by_value
      - .offset:         40
        .size:           4
        .value_kind:     by_value
      - .offset:         44
        .size:           4
        .value_kind:     by_value
      - .offset:         48
        .size:           4
        .value_kind:     by_value
      - .offset:         52
        .size:           4
        .value_kind:     by_value
      - .offset:         56
        .size:           4
        .value_kind:     by_value
      - .offset:         64
        .size:           4
        .value_kind:     hidden_block_count_x
      - .offset:         68
        .size:           4
        .value_kind:     hidden_block_count_y
      - .offset:         72
        .size:           4
        .value_kind:     hidden_block_count_z
      - .offset:         76
        .size:           2
        .value_kind:     hidden_group_size_x
      - .offset:         78
        .size:           2
        .value_kind:     hidden_group_size_y
      - .offset:         80
        .size:           2
        .value_kind:     hidden_group_size_z
      - .offset:         82
        .size:           2
        .value_kind:     hidden_remainder_x
      - .offset:         84
        .size:           2
        .value_kind:     hidden_remainder_y
      - .offset:         86
        .size:           2
        .value_kind:     hidden_remainder_z
      - .offset:         104
        .size:           8
        .value_kind:     hidden_global_offset_x
      - .offset:         112
        .size:           8
        .value_kind:     hidden_global_offset_y
      - .offset:         120
        .size:           8
        .value_kind:     hidden_global_offset_z
      - .offset:         128
        .size:           2
        .value_kind:     hidden_grid_dims
      - .offset:         184
        .size:           4
        .value_kind:     hidden_dynamic_lds_size
    .group_segment_fixed_size: 0
    .kernarg_segment_align: 8
    .kernarg_segment_size: 320
    .language:       OpenCL C
    .language_version:
      - 2
      - 0
    .max_flat_workgroup_size: 1024
    .name:           _ZN5aiter19grouped_topk_kernelIN3c104HalfEDv2_fLi1ELb0ELb1ELb0EEEvPT_PKS4_PfPimiiiif
    .private_segment_fixed_size: 0
    .sgpr_count:     31
    .sgpr_spill_count: 0
    .symbol:         _ZN5aiter19grouped_topk_kernelIN3c104HalfEDv2_fLi1ELb0ELb1ELb0EEEvPT_PKS4_PfPimiiiif.kd
    .uniform_work_group_size: 1
    .uses_dynamic_stack: false
    .vgpr_count:     24
    .vgpr_spill_count: 0
    .wavefront_size: 64
  - .agpr_count:     0
    .args:
      - .actual_access:  read_only
        .address_space:  global
        .offset:         0
        .size:           8
        .value_kind:     global_buffer
      - .actual_access:  read_only
        .address_space:  global
        .offset:         8
        .size:           8
        .value_kind:     global_buffer
      - .actual_access:  write_only
        .address_space:  global
        .offset:         16
        .size:           8
        .value_kind:     global_buffer
      - .actual_access:  write_only
        .address_space:  global
        .offset:         24
        .size:           8
        .value_kind:     global_buffer
      - .offset:         32
        .size:           8
        .value_kind:     by_value
      - .offset:         40
        .size:           4
        .value_kind:     by_value
      - .offset:         44
        .size:           4
        .value_kind:     by_value
      - .offset:         48
        .size:           4
        .value_kind:     by_value
      - .offset:         52
        .size:           4
        .value_kind:     by_value
      - .offset:         56
        .size:           4
        .value_kind:     by_value
      - .offset:         64
        .size:           4
        .value_kind:     hidden_block_count_x
      - .offset:         68
        .size:           4
        .value_kind:     hidden_block_count_y
      - .offset:         72
        .size:           4
        .value_kind:     hidden_block_count_z
      - .offset:         76
        .size:           2
        .value_kind:     hidden_group_size_x
      - .offset:         78
        .size:           2
        .value_kind:     hidden_group_size_y
      - .offset:         80
        .size:           2
        .value_kind:     hidden_group_size_z
      - .offset:         82
        .size:           2
        .value_kind:     hidden_remainder_x
      - .offset:         84
        .size:           2
        .value_kind:     hidden_remainder_y
      - .offset:         86
        .size:           2
        .value_kind:     hidden_remainder_z
      - .offset:         104
        .size:           8
        .value_kind:     hidden_global_offset_x
      - .offset:         112
        .size:           8
        .value_kind:     hidden_global_offset_y
      - .offset:         120
        .size:           8
        .value_kind:     hidden_global_offset_z
      - .offset:         128
        .size:           2
        .value_kind:     hidden_grid_dims
      - .offset:         184
        .size:           4
        .value_kind:     hidden_dynamic_lds_size
    .group_segment_fixed_size: 0
    .kernarg_segment_align: 8
    .kernarg_segment_size: 320
    .language:       OpenCL C
    .language_version:
      - 2
      - 0
    .max_flat_workgroup_size: 1024
    .name:           _ZN5aiter19grouped_topk_kernelIN3c108BFloat16EDv2_fLi1ELb0ELb1ELb0EEEvPT_PKS4_PfPimiiiif
    .private_segment_fixed_size: 0
    .sgpr_count:     30
    .sgpr_spill_count: 0
    .symbol:         _ZN5aiter19grouped_topk_kernelIN3c108BFloat16EDv2_fLi1ELb0ELb1ELb0EEEvPT_PKS4_PfPimiiiif.kd
    .uniform_work_group_size: 1
    .uses_dynamic_stack: false
    .vgpr_count:     24
    .vgpr_spill_count: 0
    .wavefront_size: 64
  - .agpr_count:     0
    .args:
      - .actual_access:  read_only
        .address_space:  global
        .offset:         0
        .size:           8
        .value_kind:     global_buffer
      - .actual_access:  read_only
        .address_space:  global
        .offset:         8
        .size:           8
        .value_kind:     global_buffer
      - .actual_access:  write_only
        .address_space:  global
        .offset:         16
        .size:           8
        .value_kind:     global_buffer
      - .actual_access:  write_only
        .address_space:  global
        .offset:         24
        .size:           8
        .value_kind:     global_buffer
      - .offset:         32
        .size:           8
        .value_kind:     by_value
      - .offset:         40
        .size:           4
        .value_kind:     by_value
      - .offset:         44
        .size:           4
        .value_kind:     by_value
      - .offset:         48
        .size:           4
        .value_kind:     by_value
      - .offset:         52
        .size:           4
        .value_kind:     by_value
      - .offset:         56
        .size:           4
        .value_kind:     by_value
      - .offset:         64
        .size:           4
        .value_kind:     hidden_block_count_x
      - .offset:         68
        .size:           4
        .value_kind:     hidden_block_count_y
      - .offset:         72
        .size:           4
        .value_kind:     hidden_block_count_z
      - .offset:         76
        .size:           2
        .value_kind:     hidden_group_size_x
      - .offset:         78
        .size:           2
        .value_kind:     hidden_group_size_y
      - .offset:         80
        .size:           2
        .value_kind:     hidden_group_size_z
      - .offset:         82
        .size:           2
        .value_kind:     hidden_remainder_x
      - .offset:         84
        .size:           2
        .value_kind:     hidden_remainder_y
      - .offset:         86
        .size:           2
        .value_kind:     hidden_remainder_z
      - .offset:         104
        .size:           8
        .value_kind:     hidden_global_offset_x
      - .offset:         112
        .size:           8
        .value_kind:     hidden_global_offset_y
      - .offset:         120
        .size:           8
        .value_kind:     hidden_global_offset_z
      - .offset:         128
        .size:           2
        .value_kind:     hidden_grid_dims
      - .offset:         184
        .size:           4
        .value_kind:     hidden_dynamic_lds_size
    .group_segment_fixed_size: 0
    .kernarg_segment_align: 8
    .kernarg_segment_size: 320
    .language:       OpenCL C
    .language_version:
      - 2
      - 0
    .max_flat_workgroup_size: 1024
    .name:           _ZN5aiter19grouped_topk_kernelIfDv2_fLi1ELb0ELb0ELb1EEEvPT_PKS2_PfPimiiiif
    .private_segment_fixed_size: 0
    .sgpr_count:     25
    .sgpr_spill_count: 0
    .symbol:         _ZN5aiter19grouped_topk_kernelIfDv2_fLi1ELb0ELb0ELb1EEEvPT_PKS2_PfPimiiiif.kd
    .uniform_work_group_size: 1
    .uses_dynamic_stack: false
    .vgpr_count:     14
    .vgpr_spill_count: 0
    .wavefront_size: 64
  - .agpr_count:     0
    .args:
      - .actual_access:  read_only
        .address_space:  global
        .offset:         0
        .size:           8
        .value_kind:     global_buffer
      - .actual_access:  read_only
        .address_space:  global
        .offset:         8
        .size:           8
        .value_kind:     global_buffer
      - .actual_access:  write_only
        .address_space:  global
        .offset:         16
        .size:           8
        .value_kind:     global_buffer
      - .actual_access:  write_only
        .address_space:  global
        .offset:         24
        .size:           8
        .value_kind:     global_buffer
      - .offset:         32
        .size:           8
        .value_kind:     by_value
      - .offset:         40
        .size:           4
        .value_kind:     by_value
      - .offset:         44
        .size:           4
        .value_kind:     by_value
      - .offset:         48
        .size:           4
        .value_kind:     by_value
      - .offset:         52
        .size:           4
        .value_kind:     by_value
      - .offset:         56
        .size:           4
        .value_kind:     by_value
      - .offset:         64
        .size:           4
        .value_kind:     hidden_block_count_x
      - .offset:         68
        .size:           4
        .value_kind:     hidden_block_count_y
      - .offset:         72
        .size:           4
        .value_kind:     hidden_block_count_z
      - .offset:         76
        .size:           2
        .value_kind:     hidden_group_size_x
      - .offset:         78
        .size:           2
        .value_kind:     hidden_group_size_y
      - .offset:         80
        .size:           2
        .value_kind:     hidden_group_size_z
      - .offset:         82
        .size:           2
        .value_kind:     hidden_remainder_x
      - .offset:         84
        .size:           2
        .value_kind:     hidden_remainder_y
      - .offset:         86
        .size:           2
        .value_kind:     hidden_remainder_z
      - .offset:         104
        .size:           8
        .value_kind:     hidden_global_offset_x
      - .offset:         112
        .size:           8
        .value_kind:     hidden_global_offset_y
      - .offset:         120
        .size:           8
        .value_kind:     hidden_global_offset_z
      - .offset:         128
        .size:           2
        .value_kind:     hidden_grid_dims
      - .offset:         184
        .size:           4
        .value_kind:     hidden_dynamic_lds_size
    .group_segment_fixed_size: 0
    .kernarg_segment_align: 8
    .kernarg_segment_size: 320
    .language:       OpenCL C
    .language_version:
      - 2
      - 0
    .max_flat_workgroup_size: 1024
    .name:           _ZN5aiter19grouped_topk_kernelIN3c104HalfEDv2_fLi1ELb0ELb0ELb1EEEvPT_PKS4_PfPimiiiif
    .private_segment_fixed_size: 0
    .sgpr_count:     25
    .sgpr_spill_count: 0
    .symbol:         _ZN5aiter19grouped_topk_kernelIN3c104HalfEDv2_fLi1ELb0ELb0ELb1EEEvPT_PKS4_PfPimiiiif.kd
    .uniform_work_group_size: 1
    .uses_dynamic_stack: false
    .vgpr_count:     14
    .vgpr_spill_count: 0
    .wavefront_size: 64
  - .agpr_count:     0
    .args:
      - .actual_access:  read_only
        .address_space:  global
        .offset:         0
        .size:           8
        .value_kind:     global_buffer
      - .actual_access:  read_only
        .address_space:  global
        .offset:         8
        .size:           8
        .value_kind:     global_buffer
      - .actual_access:  write_only
        .address_space:  global
        .offset:         16
        .size:           8
        .value_kind:     global_buffer
      - .actual_access:  write_only
        .address_space:  global
        .offset:         24
        .size:           8
        .value_kind:     global_buffer
      - .offset:         32
        .size:           8
        .value_kind:     by_value
      - .offset:         40
        .size:           4
        .value_kind:     by_value
      - .offset:         44
        .size:           4
        .value_kind:     by_value
      - .offset:         48
        .size:           4
        .value_kind:     by_value
      - .offset:         52
        .size:           4
        .value_kind:     by_value
      - .offset:         56
        .size:           4
        .value_kind:     by_value
      - .offset:         64
        .size:           4
        .value_kind:     hidden_block_count_x
      - .offset:         68
        .size:           4
        .value_kind:     hidden_block_count_y
      - .offset:         72
        .size:           4
        .value_kind:     hidden_block_count_z
      - .offset:         76
        .size:           2
        .value_kind:     hidden_group_size_x
      - .offset:         78
        .size:           2
        .value_kind:     hidden_group_size_y
      - .offset:         80
        .size:           2
        .value_kind:     hidden_group_size_z
      - .offset:         82
        .size:           2
        .value_kind:     hidden_remainder_x
      - .offset:         84
        .size:           2
        .value_kind:     hidden_remainder_y
      - .offset:         86
        .size:           2
        .value_kind:     hidden_remainder_z
      - .offset:         104
        .size:           8
        .value_kind:     hidden_global_offset_x
      - .offset:         112
        .size:           8
        .value_kind:     hidden_global_offset_y
      - .offset:         120
        .size:           8
        .value_kind:     hidden_global_offset_z
      - .offset:         128
        .size:           2
        .value_kind:     hidden_grid_dims
      - .offset:         184
        .size:           4
        .value_kind:     hidden_dynamic_lds_size
    .group_segment_fixed_size: 0
    .kernarg_segment_align: 8
    .kernarg_segment_size: 320
    .language:       OpenCL C
    .language_version:
      - 2
      - 0
    .max_flat_workgroup_size: 1024
    .name:           _ZN5aiter19grouped_topk_kernelIN3c108BFloat16EDv2_fLi1ELb0ELb0ELb1EEEvPT_PKS4_PfPimiiiif
    .private_segment_fixed_size: 0
    .sgpr_count:     25
    .sgpr_spill_count: 0
    .symbol:         _ZN5aiter19grouped_topk_kernelIN3c108BFloat16EDv2_fLi1ELb0ELb0ELb1EEEvPT_PKS4_PfPimiiiif.kd
    .uniform_work_group_size: 1
    .uses_dynamic_stack: false
    .vgpr_count:     14
    .vgpr_spill_count: 0
    .wavefront_size: 64
  - .agpr_count:     0
    .args:
      - .actual_access:  read_only
        .address_space:  global
        .offset:         0
        .size:           8
        .value_kind:     global_buffer
      - .actual_access:  read_only
        .address_space:  global
        .offset:         8
        .size:           8
        .value_kind:     global_buffer
      - .actual_access:  write_only
        .address_space:  global
        .offset:         16
        .size:           8
        .value_kind:     global_buffer
      - .actual_access:  write_only
        .address_space:  global
        .offset:         24
        .size:           8
        .value_kind:     global_buffer
      - .offset:         32
        .size:           8
        .value_kind:     by_value
      - .offset:         40
        .size:           4
        .value_kind:     by_value
      - .offset:         44
        .size:           4
        .value_kind:     by_value
      - .offset:         48
        .size:           4
        .value_kind:     by_value
      - .offset:         52
        .size:           4
        .value_kind:     by_value
      - .offset:         56
        .size:           4
        .value_kind:     by_value
      - .offset:         64
        .size:           4
        .value_kind:     hidden_block_count_x
      - .offset:         68
        .size:           4
        .value_kind:     hidden_block_count_y
      - .offset:         72
        .size:           4
        .value_kind:     hidden_block_count_z
      - .offset:         76
        .size:           2
        .value_kind:     hidden_group_size_x
      - .offset:         78
        .size:           2
        .value_kind:     hidden_group_size_y
      - .offset:         80
        .size:           2
        .value_kind:     hidden_group_size_z
      - .offset:         82
        .size:           2
        .value_kind:     hidden_remainder_x
      - .offset:         84
        .size:           2
        .value_kind:     hidden_remainder_y
      - .offset:         86
        .size:           2
        .value_kind:     hidden_remainder_z
      - .offset:         104
        .size:           8
        .value_kind:     hidden_global_offset_x
      - .offset:         112
        .size:           8
        .value_kind:     hidden_global_offset_y
      - .offset:         120
        .size:           8
        .value_kind:     hidden_global_offset_z
      - .offset:         128
        .size:           2
        .value_kind:     hidden_grid_dims
      - .offset:         184
        .size:           4
        .value_kind:     hidden_dynamic_lds_size
    .group_segment_fixed_size: 0
    .kernarg_segment_align: 8
    .kernarg_segment_size: 320
    .language:       OpenCL C
    .language_version:
      - 2
      - 0
    .max_flat_workgroup_size: 1024
    .name:           _ZN5aiter19grouped_topk_kernelIfDv2_fLi1ELb0ELb0ELb0EEEvPT_PKS2_PfPimiiiif
    .private_segment_fixed_size: 0
    .sgpr_count:     27
    .sgpr_spill_count: 0
    .symbol:         _ZN5aiter19grouped_topk_kernelIfDv2_fLi1ELb0ELb0ELb0EEEvPT_PKS2_PfPimiiiif.kd
    .uniform_work_group_size: 1
    .uses_dynamic_stack: false
    .vgpr_count:     19
    .vgpr_spill_count: 0
    .wavefront_size: 64
  - .agpr_count:     0
    .args:
      - .actual_access:  read_only
        .address_space:  global
        .offset:         0
        .size:           8
        .value_kind:     global_buffer
      - .actual_access:  read_only
        .address_space:  global
        .offset:         8
        .size:           8
        .value_kind:     global_buffer
      - .actual_access:  write_only
        .address_space:  global
        .offset:         16
        .size:           8
        .value_kind:     global_buffer
      - .actual_access:  write_only
        .address_space:  global
        .offset:         24
        .size:           8
        .value_kind:     global_buffer
      - .offset:         32
        .size:           8
        .value_kind:     by_value
      - .offset:         40
        .size:           4
        .value_kind:     by_value
      - .offset:         44
        .size:           4
        .value_kind:     by_value
      - .offset:         48
        .size:           4
        .value_kind:     by_value
      - .offset:         52
        .size:           4
        .value_kind:     by_value
      - .offset:         56
        .size:           4
        .value_kind:     by_value
      - .offset:         64
        .size:           4
        .value_kind:     hidden_block_count_x
      - .offset:         68
        .size:           4
        .value_kind:     hidden_block_count_y
      - .offset:         72
        .size:           4
        .value_kind:     hidden_block_count_z
      - .offset:         76
        .size:           2
        .value_kind:     hidden_group_size_x
      - .offset:         78
        .size:           2
        .value_kind:     hidden_group_size_y
      - .offset:         80
        .size:           2
        .value_kind:     hidden_group_size_z
      - .offset:         82
        .size:           2
        .value_kind:     hidden_remainder_x
      - .offset:         84
        .size:           2
        .value_kind:     hidden_remainder_y
      - .offset:         86
        .size:           2
        .value_kind:     hidden_remainder_z
      - .offset:         104
        .size:           8
        .value_kind:     hidden_global_offset_x
      - .offset:         112
        .size:           8
        .value_kind:     hidden_global_offset_y
      - .offset:         120
        .size:           8
        .value_kind:     hidden_global_offset_z
      - .offset:         128
        .size:           2
        .value_kind:     hidden_grid_dims
      - .offset:         184
        .size:           4
        .value_kind:     hidden_dynamic_lds_size
    .group_segment_fixed_size: 0
    .kernarg_segment_align: 8
    .kernarg_segment_size: 320
    .language:       OpenCL C
    .language_version:
      - 2
      - 0
    .max_flat_workgroup_size: 1024
    .name:           _ZN5aiter19grouped_topk_kernelIN3c104HalfEDv2_fLi1ELb0ELb0ELb0EEEvPT_PKS4_PfPimiiiif
    .private_segment_fixed_size: 0
    .sgpr_count:     29
    .sgpr_spill_count: 0
    .symbol:         _ZN5aiter19grouped_topk_kernelIN3c104HalfEDv2_fLi1ELb0ELb0ELb0EEEvPT_PKS4_PfPimiiiif.kd
    .uniform_work_group_size: 1
    .uses_dynamic_stack: false
    .vgpr_count:     20
    .vgpr_spill_count: 0
    .wavefront_size: 64
  - .agpr_count:     0
    .args:
      - .actual_access:  read_only
        .address_space:  global
        .offset:         0
        .size:           8
        .value_kind:     global_buffer
      - .actual_access:  read_only
        .address_space:  global
        .offset:         8
        .size:           8
        .value_kind:     global_buffer
      - .actual_access:  write_only
        .address_space:  global
        .offset:         16
        .size:           8
        .value_kind:     global_buffer
      - .actual_access:  write_only
        .address_space:  global
        .offset:         24
        .size:           8
        .value_kind:     global_buffer
      - .offset:         32
        .size:           8
        .value_kind:     by_value
      - .offset:         40
        .size:           4
        .value_kind:     by_value
      - .offset:         44
        .size:           4
        .value_kind:     by_value
      - .offset:         48
        .size:           4
        .value_kind:     by_value
      - .offset:         52
        .size:           4
        .value_kind:     by_value
      - .offset:         56
        .size:           4
        .value_kind:     by_value
      - .offset:         64
        .size:           4
        .value_kind:     hidden_block_count_x
      - .offset:         68
        .size:           4
        .value_kind:     hidden_block_count_y
      - .offset:         72
        .size:           4
        .value_kind:     hidden_block_count_z
      - .offset:         76
        .size:           2
        .value_kind:     hidden_group_size_x
      - .offset:         78
        .size:           2
        .value_kind:     hidden_group_size_y
      - .offset:         80
        .size:           2
        .value_kind:     hidden_group_size_z
      - .offset:         82
        .size:           2
        .value_kind:     hidden_remainder_x
      - .offset:         84
        .size:           2
        .value_kind:     hidden_remainder_y
      - .offset:         86
        .size:           2
        .value_kind:     hidden_remainder_z
      - .offset:         104
        .size:           8
        .value_kind:     hidden_global_offset_x
      - .offset:         112
        .size:           8
        .value_kind:     hidden_global_offset_y
      - .offset:         120
        .size:           8
        .value_kind:     hidden_global_offset_z
      - .offset:         128
        .size:           2
        .value_kind:     hidden_grid_dims
      - .offset:         184
        .size:           4
        .value_kind:     hidden_dynamic_lds_size
    .group_segment_fixed_size: 0
    .kernarg_segment_align: 8
    .kernarg_segment_size: 320
    .language:       OpenCL C
    .language_version:
      - 2
      - 0
    .max_flat_workgroup_size: 1024
    .name:           _ZN5aiter19grouped_topk_kernelIN3c108BFloat16EDv2_fLi1ELb0ELb0ELb0EEEvPT_PKS4_PfPimiiiif
    .private_segment_fixed_size: 0
    .sgpr_count:     28
    .sgpr_spill_count: 0
    .symbol:         _ZN5aiter19grouped_topk_kernelIN3c108BFloat16EDv2_fLi1ELb0ELb0ELb0EEEvPT_PKS4_PfPimiiiif.kd
    .uniform_work_group_size: 1
    .uses_dynamic_stack: false
    .vgpr_count:     20
    .vgpr_spill_count: 0
    .wavefront_size: 64
  - .agpr_count:     0
    .args:
      - .actual_access:  read_only
        .address_space:  global
        .offset:         0
        .size:           8
        .value_kind:     global_buffer
      - .actual_access:  read_only
        .address_space:  global
        .offset:         8
        .size:           8
        .value_kind:     global_buffer
      - .actual_access:  write_only
        .address_space:  global
        .offset:         16
        .size:           8
        .value_kind:     global_buffer
      - .actual_access:  write_only
        .address_space:  global
        .offset:         24
        .size:           8
        .value_kind:     global_buffer
      - .offset:         32
        .size:           8
        .value_kind:     by_value
      - .offset:         40
        .size:           4
        .value_kind:     by_value
      - .offset:         44
        .size:           4
        .value_kind:     by_value
      - .offset:         48
        .size:           4
        .value_kind:     by_value
      - .offset:         52
        .size:           4
        .value_kind:     by_value
      - .offset:         56
        .size:           4
        .value_kind:     by_value
    .group_segment_fixed_size: 0
    .kernarg_segment_align: 8
    .kernarg_segment_size: 60
    .language:       OpenCL C
    .language_version:
      - 2
      - 0
    .max_flat_workgroup_size: 1024
    .name:           _ZN5aiter28grouped_topk_opt_sort_kernelIfDv1_fLi8ELb1ELb1ELb0EEEvPT_PKS2_PfPimiiiif
    .private_segment_fixed_size: 0
    .sgpr_count:     24
    .sgpr_spill_count: 0
    .symbol:         _ZN5aiter28grouped_topk_opt_sort_kernelIfDv1_fLi8ELb1ELb1ELb0EEEvPT_PKS2_PfPimiiiif.kd
    .uniform_work_group_size: 1
    .uses_dynamic_stack: false
    .vgpr_count:     29
    .vgpr_spill_count: 0
    .wavefront_size: 64
  - .agpr_count:     0
    .args:
      - .actual_access:  read_only
        .address_space:  global
        .offset:         0
        .size:           8
        .value_kind:     global_buffer
      - .actual_access:  read_only
        .address_space:  global
        .offset:         8
        .size:           8
        .value_kind:     global_buffer
      - .actual_access:  write_only
        .address_space:  global
        .offset:         16
        .size:           8
        .value_kind:     global_buffer
      - .actual_access:  write_only
        .address_space:  global
        .offset:         24
        .size:           8
        .value_kind:     global_buffer
      - .offset:         32
        .size:           8
        .value_kind:     by_value
      - .offset:         40
        .size:           4
        .value_kind:     by_value
      - .offset:         44
        .size:           4
        .value_kind:     by_value
      - .offset:         48
        .size:           4
        .value_kind:     by_value
      - .offset:         52
        .size:           4
        .value_kind:     by_value
      - .offset:         56
        .size:           4
        .value_kind:     by_value
    .group_segment_fixed_size: 0
    .kernarg_segment_align: 8
    .kernarg_segment_size: 60
    .language:       OpenCL C
    .language_version:
      - 2
      - 0
    .max_flat_workgroup_size: 1024
    .name:           _ZN5aiter28grouped_topk_opt_sort_kernelIN3c104HalfEDv1_fLi8ELb1ELb1ELb0EEEvPT_PKS4_PfPimiiiif
    .private_segment_fixed_size: 0
    .sgpr_count:     24
    .sgpr_spill_count: 0
    .symbol:         _ZN5aiter28grouped_topk_opt_sort_kernelIN3c104HalfEDv1_fLi8ELb1ELb1ELb0EEEvPT_PKS4_PfPimiiiif.kd
    .uniform_work_group_size: 1
    .uses_dynamic_stack: false
    .vgpr_count:     29
    .vgpr_spill_count: 0
    .wavefront_size: 64
  - .agpr_count:     0
    .args:
      - .actual_access:  read_only
        .address_space:  global
        .offset:         0
        .size:           8
        .value_kind:     global_buffer
      - .actual_access:  read_only
        .address_space:  global
        .offset:         8
        .size:           8
        .value_kind:     global_buffer
      - .actual_access:  write_only
        .address_space:  global
        .offset:         16
        .size:           8
        .value_kind:     global_buffer
      - .actual_access:  write_only
        .address_space:  global
        .offset:         24
        .size:           8
        .value_kind:     global_buffer
      - .offset:         32
        .size:           8
        .value_kind:     by_value
      - .offset:         40
        .size:           4
        .value_kind:     by_value
      - .offset:         44
        .size:           4
        .value_kind:     by_value
      - .offset:         48
        .size:           4
        .value_kind:     by_value
      - .offset:         52
        .size:           4
        .value_kind:     by_value
      - .offset:         56
        .size:           4
        .value_kind:     by_value
    .group_segment_fixed_size: 0
    .kernarg_segment_align: 8
    .kernarg_segment_size: 60
    .language:       OpenCL C
    .language_version:
      - 2
      - 0
    .max_flat_workgroup_size: 1024
    .name:           _ZN5aiter28grouped_topk_opt_sort_kernelIN3c108BFloat16EDv1_fLi8ELb1ELb1ELb0EEEvPT_PKS4_PfPimiiiif
    .private_segment_fixed_size: 0
    .sgpr_count:     24
    .sgpr_spill_count: 0
    .symbol:         _ZN5aiter28grouped_topk_opt_sort_kernelIN3c108BFloat16EDv1_fLi8ELb1ELb1ELb0EEEvPT_PKS4_PfPimiiiif.kd
    .uniform_work_group_size: 1
    .uses_dynamic_stack: false
    .vgpr_count:     29
    .vgpr_spill_count: 0
    .wavefront_size: 64
  - .agpr_count:     0
    .args:
      - .actual_access:  read_only
        .address_space:  global
        .offset:         0
        .size:           8
        .value_kind:     global_buffer
      - .actual_access:  read_only
        .address_space:  global
        .offset:         8
        .size:           8
        .value_kind:     global_buffer
      - .actual_access:  write_only
        .address_space:  global
        .offset:         16
        .size:           8
        .value_kind:     global_buffer
      - .actual_access:  write_only
        .address_space:  global
        .offset:         24
        .size:           8
        .value_kind:     global_buffer
      - .offset:         32
        .size:           8
        .value_kind:     by_value
      - .offset:         40
        .size:           4
        .value_kind:     by_value
      - .offset:         44
        .size:           4
        .value_kind:     by_value
      - .offset:         48
        .size:           4
        .value_kind:     by_value
      - .offset:         52
        .size:           4
        .value_kind:     by_value
      - .offset:         56
        .size:           4
        .value_kind:     by_value
      - .offset:         64
        .size:           4
        .value_kind:     hidden_block_count_x
      - .offset:         68
        .size:           4
        .value_kind:     hidden_block_count_y
      - .offset:         72
        .size:           4
        .value_kind:     hidden_block_count_z
      - .offset:         76
        .size:           2
        .value_kind:     hidden_group_size_x
      - .offset:         78
        .size:           2
        .value_kind:     hidden_group_size_y
      - .offset:         80
        .size:           2
        .value_kind:     hidden_group_size_z
      - .offset:         82
        .size:           2
        .value_kind:     hidden_remainder_x
      - .offset:         84
        .size:           2
        .value_kind:     hidden_remainder_y
      - .offset:         86
        .size:           2
        .value_kind:     hidden_remainder_z
      - .offset:         104
        .size:           8
        .value_kind:     hidden_global_offset_x
      - .offset:         112
        .size:           8
        .value_kind:     hidden_global_offset_y
      - .offset:         120
        .size:           8
        .value_kind:     hidden_global_offset_z
      - .offset:         128
        .size:           2
        .value_kind:     hidden_grid_dims
      - .offset:         184
        .size:           4
        .value_kind:     hidden_dynamic_lds_size
    .group_segment_fixed_size: 0
    .kernarg_segment_align: 8
    .kernarg_segment_size: 320
    .language:       OpenCL C
    .language_version:
      - 2
      - 0
    .max_flat_workgroup_size: 1024
    .name:           _ZN5aiter19grouped_topk_kernelIfDv1_fLi8ELb1ELb1ELb0EEEvPT_PKS2_PfPimiiiif
    .private_segment_fixed_size: 0
    .sgpr_count:     34
    .sgpr_spill_count: 0
    .symbol:         _ZN5aiter19grouped_topk_kernelIfDv1_fLi8ELb1ELb1ELb0EEEvPT_PKS2_PfPimiiiif.kd
    .uniform_work_group_size: 1
    .uses_dynamic_stack: false
    .vgpr_count:     14
    .vgpr_spill_count: 0
    .wavefront_size: 64
  - .agpr_count:     0
    .args:
      - .actual_access:  read_only
        .address_space:  global
        .offset:         0
        .size:           8
        .value_kind:     global_buffer
      - .actual_access:  read_only
        .address_space:  global
        .offset:         8
        .size:           8
        .value_kind:     global_buffer
      - .actual_access:  write_only
        .address_space:  global
        .offset:         16
        .size:           8
        .value_kind:     global_buffer
      - .actual_access:  write_only
        .address_space:  global
        .offset:         24
        .size:           8
        .value_kind:     global_buffer
      - .offset:         32
        .size:           8
        .value_kind:     by_value
      - .offset:         40
        .size:           4
        .value_kind:     by_value
      - .offset:         44
        .size:           4
        .value_kind:     by_value
      - .offset:         48
        .size:           4
        .value_kind:     by_value
      - .offset:         52
        .size:           4
        .value_kind:     by_value
      - .offset:         56
        .size:           4
        .value_kind:     by_value
      - .offset:         64
        .size:           4
        .value_kind:     hidden_block_count_x
      - .offset:         68
        .size:           4
        .value_kind:     hidden_block_count_y
      - .offset:         72
        .size:           4
        .value_kind:     hidden_block_count_z
      - .offset:         76
        .size:           2
        .value_kind:     hidden_group_size_x
      - .offset:         78
        .size:           2
        .value_kind:     hidden_group_size_y
      - .offset:         80
        .size:           2
        .value_kind:     hidden_group_size_z
      - .offset:         82
        .size:           2
        .value_kind:     hidden_remainder_x
      - .offset:         84
        .size:           2
        .value_kind:     hidden_remainder_y
      - .offset:         86
        .size:           2
        .value_kind:     hidden_remainder_z
      - .offset:         104
        .size:           8
        .value_kind:     hidden_global_offset_x
      - .offset:         112
        .size:           8
        .value_kind:     hidden_global_offset_y
      - .offset:         120
        .size:           8
        .value_kind:     hidden_global_offset_z
      - .offset:         128
        .size:           2
        .value_kind:     hidden_grid_dims
      - .offset:         184
        .size:           4
        .value_kind:     hidden_dynamic_lds_size
    .group_segment_fixed_size: 0
    .kernarg_segment_align: 8
    .kernarg_segment_size: 320
    .language:       OpenCL C
    .language_version:
      - 2
      - 0
    .max_flat_workgroup_size: 1024
    .name:           _ZN5aiter19grouped_topk_kernelIN3c104HalfEDv1_fLi8ELb1ELb1ELb0EEEvPT_PKS4_PfPimiiiif
    .private_segment_fixed_size: 0
    .sgpr_count:     34
    .sgpr_spill_count: 0
    .symbol:         _ZN5aiter19grouped_topk_kernelIN3c104HalfEDv1_fLi8ELb1ELb1ELb0EEEvPT_PKS4_PfPimiiiif.kd
    .uniform_work_group_size: 1
    .uses_dynamic_stack: false
    .vgpr_count:     14
    .vgpr_spill_count: 0
    .wavefront_size: 64
  - .agpr_count:     0
    .args:
      - .actual_access:  read_only
        .address_space:  global
        .offset:         0
        .size:           8
        .value_kind:     global_buffer
      - .actual_access:  read_only
        .address_space:  global
        .offset:         8
        .size:           8
        .value_kind:     global_buffer
      - .actual_access:  write_only
        .address_space:  global
        .offset:         16
        .size:           8
        .value_kind:     global_buffer
      - .actual_access:  write_only
        .address_space:  global
        .offset:         24
        .size:           8
        .value_kind:     global_buffer
      - .offset:         32
        .size:           8
        .value_kind:     by_value
      - .offset:         40
        .size:           4
        .value_kind:     by_value
      - .offset:         44
        .size:           4
        .value_kind:     by_value
      - .offset:         48
        .size:           4
        .value_kind:     by_value
      - .offset:         52
        .size:           4
        .value_kind:     by_value
      - .offset:         56
        .size:           4
        .value_kind:     by_value
      - .offset:         64
        .size:           4
        .value_kind:     hidden_block_count_x
      - .offset:         68
        .size:           4
        .value_kind:     hidden_block_count_y
      - .offset:         72
        .size:           4
        .value_kind:     hidden_block_count_z
      - .offset:         76
        .size:           2
        .value_kind:     hidden_group_size_x
      - .offset:         78
        .size:           2
        .value_kind:     hidden_group_size_y
      - .offset:         80
        .size:           2
        .value_kind:     hidden_group_size_z
      - .offset:         82
        .size:           2
        .value_kind:     hidden_remainder_x
      - .offset:         84
        .size:           2
        .value_kind:     hidden_remainder_y
      - .offset:         86
        .size:           2
        .value_kind:     hidden_remainder_z
      - .offset:         104
        .size:           8
        .value_kind:     hidden_global_offset_x
      - .offset:         112
        .size:           8
        .value_kind:     hidden_global_offset_y
      - .offset:         120
        .size:           8
        .value_kind:     hidden_global_offset_z
      - .offset:         128
        .size:           2
        .value_kind:     hidden_grid_dims
      - .offset:         184
        .size:           4
        .value_kind:     hidden_dynamic_lds_size
    .group_segment_fixed_size: 0
    .kernarg_segment_align: 8
    .kernarg_segment_size: 320
    .language:       OpenCL C
    .language_version:
      - 2
      - 0
    .max_flat_workgroup_size: 1024
    .name:           _ZN5aiter19grouped_topk_kernelIN3c108BFloat16EDv1_fLi8ELb1ELb1ELb0EEEvPT_PKS4_PfPimiiiif
    .private_segment_fixed_size: 0
    .sgpr_count:     34
    .sgpr_spill_count: 0
    .symbol:         _ZN5aiter19grouped_topk_kernelIN3c108BFloat16EDv1_fLi8ELb1ELb1ELb0EEEvPT_PKS4_PfPimiiiif.kd
    .uniform_work_group_size: 1
    .uses_dynamic_stack: false
    .vgpr_count:     14
    .vgpr_spill_count: 0
    .wavefront_size: 64
  - .agpr_count:     0
    .args:
      - .actual_access:  read_only
        .address_space:  global
        .offset:         0
        .size:           8
        .value_kind:     global_buffer
      - .actual_access:  read_only
        .address_space:  global
        .offset:         8
        .size:           8
        .value_kind:     global_buffer
      - .actual_access:  write_only
        .address_space:  global
        .offset:         16
        .size:           8
        .value_kind:     global_buffer
      - .actual_access:  write_only
        .address_space:  global
        .offset:         24
        .size:           8
        .value_kind:     global_buffer
      - .offset:         32
        .size:           8
        .value_kind:     by_value
      - .offset:         40
        .size:           4
        .value_kind:     by_value
      - .offset:         44
        .size:           4
        .value_kind:     by_value
      - .offset:         48
        .size:           4
        .value_kind:     by_value
      - .offset:         52
        .size:           4
        .value_kind:     by_value
      - .offset:         56
        .size:           4
        .value_kind:     by_value
      - .offset:         64
        .size:           4
        .value_kind:     hidden_block_count_x
      - .offset:         68
        .size:           4
        .value_kind:     hidden_block_count_y
      - .offset:         72
        .size:           4
        .value_kind:     hidden_block_count_z
      - .offset:         76
        .size:           2
        .value_kind:     hidden_group_size_x
      - .offset:         78
        .size:           2
        .value_kind:     hidden_group_size_y
      - .offset:         80
        .size:           2
        .value_kind:     hidden_group_size_z
      - .offset:         82
        .size:           2
        .value_kind:     hidden_remainder_x
      - .offset:         84
        .size:           2
        .value_kind:     hidden_remainder_y
      - .offset:         86
        .size:           2
        .value_kind:     hidden_remainder_z
      - .offset:         104
        .size:           8
        .value_kind:     hidden_global_offset_x
      - .offset:         112
        .size:           8
        .value_kind:     hidden_global_offset_y
      - .offset:         120
        .size:           8
        .value_kind:     hidden_global_offset_z
      - .offset:         128
        .size:           2
        .value_kind:     hidden_grid_dims
      - .offset:         184
        .size:           4
        .value_kind:     hidden_dynamic_lds_size
    .group_segment_fixed_size: 0
    .kernarg_segment_align: 8
    .kernarg_segment_size: 320
    .language:       OpenCL C
    .language_version:
      - 2
      - 0
    .max_flat_workgroup_size: 1024
    .name:           _ZN5aiter19grouped_topk_kernelIfDv1_fLi8ELb1ELb0ELb1EEEvPT_PKS2_PfPimiiiif
    .private_segment_fixed_size: 0
    .sgpr_count:     28
    .sgpr_spill_count: 0
    .symbol:         _ZN5aiter19grouped_topk_kernelIfDv1_fLi8ELb1ELb0ELb1EEEvPT_PKS2_PfPimiiiif.kd
    .uniform_work_group_size: 1
    .uses_dynamic_stack: false
    .vgpr_count:     13
    .vgpr_spill_count: 0
    .wavefront_size: 64
  - .agpr_count:     0
    .args:
      - .actual_access:  read_only
        .address_space:  global
        .offset:         0
        .size:           8
        .value_kind:     global_buffer
      - .actual_access:  read_only
        .address_space:  global
        .offset:         8
        .size:           8
        .value_kind:     global_buffer
      - .actual_access:  write_only
        .address_space:  global
        .offset:         16
        .size:           8
        .value_kind:     global_buffer
      - .actual_access:  write_only
        .address_space:  global
        .offset:         24
        .size:           8
        .value_kind:     global_buffer
      - .offset:         32
        .size:           8
        .value_kind:     by_value
      - .offset:         40
        .size:           4
        .value_kind:     by_value
      - .offset:         44
        .size:           4
        .value_kind:     by_value
      - .offset:         48
        .size:           4
        .value_kind:     by_value
      - .offset:         52
        .size:           4
        .value_kind:     by_value
      - .offset:         56
        .size:           4
        .value_kind:     by_value
      - .offset:         64
        .size:           4
        .value_kind:     hidden_block_count_x
      - .offset:         68
        .size:           4
        .value_kind:     hidden_block_count_y
      - .offset:         72
        .size:           4
        .value_kind:     hidden_block_count_z
      - .offset:         76
        .size:           2
        .value_kind:     hidden_group_size_x
      - .offset:         78
        .size:           2
        .value_kind:     hidden_group_size_y
      - .offset:         80
        .size:           2
        .value_kind:     hidden_group_size_z
      - .offset:         82
        .size:           2
        .value_kind:     hidden_remainder_x
      - .offset:         84
        .size:           2
        .value_kind:     hidden_remainder_y
      - .offset:         86
        .size:           2
        .value_kind:     hidden_remainder_z
      - .offset:         104
        .size:           8
        .value_kind:     hidden_global_offset_x
      - .offset:         112
        .size:           8
        .value_kind:     hidden_global_offset_y
      - .offset:         120
        .size:           8
        .value_kind:     hidden_global_offset_z
      - .offset:         128
        .size:           2
        .value_kind:     hidden_grid_dims
      - .offset:         184
        .size:           4
        .value_kind:     hidden_dynamic_lds_size
    .group_segment_fixed_size: 0
    .kernarg_segment_align: 8
    .kernarg_segment_size: 320
    .language:       OpenCL C
    .language_version:
      - 2
      - 0
    .max_flat_workgroup_size: 1024
    .name:           _ZN5aiter19grouped_topk_kernelIN3c104HalfEDv1_fLi8ELb1ELb0ELb1EEEvPT_PKS4_PfPimiiiif
    .private_segment_fixed_size: 0
    .sgpr_count:     28
    .sgpr_spill_count: 0
    .symbol:         _ZN5aiter19grouped_topk_kernelIN3c104HalfEDv1_fLi8ELb1ELb0ELb1EEEvPT_PKS4_PfPimiiiif.kd
    .uniform_work_group_size: 1
    .uses_dynamic_stack: false
    .vgpr_count:     13
    .vgpr_spill_count: 0
    .wavefront_size: 64
  - .agpr_count:     0
    .args:
      - .actual_access:  read_only
        .address_space:  global
        .offset:         0
        .size:           8
        .value_kind:     global_buffer
      - .actual_access:  read_only
        .address_space:  global
        .offset:         8
        .size:           8
        .value_kind:     global_buffer
      - .actual_access:  write_only
        .address_space:  global
        .offset:         16
        .size:           8
        .value_kind:     global_buffer
      - .actual_access:  write_only
        .address_space:  global
        .offset:         24
        .size:           8
        .value_kind:     global_buffer
      - .offset:         32
        .size:           8
        .value_kind:     by_value
      - .offset:         40
        .size:           4
        .value_kind:     by_value
      - .offset:         44
        .size:           4
        .value_kind:     by_value
      - .offset:         48
        .size:           4
        .value_kind:     by_value
      - .offset:         52
        .size:           4
        .value_kind:     by_value
      - .offset:         56
        .size:           4
        .value_kind:     by_value
      - .offset:         64
        .size:           4
        .value_kind:     hidden_block_count_x
      - .offset:         68
        .size:           4
        .value_kind:     hidden_block_count_y
      - .offset:         72
        .size:           4
        .value_kind:     hidden_block_count_z
      - .offset:         76
        .size:           2
        .value_kind:     hidden_group_size_x
      - .offset:         78
        .size:           2
        .value_kind:     hidden_group_size_y
      - .offset:         80
        .size:           2
        .value_kind:     hidden_group_size_z
      - .offset:         82
        .size:           2
        .value_kind:     hidden_remainder_x
      - .offset:         84
        .size:           2
        .value_kind:     hidden_remainder_y
      - .offset:         86
        .size:           2
        .value_kind:     hidden_remainder_z
      - .offset:         104
        .size:           8
        .value_kind:     hidden_global_offset_x
      - .offset:         112
        .size:           8
        .value_kind:     hidden_global_offset_y
      - .offset:         120
        .size:           8
        .value_kind:     hidden_global_offset_z
      - .offset:         128
        .size:           2
        .value_kind:     hidden_grid_dims
      - .offset:         184
        .size:           4
        .value_kind:     hidden_dynamic_lds_size
    .group_segment_fixed_size: 0
    .kernarg_segment_align: 8
    .kernarg_segment_size: 320
    .language:       OpenCL C
    .language_version:
      - 2
      - 0
    .max_flat_workgroup_size: 1024
    .name:           _ZN5aiter19grouped_topk_kernelIN3c108BFloat16EDv1_fLi8ELb1ELb0ELb1EEEvPT_PKS4_PfPimiiiif
    .private_segment_fixed_size: 0
    .sgpr_count:     28
    .sgpr_spill_count: 0
    .symbol:         _ZN5aiter19grouped_topk_kernelIN3c108BFloat16EDv1_fLi8ELb1ELb0ELb1EEEvPT_PKS4_PfPimiiiif.kd
    .uniform_work_group_size: 1
    .uses_dynamic_stack: false
    .vgpr_count:     13
    .vgpr_spill_count: 0
    .wavefront_size: 64
  - .agpr_count:     0
    .args:
      - .actual_access:  read_only
        .address_space:  global
        .offset:         0
        .size:           8
        .value_kind:     global_buffer
      - .actual_access:  read_only
        .address_space:  global
        .offset:         8
        .size:           8
        .value_kind:     global_buffer
      - .actual_access:  write_only
        .address_space:  global
        .offset:         16
        .size:           8
        .value_kind:     global_buffer
      - .actual_access:  write_only
        .address_space:  global
        .offset:         24
        .size:           8
        .value_kind:     global_buffer
      - .offset:         32
        .size:           8
        .value_kind:     by_value
      - .offset:         40
        .size:           4
        .value_kind:     by_value
      - .offset:         44
        .size:           4
        .value_kind:     by_value
      - .offset:         48
        .size:           4
        .value_kind:     by_value
      - .offset:         52
        .size:           4
        .value_kind:     by_value
      - .offset:         56
        .size:           4
        .value_kind:     by_value
      - .offset:         64
        .size:           4
        .value_kind:     hidden_block_count_x
      - .offset:         68
        .size:           4
        .value_kind:     hidden_block_count_y
      - .offset:         72
        .size:           4
        .value_kind:     hidden_block_count_z
      - .offset:         76
        .size:           2
        .value_kind:     hidden_group_size_x
      - .offset:         78
        .size:           2
        .value_kind:     hidden_group_size_y
      - .offset:         80
        .size:           2
        .value_kind:     hidden_group_size_z
      - .offset:         82
        .size:           2
        .value_kind:     hidden_remainder_x
      - .offset:         84
        .size:           2
        .value_kind:     hidden_remainder_y
      - .offset:         86
        .size:           2
        .value_kind:     hidden_remainder_z
      - .offset:         104
        .size:           8
        .value_kind:     hidden_global_offset_x
      - .offset:         112
        .size:           8
        .value_kind:     hidden_global_offset_y
      - .offset:         120
        .size:           8
        .value_kind:     hidden_global_offset_z
      - .offset:         128
        .size:           2
        .value_kind:     hidden_grid_dims
      - .offset:         184
        .size:           4
        .value_kind:     hidden_dynamic_lds_size
    .group_segment_fixed_size: 0
    .kernarg_segment_align: 8
    .kernarg_segment_size: 320
    .language:       OpenCL C
    .language_version:
      - 2
      - 0
    .max_flat_workgroup_size: 1024
    .name:           _ZN5aiter19grouped_topk_kernelIfDv1_fLi8ELb1ELb0ELb0EEEvPT_PKS2_PfPimiiiif
    .private_segment_fixed_size: 0
    .sgpr_count:     28
    .sgpr_spill_count: 0
    .symbol:         _ZN5aiter19grouped_topk_kernelIfDv1_fLi8ELb1ELb0ELb0EEEvPT_PKS2_PfPimiiiif.kd
    .uniform_work_group_size: 1
    .uses_dynamic_stack: false
    .vgpr_count:     13
    .vgpr_spill_count: 0
    .wavefront_size: 64
  - .agpr_count:     0
    .args:
      - .actual_access:  read_only
        .address_space:  global
        .offset:         0
        .size:           8
        .value_kind:     global_buffer
      - .actual_access:  read_only
        .address_space:  global
        .offset:         8
        .size:           8
        .value_kind:     global_buffer
      - .actual_access:  write_only
        .address_space:  global
        .offset:         16
        .size:           8
        .value_kind:     global_buffer
      - .actual_access:  write_only
        .address_space:  global
        .offset:         24
        .size:           8
        .value_kind:     global_buffer
      - .offset:         32
        .size:           8
        .value_kind:     by_value
      - .offset:         40
        .size:           4
        .value_kind:     by_value
      - .offset:         44
        .size:           4
        .value_kind:     by_value
      - .offset:         48
        .size:           4
        .value_kind:     by_value
      - .offset:         52
        .size:           4
        .value_kind:     by_value
      - .offset:         56
        .size:           4
        .value_kind:     by_value
      - .offset:         64
        .size:           4
        .value_kind:     hidden_block_count_x
      - .offset:         68
        .size:           4
        .value_kind:     hidden_block_count_y
      - .offset:         72
        .size:           4
        .value_kind:     hidden_block_count_z
      - .offset:         76
        .size:           2
        .value_kind:     hidden_group_size_x
      - .offset:         78
        .size:           2
        .value_kind:     hidden_group_size_y
      - .offset:         80
        .size:           2
        .value_kind:     hidden_group_size_z
      - .offset:         82
        .size:           2
        .value_kind:     hidden_remainder_x
      - .offset:         84
        .size:           2
        .value_kind:     hidden_remainder_y
      - .offset:         86
        .size:           2
        .value_kind:     hidden_remainder_z
      - .offset:         104
        .size:           8
        .value_kind:     hidden_global_offset_x
      - .offset:         112
        .size:           8
        .value_kind:     hidden_global_offset_y
      - .offset:         120
        .size:           8
        .value_kind:     hidden_global_offset_z
      - .offset:         128
        .size:           2
        .value_kind:     hidden_grid_dims
      - .offset:         184
        .size:           4
        .value_kind:     hidden_dynamic_lds_size
    .group_segment_fixed_size: 0
    .kernarg_segment_align: 8
    .kernarg_segment_size: 320
    .language:       OpenCL C
    .language_version:
      - 2
      - 0
    .max_flat_workgroup_size: 1024
    .name:           _ZN5aiter19grouped_topk_kernelIN3c104HalfEDv1_fLi8ELb1ELb0ELb0EEEvPT_PKS4_PfPimiiiif
    .private_segment_fixed_size: 0
    .sgpr_count:     30
    .sgpr_spill_count: 0
    .symbol:         _ZN5aiter19grouped_topk_kernelIN3c104HalfEDv1_fLi8ELb1ELb0ELb0EEEvPT_PKS4_PfPimiiiif.kd
    .uniform_work_group_size: 1
    .uses_dynamic_stack: false
    .vgpr_count:     13
    .vgpr_spill_count: 0
    .wavefront_size: 64
  - .agpr_count:     0
    .args:
      - .actual_access:  read_only
        .address_space:  global
        .offset:         0
        .size:           8
        .value_kind:     global_buffer
      - .actual_access:  read_only
        .address_space:  global
        .offset:         8
        .size:           8
        .value_kind:     global_buffer
      - .actual_access:  write_only
        .address_space:  global
        .offset:         16
        .size:           8
        .value_kind:     global_buffer
      - .actual_access:  write_only
        .address_space:  global
        .offset:         24
        .size:           8
        .value_kind:     global_buffer
      - .offset:         32
        .size:           8
        .value_kind:     by_value
      - .offset:         40
        .size:           4
        .value_kind:     by_value
      - .offset:         44
        .size:           4
        .value_kind:     by_value
      - .offset:         48
        .size:           4
        .value_kind:     by_value
      - .offset:         52
        .size:           4
        .value_kind:     by_value
      - .offset:         56
        .size:           4
        .value_kind:     by_value
      - .offset:         64
        .size:           4
        .value_kind:     hidden_block_count_x
      - .offset:         68
        .size:           4
        .value_kind:     hidden_block_count_y
      - .offset:         72
        .size:           4
        .value_kind:     hidden_block_count_z
      - .offset:         76
        .size:           2
        .value_kind:     hidden_group_size_x
      - .offset:         78
        .size:           2
        .value_kind:     hidden_group_size_y
      - .offset:         80
        .size:           2
        .value_kind:     hidden_group_size_z
      - .offset:         82
        .size:           2
        .value_kind:     hidden_remainder_x
      - .offset:         84
        .size:           2
        .value_kind:     hidden_remainder_y
      - .offset:         86
        .size:           2
        .value_kind:     hidden_remainder_z
      - .offset:         104
        .size:           8
        .value_kind:     hidden_global_offset_x
      - .offset:         112
        .size:           8
        .value_kind:     hidden_global_offset_y
      - .offset:         120
        .size:           8
        .value_kind:     hidden_global_offset_z
      - .offset:         128
        .size:           2
        .value_kind:     hidden_grid_dims
      - .offset:         184
        .size:           4
        .value_kind:     hidden_dynamic_lds_size
    .group_segment_fixed_size: 0
    .kernarg_segment_align: 8
    .kernarg_segment_size: 320
    .language:       OpenCL C
    .language_version:
      - 2
      - 0
    .max_flat_workgroup_size: 1024
    .name:           _ZN5aiter19grouped_topk_kernelIN3c108BFloat16EDv1_fLi8ELb1ELb0ELb0EEEvPT_PKS4_PfPimiiiif
    .private_segment_fixed_size: 0
    .sgpr_count:     28
    .sgpr_spill_count: 0
    .symbol:         _ZN5aiter19grouped_topk_kernelIN3c108BFloat16EDv1_fLi8ELb1ELb0ELb0EEEvPT_PKS4_PfPimiiiif.kd
    .uniform_work_group_size: 1
    .uses_dynamic_stack: false
    .vgpr_count:     13
    .vgpr_spill_count: 0
    .wavefront_size: 64
  - .agpr_count:     0
    .args:
      - .actual_access:  read_only
        .address_space:  global
        .offset:         0
        .size:           8
        .value_kind:     global_buffer
      - .actual_access:  read_only
        .address_space:  global
        .offset:         8
        .size:           8
        .value_kind:     global_buffer
      - .actual_access:  write_only
        .address_space:  global
        .offset:         16
        .size:           8
        .value_kind:     global_buffer
      - .actual_access:  write_only
        .address_space:  global
        .offset:         24
        .size:           8
        .value_kind:     global_buffer
      - .offset:         32
        .size:           8
        .value_kind:     by_value
      - .offset:         40
        .size:           4
        .value_kind:     by_value
      - .offset:         44
        .size:           4
        .value_kind:     by_value
      - .offset:         48
        .size:           4
        .value_kind:     by_value
      - .offset:         52
        .size:           4
        .value_kind:     by_value
      - .offset:         56
        .size:           4
        .value_kind:     by_value
    .group_segment_fixed_size: 0
    .kernarg_segment_align: 8
    .kernarg_segment_size: 60
    .language:       OpenCL C
    .language_version:
      - 2
      - 0
    .max_flat_workgroup_size: 1024
    .name:           _ZN5aiter28grouped_topk_opt_sort_kernelIfDv1_fLi8ELb0ELb1ELb0EEEvPT_PKS2_PfPimiiiif
    .private_segment_fixed_size: 0
    .sgpr_count:     24
    .sgpr_spill_count: 0
    .symbol:         _ZN5aiter28grouped_topk_opt_sort_kernelIfDv1_fLi8ELb0ELb1ELb0EEEvPT_PKS2_PfPimiiiif.kd
    .uniform_work_group_size: 1
    .uses_dynamic_stack: false
    .vgpr_count:     29
    .vgpr_spill_count: 0
    .wavefront_size: 64
  - .agpr_count:     0
    .args:
      - .actual_access:  read_only
        .address_space:  global
        .offset:         0
        .size:           8
        .value_kind:     global_buffer
      - .actual_access:  read_only
        .address_space:  global
        .offset:         8
        .size:           8
        .value_kind:     global_buffer
      - .actual_access:  write_only
        .address_space:  global
        .offset:         16
        .size:           8
        .value_kind:     global_buffer
      - .actual_access:  write_only
        .address_space:  global
        .offset:         24
        .size:           8
        .value_kind:     global_buffer
      - .offset:         32
        .size:           8
        .value_kind:     by_value
      - .offset:         40
        .size:           4
        .value_kind:     by_value
      - .offset:         44
        .size:           4
        .value_kind:     by_value
      - .offset:         48
        .size:           4
        .value_kind:     by_value
      - .offset:         52
        .size:           4
        .value_kind:     by_value
      - .offset:         56
        .size:           4
        .value_kind:     by_value
    .group_segment_fixed_size: 0
    .kernarg_segment_align: 8
    .kernarg_segment_size: 60
    .language:       OpenCL C
    .language_version:
      - 2
      - 0
    .max_flat_workgroup_size: 1024
    .name:           _ZN5aiter28grouped_topk_opt_sort_kernelIN3c104HalfEDv1_fLi8ELb0ELb1ELb0EEEvPT_PKS4_PfPimiiiif
    .private_segment_fixed_size: 0
    .sgpr_count:     24
    .sgpr_spill_count: 0
    .symbol:         _ZN5aiter28grouped_topk_opt_sort_kernelIN3c104HalfEDv1_fLi8ELb0ELb1ELb0EEEvPT_PKS4_PfPimiiiif.kd
    .uniform_work_group_size: 1
    .uses_dynamic_stack: false
    .vgpr_count:     29
    .vgpr_spill_count: 0
    .wavefront_size: 64
  - .agpr_count:     0
    .args:
      - .actual_access:  read_only
        .address_space:  global
        .offset:         0
        .size:           8
        .value_kind:     global_buffer
      - .actual_access:  read_only
        .address_space:  global
        .offset:         8
        .size:           8
        .value_kind:     global_buffer
      - .actual_access:  write_only
        .address_space:  global
        .offset:         16
        .size:           8
        .value_kind:     global_buffer
      - .actual_access:  write_only
        .address_space:  global
        .offset:         24
        .size:           8
        .value_kind:     global_buffer
      - .offset:         32
        .size:           8
        .value_kind:     by_value
      - .offset:         40
        .size:           4
        .value_kind:     by_value
      - .offset:         44
        .size:           4
        .value_kind:     by_value
      - .offset:         48
        .size:           4
        .value_kind:     by_value
      - .offset:         52
        .size:           4
        .value_kind:     by_value
      - .offset:         56
        .size:           4
        .value_kind:     by_value
    .group_segment_fixed_size: 0
    .kernarg_segment_align: 8
    .kernarg_segment_size: 60
    .language:       OpenCL C
    .language_version:
      - 2
      - 0
    .max_flat_workgroup_size: 1024
    .name:           _ZN5aiter28grouped_topk_opt_sort_kernelIN3c108BFloat16EDv1_fLi8ELb0ELb1ELb0EEEvPT_PKS4_PfPimiiiif
    .private_segment_fixed_size: 0
    .sgpr_count:     24
    .sgpr_spill_count: 0
    .symbol:         _ZN5aiter28grouped_topk_opt_sort_kernelIN3c108BFloat16EDv1_fLi8ELb0ELb1ELb0EEEvPT_PKS4_PfPimiiiif.kd
    .uniform_work_group_size: 1
    .uses_dynamic_stack: false
    .vgpr_count:     29
    .vgpr_spill_count: 0
    .wavefront_size: 64
  - .agpr_count:     0
    .args:
      - .actual_access:  read_only
        .address_space:  global
        .offset:         0
        .size:           8
        .value_kind:     global_buffer
      - .actual_access:  read_only
        .address_space:  global
        .offset:         8
        .size:           8
        .value_kind:     global_buffer
      - .actual_access:  write_only
        .address_space:  global
        .offset:         16
        .size:           8
        .value_kind:     global_buffer
      - .actual_access:  write_only
        .address_space:  global
        .offset:         24
        .size:           8
        .value_kind:     global_buffer
      - .offset:         32
        .size:           8
        .value_kind:     by_value
      - .offset:         40
        .size:           4
        .value_kind:     by_value
      - .offset:         44
        .size:           4
        .value_kind:     by_value
      - .offset:         48
        .size:           4
        .value_kind:     by_value
      - .offset:         52
        .size:           4
        .value_kind:     by_value
      - .offset:         56
        .size:           4
        .value_kind:     by_value
      - .offset:         64
        .size:           4
        .value_kind:     hidden_block_count_x
      - .offset:         68
        .size:           4
        .value_kind:     hidden_block_count_y
      - .offset:         72
        .size:           4
        .value_kind:     hidden_block_count_z
      - .offset:         76
        .size:           2
        .value_kind:     hidden_group_size_x
      - .offset:         78
        .size:           2
        .value_kind:     hidden_group_size_y
      - .offset:         80
        .size:           2
        .value_kind:     hidden_group_size_z
      - .offset:         82
        .size:           2
        .value_kind:     hidden_remainder_x
      - .offset:         84
        .size:           2
        .value_kind:     hidden_remainder_y
      - .offset:         86
        .size:           2
        .value_kind:     hidden_remainder_z
      - .offset:         104
        .size:           8
        .value_kind:     hidden_global_offset_x
      - .offset:         112
        .size:           8
        .value_kind:     hidden_global_offset_y
      - .offset:         120
        .size:           8
        .value_kind:     hidden_global_offset_z
      - .offset:         128
        .size:           2
        .value_kind:     hidden_grid_dims
      - .offset:         184
        .size:           4
        .value_kind:     hidden_dynamic_lds_size
    .group_segment_fixed_size: 0
    .kernarg_segment_align: 8
    .kernarg_segment_size: 320
    .language:       OpenCL C
    .language_version:
      - 2
      - 0
    .max_flat_workgroup_size: 1024
    .name:           _ZN5aiter19grouped_topk_kernelIfDv1_fLi8ELb0ELb1ELb0EEEvPT_PKS2_PfPimiiiif
    .private_segment_fixed_size: 0
    .sgpr_count:     34
    .sgpr_spill_count: 0
    .symbol:         _ZN5aiter19grouped_topk_kernelIfDv1_fLi8ELb0ELb1ELb0EEEvPT_PKS2_PfPimiiiif.kd
    .uniform_work_group_size: 1
    .uses_dynamic_stack: false
    .vgpr_count:     14
    .vgpr_spill_count: 0
    .wavefront_size: 64
  - .agpr_count:     0
    .args:
      - .actual_access:  read_only
        .address_space:  global
        .offset:         0
        .size:           8
        .value_kind:     global_buffer
      - .actual_access:  read_only
        .address_space:  global
        .offset:         8
        .size:           8
        .value_kind:     global_buffer
      - .actual_access:  write_only
        .address_space:  global
        .offset:         16
        .size:           8
        .value_kind:     global_buffer
      - .actual_access:  write_only
        .address_space:  global
        .offset:         24
        .size:           8
        .value_kind:     global_buffer
      - .offset:         32
        .size:           8
        .value_kind:     by_value
      - .offset:         40
        .size:           4
        .value_kind:     by_value
      - .offset:         44
        .size:           4
        .value_kind:     by_value
      - .offset:         48
        .size:           4
        .value_kind:     by_value
      - .offset:         52
        .size:           4
        .value_kind:     by_value
      - .offset:         56
        .size:           4
        .value_kind:     by_value
      - .offset:         64
        .size:           4
        .value_kind:     hidden_block_count_x
      - .offset:         68
        .size:           4
        .value_kind:     hidden_block_count_y
      - .offset:         72
        .size:           4
        .value_kind:     hidden_block_count_z
      - .offset:         76
        .size:           2
        .value_kind:     hidden_group_size_x
      - .offset:         78
        .size:           2
        .value_kind:     hidden_group_size_y
      - .offset:         80
        .size:           2
        .value_kind:     hidden_group_size_z
      - .offset:         82
        .size:           2
        .value_kind:     hidden_remainder_x
      - .offset:         84
        .size:           2
        .value_kind:     hidden_remainder_y
      - .offset:         86
        .size:           2
        .value_kind:     hidden_remainder_z
      - .offset:         104
        .size:           8
        .value_kind:     hidden_global_offset_x
      - .offset:         112
        .size:           8
        .value_kind:     hidden_global_offset_y
      - .offset:         120
        .size:           8
        .value_kind:     hidden_global_offset_z
      - .offset:         128
        .size:           2
        .value_kind:     hidden_grid_dims
      - .offset:         184
        .size:           4
        .value_kind:     hidden_dynamic_lds_size
    .group_segment_fixed_size: 0
    .kernarg_segment_align: 8
    .kernarg_segment_size: 320
    .language:       OpenCL C
    .language_version:
      - 2
      - 0
    .max_flat_workgroup_size: 1024
    .name:           _ZN5aiter19grouped_topk_kernelIN3c104HalfEDv1_fLi8ELb0ELb1ELb0EEEvPT_PKS4_PfPimiiiif
    .private_segment_fixed_size: 0
    .sgpr_count:     34
    .sgpr_spill_count: 0
    .symbol:         _ZN5aiter19grouped_topk_kernelIN3c104HalfEDv1_fLi8ELb0ELb1ELb0EEEvPT_PKS4_PfPimiiiif.kd
    .uniform_work_group_size: 1
    .uses_dynamic_stack: false
    .vgpr_count:     14
    .vgpr_spill_count: 0
    .wavefront_size: 64
  - .agpr_count:     0
    .args:
      - .actual_access:  read_only
        .address_space:  global
        .offset:         0
        .size:           8
        .value_kind:     global_buffer
      - .actual_access:  read_only
        .address_space:  global
        .offset:         8
        .size:           8
        .value_kind:     global_buffer
      - .actual_access:  write_only
        .address_space:  global
        .offset:         16
        .size:           8
        .value_kind:     global_buffer
      - .actual_access:  write_only
        .address_space:  global
        .offset:         24
        .size:           8
        .value_kind:     global_buffer
      - .offset:         32
        .size:           8
        .value_kind:     by_value
      - .offset:         40
        .size:           4
        .value_kind:     by_value
      - .offset:         44
        .size:           4
        .value_kind:     by_value
      - .offset:         48
        .size:           4
        .value_kind:     by_value
      - .offset:         52
        .size:           4
        .value_kind:     by_value
      - .offset:         56
        .size:           4
        .value_kind:     by_value
      - .offset:         64
        .size:           4
        .value_kind:     hidden_block_count_x
      - .offset:         68
        .size:           4
        .value_kind:     hidden_block_count_y
      - .offset:         72
        .size:           4
        .value_kind:     hidden_block_count_z
      - .offset:         76
        .size:           2
        .value_kind:     hidden_group_size_x
      - .offset:         78
        .size:           2
        .value_kind:     hidden_group_size_y
      - .offset:         80
        .size:           2
        .value_kind:     hidden_group_size_z
      - .offset:         82
        .size:           2
        .value_kind:     hidden_remainder_x
      - .offset:         84
        .size:           2
        .value_kind:     hidden_remainder_y
      - .offset:         86
        .size:           2
        .value_kind:     hidden_remainder_z
      - .offset:         104
        .size:           8
        .value_kind:     hidden_global_offset_x
      - .offset:         112
        .size:           8
        .value_kind:     hidden_global_offset_y
      - .offset:         120
        .size:           8
        .value_kind:     hidden_global_offset_z
      - .offset:         128
        .size:           2
        .value_kind:     hidden_grid_dims
      - .offset:         184
        .size:           4
        .value_kind:     hidden_dynamic_lds_size
    .group_segment_fixed_size: 0
    .kernarg_segment_align: 8
    .kernarg_segment_size: 320
    .language:       OpenCL C
    .language_version:
      - 2
      - 0
    .max_flat_workgroup_size: 1024
    .name:           _ZN5aiter19grouped_topk_kernelIN3c108BFloat16EDv1_fLi8ELb0ELb1ELb0EEEvPT_PKS4_PfPimiiiif
    .private_segment_fixed_size: 0
    .sgpr_count:     34
    .sgpr_spill_count: 0
    .symbol:         _ZN5aiter19grouped_topk_kernelIN3c108BFloat16EDv1_fLi8ELb0ELb1ELb0EEEvPT_PKS4_PfPimiiiif.kd
    .uniform_work_group_size: 1
    .uses_dynamic_stack: false
    .vgpr_count:     14
    .vgpr_spill_count: 0
    .wavefront_size: 64
  - .agpr_count:     0
    .args:
      - .actual_access:  read_only
        .address_space:  global
        .offset:         0
        .size:           8
        .value_kind:     global_buffer
      - .actual_access:  read_only
        .address_space:  global
        .offset:         8
        .size:           8
        .value_kind:     global_buffer
      - .actual_access:  write_only
        .address_space:  global
        .offset:         16
        .size:           8
        .value_kind:     global_buffer
      - .actual_access:  write_only
        .address_space:  global
        .offset:         24
        .size:           8
        .value_kind:     global_buffer
      - .offset:         32
        .size:           8
        .value_kind:     by_value
      - .offset:         40
        .size:           4
        .value_kind:     by_value
      - .offset:         44
        .size:           4
        .value_kind:     by_value
      - .offset:         48
        .size:           4
        .value_kind:     by_value
      - .offset:         52
        .size:           4
        .value_kind:     by_value
      - .offset:         56
        .size:           4
        .value_kind:     by_value
      - .offset:         64
        .size:           4
        .value_kind:     hidden_block_count_x
      - .offset:         68
        .size:           4
        .value_kind:     hidden_block_count_y
      - .offset:         72
        .size:           4
        .value_kind:     hidden_block_count_z
      - .offset:         76
        .size:           2
        .value_kind:     hidden_group_size_x
      - .offset:         78
        .size:           2
        .value_kind:     hidden_group_size_y
      - .offset:         80
        .size:           2
        .value_kind:     hidden_group_size_z
      - .offset:         82
        .size:           2
        .value_kind:     hidden_remainder_x
      - .offset:         84
        .size:           2
        .value_kind:     hidden_remainder_y
      - .offset:         86
        .size:           2
        .value_kind:     hidden_remainder_z
      - .offset:         104
        .size:           8
        .value_kind:     hidden_global_offset_x
      - .offset:         112
        .size:           8
        .value_kind:     hidden_global_offset_y
      - .offset:         120
        .size:           8
        .value_kind:     hidden_global_offset_z
      - .offset:         128
        .size:           2
        .value_kind:     hidden_grid_dims
      - .offset:         184
        .size:           4
        .value_kind:     hidden_dynamic_lds_size
    .group_segment_fixed_size: 0
    .kernarg_segment_align: 8
    .kernarg_segment_size: 320
    .language:       OpenCL C
    .language_version:
      - 2
      - 0
    .max_flat_workgroup_size: 1024
    .name:           _ZN5aiter19grouped_topk_kernelIfDv1_fLi8ELb0ELb0ELb1EEEvPT_PKS2_PfPimiiiif
    .private_segment_fixed_size: 0
    .sgpr_count:     28
    .sgpr_spill_count: 0
    .symbol:         _ZN5aiter19grouped_topk_kernelIfDv1_fLi8ELb0ELb0ELb1EEEvPT_PKS2_PfPimiiiif.kd
    .uniform_work_group_size: 1
    .uses_dynamic_stack: false
    .vgpr_count:     13
    .vgpr_spill_count: 0
    .wavefront_size: 64
  - .agpr_count:     0
    .args:
      - .actual_access:  read_only
        .address_space:  global
        .offset:         0
        .size:           8
        .value_kind:     global_buffer
      - .actual_access:  read_only
        .address_space:  global
        .offset:         8
        .size:           8
        .value_kind:     global_buffer
      - .actual_access:  write_only
        .address_space:  global
        .offset:         16
        .size:           8
        .value_kind:     global_buffer
      - .actual_access:  write_only
        .address_space:  global
        .offset:         24
        .size:           8
        .value_kind:     global_buffer
      - .offset:         32
        .size:           8
        .value_kind:     by_value
      - .offset:         40
        .size:           4
        .value_kind:     by_value
      - .offset:         44
        .size:           4
        .value_kind:     by_value
      - .offset:         48
        .size:           4
        .value_kind:     by_value
      - .offset:         52
        .size:           4
        .value_kind:     by_value
      - .offset:         56
        .size:           4
        .value_kind:     by_value
      - .offset:         64
        .size:           4
        .value_kind:     hidden_block_count_x
      - .offset:         68
        .size:           4
        .value_kind:     hidden_block_count_y
      - .offset:         72
        .size:           4
        .value_kind:     hidden_block_count_z
      - .offset:         76
        .size:           2
        .value_kind:     hidden_group_size_x
      - .offset:         78
        .size:           2
        .value_kind:     hidden_group_size_y
      - .offset:         80
        .size:           2
        .value_kind:     hidden_group_size_z
      - .offset:         82
        .size:           2
        .value_kind:     hidden_remainder_x
      - .offset:         84
        .size:           2
        .value_kind:     hidden_remainder_y
      - .offset:         86
        .size:           2
        .value_kind:     hidden_remainder_z
      - .offset:         104
        .size:           8
        .value_kind:     hidden_global_offset_x
      - .offset:         112
        .size:           8
        .value_kind:     hidden_global_offset_y
      - .offset:         120
        .size:           8
        .value_kind:     hidden_global_offset_z
      - .offset:         128
        .size:           2
        .value_kind:     hidden_grid_dims
      - .offset:         184
        .size:           4
        .value_kind:     hidden_dynamic_lds_size
    .group_segment_fixed_size: 0
    .kernarg_segment_align: 8
    .kernarg_segment_size: 320
    .language:       OpenCL C
    .language_version:
      - 2
      - 0
    .max_flat_workgroup_size: 1024
    .name:           _ZN5aiter19grouped_topk_kernelIN3c104HalfEDv1_fLi8ELb0ELb0ELb1EEEvPT_PKS4_PfPimiiiif
    .private_segment_fixed_size: 0
    .sgpr_count:     28
    .sgpr_spill_count: 0
    .symbol:         _ZN5aiter19grouped_topk_kernelIN3c104HalfEDv1_fLi8ELb0ELb0ELb1EEEvPT_PKS4_PfPimiiiif.kd
    .uniform_work_group_size: 1
    .uses_dynamic_stack: false
    .vgpr_count:     13
    .vgpr_spill_count: 0
    .wavefront_size: 64
  - .agpr_count:     0
    .args:
      - .actual_access:  read_only
        .address_space:  global
        .offset:         0
        .size:           8
        .value_kind:     global_buffer
      - .actual_access:  read_only
        .address_space:  global
        .offset:         8
        .size:           8
        .value_kind:     global_buffer
      - .actual_access:  write_only
        .address_space:  global
        .offset:         16
        .size:           8
        .value_kind:     global_buffer
      - .actual_access:  write_only
        .address_space:  global
        .offset:         24
        .size:           8
        .value_kind:     global_buffer
      - .offset:         32
        .size:           8
        .value_kind:     by_value
      - .offset:         40
        .size:           4
        .value_kind:     by_value
      - .offset:         44
        .size:           4
        .value_kind:     by_value
      - .offset:         48
        .size:           4
        .value_kind:     by_value
      - .offset:         52
        .size:           4
        .value_kind:     by_value
      - .offset:         56
        .size:           4
        .value_kind:     by_value
      - .offset:         64
        .size:           4
        .value_kind:     hidden_block_count_x
      - .offset:         68
        .size:           4
        .value_kind:     hidden_block_count_y
      - .offset:         72
        .size:           4
        .value_kind:     hidden_block_count_z
      - .offset:         76
        .size:           2
        .value_kind:     hidden_group_size_x
      - .offset:         78
        .size:           2
        .value_kind:     hidden_group_size_y
      - .offset:         80
        .size:           2
        .value_kind:     hidden_group_size_z
      - .offset:         82
        .size:           2
        .value_kind:     hidden_remainder_x
      - .offset:         84
        .size:           2
        .value_kind:     hidden_remainder_y
      - .offset:         86
        .size:           2
        .value_kind:     hidden_remainder_z
      - .offset:         104
        .size:           8
        .value_kind:     hidden_global_offset_x
      - .offset:         112
        .size:           8
        .value_kind:     hidden_global_offset_y
      - .offset:         120
        .size:           8
        .value_kind:     hidden_global_offset_z
      - .offset:         128
        .size:           2
        .value_kind:     hidden_grid_dims
      - .offset:         184
        .size:           4
        .value_kind:     hidden_dynamic_lds_size
    .group_segment_fixed_size: 0
    .kernarg_segment_align: 8
    .kernarg_segment_size: 320
    .language:       OpenCL C
    .language_version:
      - 2
      - 0
    .max_flat_workgroup_size: 1024
    .name:           _ZN5aiter19grouped_topk_kernelIN3c108BFloat16EDv1_fLi8ELb0ELb0ELb1EEEvPT_PKS4_PfPimiiiif
    .private_segment_fixed_size: 0
    .sgpr_count:     28
    .sgpr_spill_count: 0
    .symbol:         _ZN5aiter19grouped_topk_kernelIN3c108BFloat16EDv1_fLi8ELb0ELb0ELb1EEEvPT_PKS4_PfPimiiiif.kd
    .uniform_work_group_size: 1
    .uses_dynamic_stack: false
    .vgpr_count:     13
    .vgpr_spill_count: 0
    .wavefront_size: 64
  - .agpr_count:     0
    .args:
      - .actual_access:  read_only
        .address_space:  global
        .offset:         0
        .size:           8
        .value_kind:     global_buffer
      - .actual_access:  read_only
        .address_space:  global
        .offset:         8
        .size:           8
        .value_kind:     global_buffer
      - .actual_access:  write_only
        .address_space:  global
        .offset:         16
        .size:           8
        .value_kind:     global_buffer
      - .actual_access:  write_only
        .address_space:  global
        .offset:         24
        .size:           8
        .value_kind:     global_buffer
      - .offset:         32
        .size:           8
        .value_kind:     by_value
      - .offset:         40
        .size:           4
        .value_kind:     by_value
      - .offset:         44
        .size:           4
        .value_kind:     by_value
      - .offset:         48
        .size:           4
        .value_kind:     by_value
      - .offset:         52
        .size:           4
        .value_kind:     by_value
      - .offset:         56
        .size:           4
        .value_kind:     by_value
      - .offset:         64
        .size:           4
        .value_kind:     hidden_block_count_x
      - .offset:         68
        .size:           4
        .value_kind:     hidden_block_count_y
      - .offset:         72
        .size:           4
        .value_kind:     hidden_block_count_z
      - .offset:         76
        .size:           2
        .value_kind:     hidden_group_size_x
      - .offset:         78
        .size:           2
        .value_kind:     hidden_group_size_y
      - .offset:         80
        .size:           2
        .value_kind:     hidden_group_size_z
      - .offset:         82
        .size:           2
        .value_kind:     hidden_remainder_x
      - .offset:         84
        .size:           2
        .value_kind:     hidden_remainder_y
      - .offset:         86
        .size:           2
        .value_kind:     hidden_remainder_z
      - .offset:         104
        .size:           8
        .value_kind:     hidden_global_offset_x
      - .offset:         112
        .size:           8
        .value_kind:     hidden_global_offset_y
      - .offset:         120
        .size:           8
        .value_kind:     hidden_global_offset_z
      - .offset:         128
        .size:           2
        .value_kind:     hidden_grid_dims
      - .offset:         184
        .size:           4
        .value_kind:     hidden_dynamic_lds_size
    .group_segment_fixed_size: 0
    .kernarg_segment_align: 8
    .kernarg_segment_size: 320
    .language:       OpenCL C
    .language_version:
      - 2
      - 0
    .max_flat_workgroup_size: 1024
    .name:           _ZN5aiter19grouped_topk_kernelIfDv1_fLi8ELb0ELb0ELb0EEEvPT_PKS2_PfPimiiiif
    .private_segment_fixed_size: 0
    .sgpr_count:     28
    .sgpr_spill_count: 0
    .symbol:         _ZN5aiter19grouped_topk_kernelIfDv1_fLi8ELb0ELb0ELb0EEEvPT_PKS2_PfPimiiiif.kd
    .uniform_work_group_size: 1
    .uses_dynamic_stack: false
    .vgpr_count:     13
    .vgpr_spill_count: 0
    .wavefront_size: 64
  - .agpr_count:     0
    .args:
      - .actual_access:  read_only
        .address_space:  global
        .offset:         0
        .size:           8
        .value_kind:     global_buffer
      - .actual_access:  read_only
        .address_space:  global
        .offset:         8
        .size:           8
        .value_kind:     global_buffer
      - .actual_access:  write_only
        .address_space:  global
        .offset:         16
        .size:           8
        .value_kind:     global_buffer
      - .actual_access:  write_only
        .address_space:  global
        .offset:         24
        .size:           8
        .value_kind:     global_buffer
      - .offset:         32
        .size:           8
        .value_kind:     by_value
      - .offset:         40
        .size:           4
        .value_kind:     by_value
      - .offset:         44
        .size:           4
        .value_kind:     by_value
      - .offset:         48
        .size:           4
        .value_kind:     by_value
      - .offset:         52
        .size:           4
        .value_kind:     by_value
      - .offset:         56
        .size:           4
        .value_kind:     by_value
      - .offset:         64
        .size:           4
        .value_kind:     hidden_block_count_x
      - .offset:         68
        .size:           4
        .value_kind:     hidden_block_count_y
      - .offset:         72
        .size:           4
        .value_kind:     hidden_block_count_z
      - .offset:         76
        .size:           2
        .value_kind:     hidden_group_size_x
      - .offset:         78
        .size:           2
        .value_kind:     hidden_group_size_y
      - .offset:         80
        .size:           2
        .value_kind:     hidden_group_size_z
      - .offset:         82
        .size:           2
        .value_kind:     hidden_remainder_x
      - .offset:         84
        .size:           2
        .value_kind:     hidden_remainder_y
      - .offset:         86
        .size:           2
        .value_kind:     hidden_remainder_z
      - .offset:         104
        .size:           8
        .value_kind:     hidden_global_offset_x
      - .offset:         112
        .size:           8
        .value_kind:     hidden_global_offset_y
      - .offset:         120
        .size:           8
        .value_kind:     hidden_global_offset_z
      - .offset:         128
        .size:           2
        .value_kind:     hidden_grid_dims
      - .offset:         184
        .size:           4
        .value_kind:     hidden_dynamic_lds_size
    .group_segment_fixed_size: 0
    .kernarg_segment_align: 8
    .kernarg_segment_size: 320
    .language:       OpenCL C
    .language_version:
      - 2
      - 0
    .max_flat_workgroup_size: 1024
    .name:           _ZN5aiter19grouped_topk_kernelIN3c104HalfEDv1_fLi8ELb0ELb0ELb0EEEvPT_PKS4_PfPimiiiif
    .private_segment_fixed_size: 0
    .sgpr_count:     30
    .sgpr_spill_count: 0
    .symbol:         _ZN5aiter19grouped_topk_kernelIN3c104HalfEDv1_fLi8ELb0ELb0ELb0EEEvPT_PKS4_PfPimiiiif.kd
    .uniform_work_group_size: 1
    .uses_dynamic_stack: false
    .vgpr_count:     13
    .vgpr_spill_count: 0
    .wavefront_size: 64
  - .agpr_count:     0
    .args:
      - .actual_access:  read_only
        .address_space:  global
        .offset:         0
        .size:           8
        .value_kind:     global_buffer
      - .actual_access:  read_only
        .address_space:  global
        .offset:         8
        .size:           8
        .value_kind:     global_buffer
      - .actual_access:  write_only
        .address_space:  global
        .offset:         16
        .size:           8
        .value_kind:     global_buffer
      - .actual_access:  write_only
        .address_space:  global
        .offset:         24
        .size:           8
        .value_kind:     global_buffer
      - .offset:         32
        .size:           8
        .value_kind:     by_value
      - .offset:         40
        .size:           4
        .value_kind:     by_value
      - .offset:         44
        .size:           4
        .value_kind:     by_value
      - .offset:         48
        .size:           4
        .value_kind:     by_value
      - .offset:         52
        .size:           4
        .value_kind:     by_value
      - .offset:         56
        .size:           4
        .value_kind:     by_value
      - .offset:         64
        .size:           4
        .value_kind:     hidden_block_count_x
      - .offset:         68
        .size:           4
        .value_kind:     hidden_block_count_y
      - .offset:         72
        .size:           4
        .value_kind:     hidden_block_count_z
      - .offset:         76
        .size:           2
        .value_kind:     hidden_group_size_x
      - .offset:         78
        .size:           2
        .value_kind:     hidden_group_size_y
      - .offset:         80
        .size:           2
        .value_kind:     hidden_group_size_z
      - .offset:         82
        .size:           2
        .value_kind:     hidden_remainder_x
      - .offset:         84
        .size:           2
        .value_kind:     hidden_remainder_y
      - .offset:         86
        .size:           2
        .value_kind:     hidden_remainder_z
      - .offset:         104
        .size:           8
        .value_kind:     hidden_global_offset_x
      - .offset:         112
        .size:           8
        .value_kind:     hidden_global_offset_y
      - .offset:         120
        .size:           8
        .value_kind:     hidden_global_offset_z
      - .offset:         128
        .size:           2
        .value_kind:     hidden_grid_dims
      - .offset:         184
        .size:           4
        .value_kind:     hidden_dynamic_lds_size
    .group_segment_fixed_size: 0
    .kernarg_segment_align: 8
    .kernarg_segment_size: 320
    .language:       OpenCL C
    .language_version:
      - 2
      - 0
    .max_flat_workgroup_size: 1024
    .name:           _ZN5aiter19grouped_topk_kernelIN3c108BFloat16EDv1_fLi8ELb0ELb0ELb0EEEvPT_PKS4_PfPimiiiif
    .private_segment_fixed_size: 0
    .sgpr_count:     28
    .sgpr_spill_count: 0
    .symbol:         _ZN5aiter19grouped_topk_kernelIN3c108BFloat16EDv1_fLi8ELb0ELb0ELb0EEEvPT_PKS4_PfPimiiiif.kd
    .uniform_work_group_size: 1
    .uses_dynamic_stack: false
    .vgpr_count:     13
    .vgpr_spill_count: 0
    .wavefront_size: 64
  - .agpr_count:     0
    .args:
      - .actual_access:  read_only
        .address_space:  global
        .offset:         0
        .size:           8
        .value_kind:     global_buffer
      - .actual_access:  read_only
        .address_space:  global
        .offset:         8
        .size:           8
        .value_kind:     global_buffer
      - .actual_access:  read_only
        .address_space:  global
        .offset:         16
        .size:           8
        .value_kind:     global_buffer
      - .actual_access:  read_only
        .address_space:  global
        .offset:         24
        .size:           8
        .value_kind:     global_buffer
      - .offset:         32
        .size:           8
        .value_kind:     by_value
      - .offset:         40
        .size:           4
        .value_kind:     by_value
      - .offset:         44
        .size:           4
        .value_kind:     by_value
      - .offset:         48
        .size:           4
        .value_kind:     by_value
      - .offset:         52
        .size:           4
        .value_kind:     by_value
      - .offset:         56
        .size:           4
        .value_kind:     by_value
    .group_segment_fixed_size: 0
    .kernarg_segment_align: 8
    .kernarg_segment_size: 60
    .language:       OpenCL C
    .language_version:
      - 2
      - 0
    .max_flat_workgroup_size: 1024
    .name:           _ZN5aiter28grouped_topk_opt_sort_kernelIfDv1_fLi4ELb1ELb1ELb0EEEvPT_PKS2_PfPimiiiif
    .private_segment_fixed_size: 0
    .sgpr_count:     13
    .sgpr_spill_count: 0
    .symbol:         _ZN5aiter28grouped_topk_opt_sort_kernelIfDv1_fLi4ELb1ELb1ELb0EEEvPT_PKS2_PfPimiiiif.kd
    .uniform_work_group_size: 1
    .uses_dynamic_stack: false
    .vgpr_count:     14
    .vgpr_spill_count: 0
    .wavefront_size: 64
  - .agpr_count:     0
    .args:
      - .actual_access:  read_only
        .address_space:  global
        .offset:         0
        .size:           8
        .value_kind:     global_buffer
      - .actual_access:  read_only
        .address_space:  global
        .offset:         8
        .size:           8
        .value_kind:     global_buffer
      - .actual_access:  read_only
        .address_space:  global
        .offset:         16
        .size:           8
        .value_kind:     global_buffer
      - .actual_access:  read_only
        .address_space:  global
        .offset:         24
        .size:           8
        .value_kind:     global_buffer
      - .offset:         32
        .size:           8
        .value_kind:     by_value
      - .offset:         40
        .size:           4
        .value_kind:     by_value
      - .offset:         44
        .size:           4
        .value_kind:     by_value
      - .offset:         48
        .size:           4
        .value_kind:     by_value
      - .offset:         52
        .size:           4
        .value_kind:     by_value
      - .offset:         56
        .size:           4
        .value_kind:     by_value
    .group_segment_fixed_size: 0
    .kernarg_segment_align: 8
    .kernarg_segment_size: 60
    .language:       OpenCL C
    .language_version:
      - 2
      - 0
    .max_flat_workgroup_size: 1024
    .name:           _ZN5aiter28grouped_topk_opt_sort_kernelIN3c104HalfEDv1_fLi4ELb1ELb1ELb0EEEvPT_PKS4_PfPimiiiif
    .private_segment_fixed_size: 0
    .sgpr_count:     13
    .sgpr_spill_count: 0
    .symbol:         _ZN5aiter28grouped_topk_opt_sort_kernelIN3c104HalfEDv1_fLi4ELb1ELb1ELb0EEEvPT_PKS4_PfPimiiiif.kd
    .uniform_work_group_size: 1
    .uses_dynamic_stack: false
    .vgpr_count:     13
    .vgpr_spill_count: 0
    .wavefront_size: 64
  - .agpr_count:     0
    .args:
      - .actual_access:  read_only
        .address_space:  global
        .offset:         0
        .size:           8
        .value_kind:     global_buffer
      - .actual_access:  read_only
        .address_space:  global
        .offset:         8
        .size:           8
        .value_kind:     global_buffer
      - .actual_access:  read_only
        .address_space:  global
        .offset:         16
        .size:           8
        .value_kind:     global_buffer
      - .actual_access:  read_only
        .address_space:  global
        .offset:         24
        .size:           8
        .value_kind:     global_buffer
      - .offset:         32
        .size:           8
        .value_kind:     by_value
      - .offset:         40
        .size:           4
        .value_kind:     by_value
      - .offset:         44
        .size:           4
        .value_kind:     by_value
      - .offset:         48
        .size:           4
        .value_kind:     by_value
      - .offset:         52
        .size:           4
        .value_kind:     by_value
      - .offset:         56
        .size:           4
        .value_kind:     by_value
    .group_segment_fixed_size: 0
    .kernarg_segment_align: 8
    .kernarg_segment_size: 60
    .language:       OpenCL C
    .language_version:
      - 2
      - 0
    .max_flat_workgroup_size: 1024
    .name:           _ZN5aiter28grouped_topk_opt_sort_kernelIN3c108BFloat16EDv1_fLi4ELb1ELb1ELb0EEEvPT_PKS4_PfPimiiiif
    .private_segment_fixed_size: 0
    .sgpr_count:     13
    .sgpr_spill_count: 0
    .symbol:         _ZN5aiter28grouped_topk_opt_sort_kernelIN3c108BFloat16EDv1_fLi4ELb1ELb1ELb0EEEvPT_PKS4_PfPimiiiif.kd
    .uniform_work_group_size: 1
    .uses_dynamic_stack: false
    .vgpr_count:     13
    .vgpr_spill_count: 0
    .wavefront_size: 64
  - .agpr_count:     0
    .args:
      - .actual_access:  read_only
        .address_space:  global
        .offset:         0
        .size:           8
        .value_kind:     global_buffer
      - .actual_access:  read_only
        .address_space:  global
        .offset:         8
        .size:           8
        .value_kind:     global_buffer
      - .actual_access:  write_only
        .address_space:  global
        .offset:         16
        .size:           8
        .value_kind:     global_buffer
      - .actual_access:  write_only
        .address_space:  global
        .offset:         24
        .size:           8
        .value_kind:     global_buffer
      - .offset:         32
        .size:           8
        .value_kind:     by_value
      - .offset:         40
        .size:           4
        .value_kind:     by_value
      - .offset:         44
        .size:           4
        .value_kind:     by_value
      - .offset:         48
        .size:           4
        .value_kind:     by_value
      - .offset:         52
        .size:           4
        .value_kind:     by_value
      - .offset:         56
        .size:           4
        .value_kind:     by_value
      - .offset:         64
        .size:           4
        .value_kind:     hidden_block_count_x
      - .offset:         68
        .size:           4
        .value_kind:     hidden_block_count_y
      - .offset:         72
        .size:           4
        .value_kind:     hidden_block_count_z
      - .offset:         76
        .size:           2
        .value_kind:     hidden_group_size_x
      - .offset:         78
        .size:           2
        .value_kind:     hidden_group_size_y
      - .offset:         80
        .size:           2
        .value_kind:     hidden_group_size_z
      - .offset:         82
        .size:           2
        .value_kind:     hidden_remainder_x
      - .offset:         84
        .size:           2
        .value_kind:     hidden_remainder_y
      - .offset:         86
        .size:           2
        .value_kind:     hidden_remainder_z
      - .offset:         104
        .size:           8
        .value_kind:     hidden_global_offset_x
      - .offset:         112
        .size:           8
        .value_kind:     hidden_global_offset_y
      - .offset:         120
        .size:           8
        .value_kind:     hidden_global_offset_z
      - .offset:         128
        .size:           2
        .value_kind:     hidden_grid_dims
      - .offset:         184
        .size:           4
        .value_kind:     hidden_dynamic_lds_size
    .group_segment_fixed_size: 0
    .kernarg_segment_align: 8
    .kernarg_segment_size: 320
    .language:       OpenCL C
    .language_version:
      - 2
      - 0
    .max_flat_workgroup_size: 1024
    .name:           _ZN5aiter19grouped_topk_kernelIfDv1_fLi4ELb1ELb1ELb0EEEvPT_PKS2_PfPimiiiif
    .private_segment_fixed_size: 0
    .sgpr_count:     34
    .sgpr_spill_count: 0
    .symbol:         _ZN5aiter19grouped_topk_kernelIfDv1_fLi4ELb1ELb1ELb0EEEvPT_PKS2_PfPimiiiif.kd
    .uniform_work_group_size: 1
    .uses_dynamic_stack: false
    .vgpr_count:     14
    .vgpr_spill_count: 0
    .wavefront_size: 64
  - .agpr_count:     0
    .args:
      - .actual_access:  read_only
        .address_space:  global
        .offset:         0
        .size:           8
        .value_kind:     global_buffer
      - .actual_access:  read_only
        .address_space:  global
        .offset:         8
        .size:           8
        .value_kind:     global_buffer
      - .actual_access:  write_only
        .address_space:  global
        .offset:         16
        .size:           8
        .value_kind:     global_buffer
      - .actual_access:  write_only
        .address_space:  global
        .offset:         24
        .size:           8
        .value_kind:     global_buffer
      - .offset:         32
        .size:           8
        .value_kind:     by_value
      - .offset:         40
        .size:           4
        .value_kind:     by_value
      - .offset:         44
        .size:           4
        .value_kind:     by_value
      - .offset:         48
        .size:           4
        .value_kind:     by_value
      - .offset:         52
        .size:           4
        .value_kind:     by_value
      - .offset:         56
        .size:           4
        .value_kind:     by_value
      - .offset:         64
        .size:           4
        .value_kind:     hidden_block_count_x
      - .offset:         68
        .size:           4
        .value_kind:     hidden_block_count_y
      - .offset:         72
        .size:           4
        .value_kind:     hidden_block_count_z
      - .offset:         76
        .size:           2
        .value_kind:     hidden_group_size_x
      - .offset:         78
        .size:           2
        .value_kind:     hidden_group_size_y
      - .offset:         80
        .size:           2
        .value_kind:     hidden_group_size_z
      - .offset:         82
        .size:           2
        .value_kind:     hidden_remainder_x
      - .offset:         84
        .size:           2
        .value_kind:     hidden_remainder_y
      - .offset:         86
        .size:           2
        .value_kind:     hidden_remainder_z
      - .offset:         104
        .size:           8
        .value_kind:     hidden_global_offset_x
      - .offset:         112
        .size:           8
        .value_kind:     hidden_global_offset_y
      - .offset:         120
        .size:           8
        .value_kind:     hidden_global_offset_z
      - .offset:         128
        .size:           2
        .value_kind:     hidden_grid_dims
      - .offset:         184
        .size:           4
        .value_kind:     hidden_dynamic_lds_size
    .group_segment_fixed_size: 0
    .kernarg_segment_align: 8
    .kernarg_segment_size: 320
    .language:       OpenCL C
    .language_version:
      - 2
      - 0
    .max_flat_workgroup_size: 1024
    .name:           _ZN5aiter19grouped_topk_kernelIN3c104HalfEDv1_fLi4ELb1ELb1ELb0EEEvPT_PKS4_PfPimiiiif
    .private_segment_fixed_size: 0
    .sgpr_count:     34
    .sgpr_spill_count: 0
    .symbol:         _ZN5aiter19grouped_topk_kernelIN3c104HalfEDv1_fLi4ELb1ELb1ELb0EEEvPT_PKS4_PfPimiiiif.kd
    .uniform_work_group_size: 1
    .uses_dynamic_stack: false
    .vgpr_count:     14
    .vgpr_spill_count: 0
    .wavefront_size: 64
  - .agpr_count:     0
    .args:
      - .actual_access:  read_only
        .address_space:  global
        .offset:         0
        .size:           8
        .value_kind:     global_buffer
      - .actual_access:  read_only
        .address_space:  global
        .offset:         8
        .size:           8
        .value_kind:     global_buffer
      - .actual_access:  write_only
        .address_space:  global
        .offset:         16
        .size:           8
        .value_kind:     global_buffer
      - .actual_access:  write_only
        .address_space:  global
        .offset:         24
        .size:           8
        .value_kind:     global_buffer
      - .offset:         32
        .size:           8
        .value_kind:     by_value
      - .offset:         40
        .size:           4
        .value_kind:     by_value
      - .offset:         44
        .size:           4
        .value_kind:     by_value
      - .offset:         48
        .size:           4
        .value_kind:     by_value
      - .offset:         52
        .size:           4
        .value_kind:     by_value
      - .offset:         56
        .size:           4
        .value_kind:     by_value
      - .offset:         64
        .size:           4
        .value_kind:     hidden_block_count_x
      - .offset:         68
        .size:           4
        .value_kind:     hidden_block_count_y
      - .offset:         72
        .size:           4
        .value_kind:     hidden_block_count_z
      - .offset:         76
        .size:           2
        .value_kind:     hidden_group_size_x
      - .offset:         78
        .size:           2
        .value_kind:     hidden_group_size_y
      - .offset:         80
        .size:           2
        .value_kind:     hidden_group_size_z
      - .offset:         82
        .size:           2
        .value_kind:     hidden_remainder_x
      - .offset:         84
        .size:           2
        .value_kind:     hidden_remainder_y
      - .offset:         86
        .size:           2
        .value_kind:     hidden_remainder_z
      - .offset:         104
        .size:           8
        .value_kind:     hidden_global_offset_x
      - .offset:         112
        .size:           8
        .value_kind:     hidden_global_offset_y
      - .offset:         120
        .size:           8
        .value_kind:     hidden_global_offset_z
      - .offset:         128
        .size:           2
        .value_kind:     hidden_grid_dims
      - .offset:         184
        .size:           4
        .value_kind:     hidden_dynamic_lds_size
    .group_segment_fixed_size: 0
    .kernarg_segment_align: 8
    .kernarg_segment_size: 320
    .language:       OpenCL C
    .language_version:
      - 2
      - 0
    .max_flat_workgroup_size: 1024
    .name:           _ZN5aiter19grouped_topk_kernelIN3c108BFloat16EDv1_fLi4ELb1ELb1ELb0EEEvPT_PKS4_PfPimiiiif
    .private_segment_fixed_size: 0
    .sgpr_count:     34
    .sgpr_spill_count: 0
    .symbol:         _ZN5aiter19grouped_topk_kernelIN3c108BFloat16EDv1_fLi4ELb1ELb1ELb0EEEvPT_PKS4_PfPimiiiif.kd
    .uniform_work_group_size: 1
    .uses_dynamic_stack: false
    .vgpr_count:     14
    .vgpr_spill_count: 0
    .wavefront_size: 64
  - .agpr_count:     0
    .args:
      - .actual_access:  read_only
        .address_space:  global
        .offset:         0
        .size:           8
        .value_kind:     global_buffer
      - .actual_access:  read_only
        .address_space:  global
        .offset:         8
        .size:           8
        .value_kind:     global_buffer
      - .actual_access:  write_only
        .address_space:  global
        .offset:         16
        .size:           8
        .value_kind:     global_buffer
      - .actual_access:  write_only
        .address_space:  global
        .offset:         24
        .size:           8
        .value_kind:     global_buffer
      - .offset:         32
        .size:           8
        .value_kind:     by_value
      - .offset:         40
        .size:           4
        .value_kind:     by_value
      - .offset:         44
        .size:           4
        .value_kind:     by_value
      - .offset:         48
        .size:           4
        .value_kind:     by_value
      - .offset:         52
        .size:           4
        .value_kind:     by_value
      - .offset:         56
        .size:           4
        .value_kind:     by_value
      - .offset:         64
        .size:           4
        .value_kind:     hidden_block_count_x
      - .offset:         68
        .size:           4
        .value_kind:     hidden_block_count_y
      - .offset:         72
        .size:           4
        .value_kind:     hidden_block_count_z
      - .offset:         76
        .size:           2
        .value_kind:     hidden_group_size_x
      - .offset:         78
        .size:           2
        .value_kind:     hidden_group_size_y
      - .offset:         80
        .size:           2
        .value_kind:     hidden_group_size_z
      - .offset:         82
        .size:           2
        .value_kind:     hidden_remainder_x
      - .offset:         84
        .size:           2
        .value_kind:     hidden_remainder_y
      - .offset:         86
        .size:           2
        .value_kind:     hidden_remainder_z
      - .offset:         104
        .size:           8
        .value_kind:     hidden_global_offset_x
      - .offset:         112
        .size:           8
        .value_kind:     hidden_global_offset_y
      - .offset:         120
        .size:           8
        .value_kind:     hidden_global_offset_z
      - .offset:         128
        .size:           2
        .value_kind:     hidden_grid_dims
      - .offset:         184
        .size:           4
        .value_kind:     hidden_dynamic_lds_size
    .group_segment_fixed_size: 0
    .kernarg_segment_align: 8
    .kernarg_segment_size: 320
    .language:       OpenCL C
    .language_version:
      - 2
      - 0
    .max_flat_workgroup_size: 1024
    .name:           _ZN5aiter19grouped_topk_kernelIfDv1_fLi4ELb1ELb0ELb1EEEvPT_PKS2_PfPimiiiif
    .private_segment_fixed_size: 0
    .sgpr_count:     28
    .sgpr_spill_count: 0
    .symbol:         _ZN5aiter19grouped_topk_kernelIfDv1_fLi4ELb1ELb0ELb1EEEvPT_PKS2_PfPimiiiif.kd
    .uniform_work_group_size: 1
    .uses_dynamic_stack: false
    .vgpr_count:     12
    .vgpr_spill_count: 0
    .wavefront_size: 64
  - .agpr_count:     0
    .args:
      - .actual_access:  read_only
        .address_space:  global
        .offset:         0
        .size:           8
        .value_kind:     global_buffer
      - .actual_access:  read_only
        .address_space:  global
        .offset:         8
        .size:           8
        .value_kind:     global_buffer
      - .actual_access:  write_only
        .address_space:  global
        .offset:         16
        .size:           8
        .value_kind:     global_buffer
      - .actual_access:  write_only
        .address_space:  global
        .offset:         24
        .size:           8
        .value_kind:     global_buffer
      - .offset:         32
        .size:           8
        .value_kind:     by_value
      - .offset:         40
        .size:           4
        .value_kind:     by_value
      - .offset:         44
        .size:           4
        .value_kind:     by_value
      - .offset:         48
        .size:           4
        .value_kind:     by_value
      - .offset:         52
        .size:           4
        .value_kind:     by_value
      - .offset:         56
        .size:           4
        .value_kind:     by_value
      - .offset:         64
        .size:           4
        .value_kind:     hidden_block_count_x
      - .offset:         68
        .size:           4
        .value_kind:     hidden_block_count_y
      - .offset:         72
        .size:           4
        .value_kind:     hidden_block_count_z
      - .offset:         76
        .size:           2
        .value_kind:     hidden_group_size_x
      - .offset:         78
        .size:           2
        .value_kind:     hidden_group_size_y
      - .offset:         80
        .size:           2
        .value_kind:     hidden_group_size_z
      - .offset:         82
        .size:           2
        .value_kind:     hidden_remainder_x
      - .offset:         84
        .size:           2
        .value_kind:     hidden_remainder_y
      - .offset:         86
        .size:           2
        .value_kind:     hidden_remainder_z
      - .offset:         104
        .size:           8
        .value_kind:     hidden_global_offset_x
      - .offset:         112
        .size:           8
        .value_kind:     hidden_global_offset_y
      - .offset:         120
        .size:           8
        .value_kind:     hidden_global_offset_z
      - .offset:         128
        .size:           2
        .value_kind:     hidden_grid_dims
      - .offset:         184
        .size:           4
        .value_kind:     hidden_dynamic_lds_size
    .group_segment_fixed_size: 0
    .kernarg_segment_align: 8
    .kernarg_segment_size: 320
    .language:       OpenCL C
    .language_version:
      - 2
      - 0
    .max_flat_workgroup_size: 1024
    .name:           _ZN5aiter19grouped_topk_kernelIN3c104HalfEDv1_fLi4ELb1ELb0ELb1EEEvPT_PKS4_PfPimiiiif
    .private_segment_fixed_size: 0
    .sgpr_count:     28
    .sgpr_spill_count: 0
    .symbol:         _ZN5aiter19grouped_topk_kernelIN3c104HalfEDv1_fLi4ELb1ELb0ELb1EEEvPT_PKS4_PfPimiiiif.kd
    .uniform_work_group_size: 1
    .uses_dynamic_stack: false
    .vgpr_count:     12
    .vgpr_spill_count: 0
    .wavefront_size: 64
  - .agpr_count:     0
    .args:
      - .actual_access:  read_only
        .address_space:  global
        .offset:         0
        .size:           8
        .value_kind:     global_buffer
      - .actual_access:  read_only
        .address_space:  global
        .offset:         8
        .size:           8
        .value_kind:     global_buffer
      - .actual_access:  write_only
        .address_space:  global
        .offset:         16
        .size:           8
        .value_kind:     global_buffer
      - .actual_access:  write_only
        .address_space:  global
        .offset:         24
        .size:           8
        .value_kind:     global_buffer
      - .offset:         32
        .size:           8
        .value_kind:     by_value
      - .offset:         40
        .size:           4
        .value_kind:     by_value
      - .offset:         44
        .size:           4
        .value_kind:     by_value
      - .offset:         48
        .size:           4
        .value_kind:     by_value
      - .offset:         52
        .size:           4
        .value_kind:     by_value
      - .offset:         56
        .size:           4
        .value_kind:     by_value
      - .offset:         64
        .size:           4
        .value_kind:     hidden_block_count_x
      - .offset:         68
        .size:           4
        .value_kind:     hidden_block_count_y
      - .offset:         72
        .size:           4
        .value_kind:     hidden_block_count_z
      - .offset:         76
        .size:           2
        .value_kind:     hidden_group_size_x
      - .offset:         78
        .size:           2
        .value_kind:     hidden_group_size_y
      - .offset:         80
        .size:           2
        .value_kind:     hidden_group_size_z
      - .offset:         82
        .size:           2
        .value_kind:     hidden_remainder_x
      - .offset:         84
        .size:           2
        .value_kind:     hidden_remainder_y
      - .offset:         86
        .size:           2
        .value_kind:     hidden_remainder_z
      - .offset:         104
        .size:           8
        .value_kind:     hidden_global_offset_x
      - .offset:         112
        .size:           8
        .value_kind:     hidden_global_offset_y
      - .offset:         120
        .size:           8
        .value_kind:     hidden_global_offset_z
      - .offset:         128
        .size:           2
        .value_kind:     hidden_grid_dims
      - .offset:         184
        .size:           4
        .value_kind:     hidden_dynamic_lds_size
    .group_segment_fixed_size: 0
    .kernarg_segment_align: 8
    .kernarg_segment_size: 320
    .language:       OpenCL C
    .language_version:
      - 2
      - 0
    .max_flat_workgroup_size: 1024
    .name:           _ZN5aiter19grouped_topk_kernelIN3c108BFloat16EDv1_fLi4ELb1ELb0ELb1EEEvPT_PKS4_PfPimiiiif
    .private_segment_fixed_size: 0
    .sgpr_count:     28
    .sgpr_spill_count: 0
    .symbol:         _ZN5aiter19grouped_topk_kernelIN3c108BFloat16EDv1_fLi4ELb1ELb0ELb1EEEvPT_PKS4_PfPimiiiif.kd
    .uniform_work_group_size: 1
    .uses_dynamic_stack: false
    .vgpr_count:     12
    .vgpr_spill_count: 0
    .wavefront_size: 64
  - .agpr_count:     0
    .args:
      - .actual_access:  read_only
        .address_space:  global
        .offset:         0
        .size:           8
        .value_kind:     global_buffer
      - .actual_access:  read_only
        .address_space:  global
        .offset:         8
        .size:           8
        .value_kind:     global_buffer
      - .actual_access:  write_only
        .address_space:  global
        .offset:         16
        .size:           8
        .value_kind:     global_buffer
      - .actual_access:  write_only
        .address_space:  global
        .offset:         24
        .size:           8
        .value_kind:     global_buffer
      - .offset:         32
        .size:           8
        .value_kind:     by_value
      - .offset:         40
        .size:           4
        .value_kind:     by_value
      - .offset:         44
        .size:           4
        .value_kind:     by_value
      - .offset:         48
        .size:           4
        .value_kind:     by_value
      - .offset:         52
        .size:           4
        .value_kind:     by_value
      - .offset:         56
        .size:           4
        .value_kind:     by_value
      - .offset:         64
        .size:           4
        .value_kind:     hidden_block_count_x
      - .offset:         68
        .size:           4
        .value_kind:     hidden_block_count_y
      - .offset:         72
        .size:           4
        .value_kind:     hidden_block_count_z
      - .offset:         76
        .size:           2
        .value_kind:     hidden_group_size_x
      - .offset:         78
        .size:           2
        .value_kind:     hidden_group_size_y
      - .offset:         80
        .size:           2
        .value_kind:     hidden_group_size_z
      - .offset:         82
        .size:           2
        .value_kind:     hidden_remainder_x
      - .offset:         84
        .size:           2
        .value_kind:     hidden_remainder_y
      - .offset:         86
        .size:           2
        .value_kind:     hidden_remainder_z
      - .offset:         104
        .size:           8
        .value_kind:     hidden_global_offset_x
      - .offset:         112
        .size:           8
        .value_kind:     hidden_global_offset_y
      - .offset:         120
        .size:           8
        .value_kind:     hidden_global_offset_z
      - .offset:         128
        .size:           2
        .value_kind:     hidden_grid_dims
      - .offset:         184
        .size:           4
        .value_kind:     hidden_dynamic_lds_size
    .group_segment_fixed_size: 0
    .kernarg_segment_align: 8
    .kernarg_segment_size: 320
    .language:       OpenCL C
    .language_version:
      - 2
      - 0
    .max_flat_workgroup_size: 1024
    .name:           _ZN5aiter19grouped_topk_kernelIfDv1_fLi4ELb1ELb0ELb0EEEvPT_PKS2_PfPimiiiif
    .private_segment_fixed_size: 0
    .sgpr_count:     28
    .sgpr_spill_count: 0
    .symbol:         _ZN5aiter19grouped_topk_kernelIfDv1_fLi4ELb1ELb0ELb0EEEvPT_PKS2_PfPimiiiif.kd
    .uniform_work_group_size: 1
    .uses_dynamic_stack: false
    .vgpr_count:     12
    .vgpr_spill_count: 0
    .wavefront_size: 64
  - .agpr_count:     0
    .args:
      - .actual_access:  read_only
        .address_space:  global
        .offset:         0
        .size:           8
        .value_kind:     global_buffer
      - .actual_access:  read_only
        .address_space:  global
        .offset:         8
        .size:           8
        .value_kind:     global_buffer
      - .actual_access:  write_only
        .address_space:  global
        .offset:         16
        .size:           8
        .value_kind:     global_buffer
      - .actual_access:  write_only
        .address_space:  global
        .offset:         24
        .size:           8
        .value_kind:     global_buffer
      - .offset:         32
        .size:           8
        .value_kind:     by_value
      - .offset:         40
        .size:           4
        .value_kind:     by_value
      - .offset:         44
        .size:           4
        .value_kind:     by_value
      - .offset:         48
        .size:           4
        .value_kind:     by_value
      - .offset:         52
        .size:           4
        .value_kind:     by_value
      - .offset:         56
        .size:           4
        .value_kind:     by_value
      - .offset:         64
        .size:           4
        .value_kind:     hidden_block_count_x
      - .offset:         68
        .size:           4
        .value_kind:     hidden_block_count_y
      - .offset:         72
        .size:           4
        .value_kind:     hidden_block_count_z
      - .offset:         76
        .size:           2
        .value_kind:     hidden_group_size_x
      - .offset:         78
        .size:           2
        .value_kind:     hidden_group_size_y
      - .offset:         80
        .size:           2
        .value_kind:     hidden_group_size_z
      - .offset:         82
        .size:           2
        .value_kind:     hidden_remainder_x
      - .offset:         84
        .size:           2
        .value_kind:     hidden_remainder_y
      - .offset:         86
        .size:           2
        .value_kind:     hidden_remainder_z
      - .offset:         104
        .size:           8
        .value_kind:     hidden_global_offset_x
      - .offset:         112
        .size:           8
        .value_kind:     hidden_global_offset_y
      - .offset:         120
        .size:           8
        .value_kind:     hidden_global_offset_z
      - .offset:         128
        .size:           2
        .value_kind:     hidden_grid_dims
      - .offset:         184
        .size:           4
        .value_kind:     hidden_dynamic_lds_size
    .group_segment_fixed_size: 0
    .kernarg_segment_align: 8
    .kernarg_segment_size: 320
    .language:       OpenCL C
    .language_version:
      - 2
      - 0
    .max_flat_workgroup_size: 1024
    .name:           _ZN5aiter19grouped_topk_kernelIN3c104HalfEDv1_fLi4ELb1ELb0ELb0EEEvPT_PKS4_PfPimiiiif
    .private_segment_fixed_size: 0
    .sgpr_count:     30
    .sgpr_spill_count: 0
    .symbol:         _ZN5aiter19grouped_topk_kernelIN3c104HalfEDv1_fLi4ELb1ELb0ELb0EEEvPT_PKS4_PfPimiiiif.kd
    .uniform_work_group_size: 1
    .uses_dynamic_stack: false
    .vgpr_count:     12
    .vgpr_spill_count: 0
    .wavefront_size: 64
  - .agpr_count:     0
    .args:
      - .actual_access:  read_only
        .address_space:  global
        .offset:         0
        .size:           8
        .value_kind:     global_buffer
      - .actual_access:  read_only
        .address_space:  global
        .offset:         8
        .size:           8
        .value_kind:     global_buffer
      - .actual_access:  write_only
        .address_space:  global
        .offset:         16
        .size:           8
        .value_kind:     global_buffer
      - .actual_access:  write_only
        .address_space:  global
        .offset:         24
        .size:           8
        .value_kind:     global_buffer
      - .offset:         32
        .size:           8
        .value_kind:     by_value
      - .offset:         40
        .size:           4
        .value_kind:     by_value
      - .offset:         44
        .size:           4
        .value_kind:     by_value
      - .offset:         48
        .size:           4
        .value_kind:     by_value
      - .offset:         52
        .size:           4
        .value_kind:     by_value
      - .offset:         56
        .size:           4
        .value_kind:     by_value
      - .offset:         64
        .size:           4
        .value_kind:     hidden_block_count_x
      - .offset:         68
        .size:           4
        .value_kind:     hidden_block_count_y
      - .offset:         72
        .size:           4
        .value_kind:     hidden_block_count_z
      - .offset:         76
        .size:           2
        .value_kind:     hidden_group_size_x
      - .offset:         78
        .size:           2
        .value_kind:     hidden_group_size_y
      - .offset:         80
        .size:           2
        .value_kind:     hidden_group_size_z
      - .offset:         82
        .size:           2
        .value_kind:     hidden_remainder_x
      - .offset:         84
        .size:           2
        .value_kind:     hidden_remainder_y
      - .offset:         86
        .size:           2
        .value_kind:     hidden_remainder_z
      - .offset:         104
        .size:           8
        .value_kind:     hidden_global_offset_x
      - .offset:         112
        .size:           8
        .value_kind:     hidden_global_offset_y
      - .offset:         120
        .size:           8
        .value_kind:     hidden_global_offset_z
      - .offset:         128
        .size:           2
        .value_kind:     hidden_grid_dims
      - .offset:         184
        .size:           4
        .value_kind:     hidden_dynamic_lds_size
    .group_segment_fixed_size: 0
    .kernarg_segment_align: 8
    .kernarg_segment_size: 320
    .language:       OpenCL C
    .language_version:
      - 2
      - 0
    .max_flat_workgroup_size: 1024
    .name:           _ZN5aiter19grouped_topk_kernelIN3c108BFloat16EDv1_fLi4ELb1ELb0ELb0EEEvPT_PKS4_PfPimiiiif
    .private_segment_fixed_size: 0
    .sgpr_count:     28
    .sgpr_spill_count: 0
    .symbol:         _ZN5aiter19grouped_topk_kernelIN3c108BFloat16EDv1_fLi4ELb1ELb0ELb0EEEvPT_PKS4_PfPimiiiif.kd
    .uniform_work_group_size: 1
    .uses_dynamic_stack: false
    .vgpr_count:     12
    .vgpr_spill_count: 0
    .wavefront_size: 64
  - .agpr_count:     0
    .args:
      - .actual_access:  read_only
        .address_space:  global
        .offset:         0
        .size:           8
        .value_kind:     global_buffer
      - .actual_access:  read_only
        .address_space:  global
        .offset:         8
        .size:           8
        .value_kind:     global_buffer
      - .actual_access:  read_only
        .address_space:  global
        .offset:         16
        .size:           8
        .value_kind:     global_buffer
      - .actual_access:  read_only
        .address_space:  global
        .offset:         24
        .size:           8
        .value_kind:     global_buffer
      - .offset:         32
        .size:           8
        .value_kind:     by_value
      - .offset:         40
        .size:           4
        .value_kind:     by_value
      - .offset:         44
        .size:           4
        .value_kind:     by_value
      - .offset:         48
        .size:           4
        .value_kind:     by_value
      - .offset:         52
        .size:           4
        .value_kind:     by_value
      - .offset:         56
        .size:           4
        .value_kind:     by_value
    .group_segment_fixed_size: 0
    .kernarg_segment_align: 8
    .kernarg_segment_size: 60
    .language:       OpenCL C
    .language_version:
      - 2
      - 0
    .max_flat_workgroup_size: 1024
    .name:           _ZN5aiter28grouped_topk_opt_sort_kernelIfDv1_fLi4ELb0ELb1ELb0EEEvPT_PKS2_PfPimiiiif
    .private_segment_fixed_size: 0
    .sgpr_count:     13
    .sgpr_spill_count: 0
    .symbol:         _ZN5aiter28grouped_topk_opt_sort_kernelIfDv1_fLi4ELb0ELb1ELb0EEEvPT_PKS2_PfPimiiiif.kd
    .uniform_work_group_size: 1
    .uses_dynamic_stack: false
    .vgpr_count:     14
    .vgpr_spill_count: 0
    .wavefront_size: 64
  - .agpr_count:     0
    .args:
      - .actual_access:  read_only
        .address_space:  global
        .offset:         0
        .size:           8
        .value_kind:     global_buffer
      - .actual_access:  read_only
        .address_space:  global
        .offset:         8
        .size:           8
        .value_kind:     global_buffer
      - .actual_access:  read_only
        .address_space:  global
        .offset:         16
        .size:           8
        .value_kind:     global_buffer
      - .actual_access:  read_only
        .address_space:  global
        .offset:         24
        .size:           8
        .value_kind:     global_buffer
      - .offset:         32
        .size:           8
        .value_kind:     by_value
      - .offset:         40
        .size:           4
        .value_kind:     by_value
      - .offset:         44
        .size:           4
        .value_kind:     by_value
      - .offset:         48
        .size:           4
        .value_kind:     by_value
      - .offset:         52
        .size:           4
        .value_kind:     by_value
      - .offset:         56
        .size:           4
        .value_kind:     by_value
    .group_segment_fixed_size: 0
    .kernarg_segment_align: 8
    .kernarg_segment_size: 60
    .language:       OpenCL C
    .language_version:
      - 2
      - 0
    .max_flat_workgroup_size: 1024
    .name:           _ZN5aiter28grouped_topk_opt_sort_kernelIN3c104HalfEDv1_fLi4ELb0ELb1ELb0EEEvPT_PKS4_PfPimiiiif
    .private_segment_fixed_size: 0
    .sgpr_count:     13
    .sgpr_spill_count: 0
    .symbol:         _ZN5aiter28grouped_topk_opt_sort_kernelIN3c104HalfEDv1_fLi4ELb0ELb1ELb0EEEvPT_PKS4_PfPimiiiif.kd
    .uniform_work_group_size: 1
    .uses_dynamic_stack: false
    .vgpr_count:     13
    .vgpr_spill_count: 0
    .wavefront_size: 64
  - .agpr_count:     0
    .args:
      - .actual_access:  read_only
        .address_space:  global
        .offset:         0
        .size:           8
        .value_kind:     global_buffer
      - .actual_access:  read_only
        .address_space:  global
        .offset:         8
        .size:           8
        .value_kind:     global_buffer
      - .actual_access:  read_only
        .address_space:  global
        .offset:         16
        .size:           8
        .value_kind:     global_buffer
      - .actual_access:  read_only
        .address_space:  global
        .offset:         24
        .size:           8
        .value_kind:     global_buffer
      - .offset:         32
        .size:           8
        .value_kind:     by_value
      - .offset:         40
        .size:           4
        .value_kind:     by_value
      - .offset:         44
        .size:           4
        .value_kind:     by_value
      - .offset:         48
        .size:           4
        .value_kind:     by_value
      - .offset:         52
        .size:           4
        .value_kind:     by_value
      - .offset:         56
        .size:           4
        .value_kind:     by_value
    .group_segment_fixed_size: 0
    .kernarg_segment_align: 8
    .kernarg_segment_size: 60
    .language:       OpenCL C
    .language_version:
      - 2
      - 0
    .max_flat_workgroup_size: 1024
    .name:           _ZN5aiter28grouped_topk_opt_sort_kernelIN3c108BFloat16EDv1_fLi4ELb0ELb1ELb0EEEvPT_PKS4_PfPimiiiif
    .private_segment_fixed_size: 0
    .sgpr_count:     13
    .sgpr_spill_count: 0
    .symbol:         _ZN5aiter28grouped_topk_opt_sort_kernelIN3c108BFloat16EDv1_fLi4ELb0ELb1ELb0EEEvPT_PKS4_PfPimiiiif.kd
    .uniform_work_group_size: 1
    .uses_dynamic_stack: false
    .vgpr_count:     13
    .vgpr_spill_count: 0
    .wavefront_size: 64
  - .agpr_count:     0
    .args:
      - .actual_access:  read_only
        .address_space:  global
        .offset:         0
        .size:           8
        .value_kind:     global_buffer
      - .actual_access:  read_only
        .address_space:  global
        .offset:         8
        .size:           8
        .value_kind:     global_buffer
      - .actual_access:  write_only
        .address_space:  global
        .offset:         16
        .size:           8
        .value_kind:     global_buffer
      - .actual_access:  write_only
        .address_space:  global
        .offset:         24
        .size:           8
        .value_kind:     global_buffer
      - .offset:         32
        .size:           8
        .value_kind:     by_value
      - .offset:         40
        .size:           4
        .value_kind:     by_value
      - .offset:         44
        .size:           4
        .value_kind:     by_value
      - .offset:         48
        .size:           4
        .value_kind:     by_value
      - .offset:         52
        .size:           4
        .value_kind:     by_value
      - .offset:         56
        .size:           4
        .value_kind:     by_value
      - .offset:         64
        .size:           4
        .value_kind:     hidden_block_count_x
      - .offset:         68
        .size:           4
        .value_kind:     hidden_block_count_y
      - .offset:         72
        .size:           4
        .value_kind:     hidden_block_count_z
      - .offset:         76
        .size:           2
        .value_kind:     hidden_group_size_x
      - .offset:         78
        .size:           2
        .value_kind:     hidden_group_size_y
      - .offset:         80
        .size:           2
        .value_kind:     hidden_group_size_z
      - .offset:         82
        .size:           2
        .value_kind:     hidden_remainder_x
      - .offset:         84
        .size:           2
        .value_kind:     hidden_remainder_y
      - .offset:         86
        .size:           2
        .value_kind:     hidden_remainder_z
      - .offset:         104
        .size:           8
        .value_kind:     hidden_global_offset_x
      - .offset:         112
        .size:           8
        .value_kind:     hidden_global_offset_y
      - .offset:         120
        .size:           8
        .value_kind:     hidden_global_offset_z
      - .offset:         128
        .size:           2
        .value_kind:     hidden_grid_dims
      - .offset:         184
        .size:           4
        .value_kind:     hidden_dynamic_lds_size
    .group_segment_fixed_size: 0
    .kernarg_segment_align: 8
    .kernarg_segment_size: 320
    .language:       OpenCL C
    .language_version:
      - 2
      - 0
    .max_flat_workgroup_size: 1024
    .name:           _ZN5aiter19grouped_topk_kernelIfDv1_fLi4ELb0ELb1ELb0EEEvPT_PKS2_PfPimiiiif
    .private_segment_fixed_size: 0
    .sgpr_count:     34
    .sgpr_spill_count: 0
    .symbol:         _ZN5aiter19grouped_topk_kernelIfDv1_fLi4ELb0ELb1ELb0EEEvPT_PKS2_PfPimiiiif.kd
    .uniform_work_group_size: 1
    .uses_dynamic_stack: false
    .vgpr_count:     14
    .vgpr_spill_count: 0
    .wavefront_size: 64
  - .agpr_count:     0
    .args:
      - .actual_access:  read_only
        .address_space:  global
        .offset:         0
        .size:           8
        .value_kind:     global_buffer
      - .actual_access:  read_only
        .address_space:  global
        .offset:         8
        .size:           8
        .value_kind:     global_buffer
      - .actual_access:  write_only
        .address_space:  global
        .offset:         16
        .size:           8
        .value_kind:     global_buffer
      - .actual_access:  write_only
        .address_space:  global
        .offset:         24
        .size:           8
        .value_kind:     global_buffer
      - .offset:         32
        .size:           8
        .value_kind:     by_value
      - .offset:         40
        .size:           4
        .value_kind:     by_value
      - .offset:         44
        .size:           4
        .value_kind:     by_value
      - .offset:         48
        .size:           4
        .value_kind:     by_value
      - .offset:         52
        .size:           4
        .value_kind:     by_value
      - .offset:         56
        .size:           4
        .value_kind:     by_value
      - .offset:         64
        .size:           4
        .value_kind:     hidden_block_count_x
      - .offset:         68
        .size:           4
        .value_kind:     hidden_block_count_y
      - .offset:         72
        .size:           4
        .value_kind:     hidden_block_count_z
      - .offset:         76
        .size:           2
        .value_kind:     hidden_group_size_x
      - .offset:         78
        .size:           2
        .value_kind:     hidden_group_size_y
      - .offset:         80
        .size:           2
        .value_kind:     hidden_group_size_z
      - .offset:         82
        .size:           2
        .value_kind:     hidden_remainder_x
      - .offset:         84
        .size:           2
        .value_kind:     hidden_remainder_y
      - .offset:         86
        .size:           2
        .value_kind:     hidden_remainder_z
      - .offset:         104
        .size:           8
        .value_kind:     hidden_global_offset_x
      - .offset:         112
        .size:           8
        .value_kind:     hidden_global_offset_y
      - .offset:         120
        .size:           8
        .value_kind:     hidden_global_offset_z
      - .offset:         128
        .size:           2
        .value_kind:     hidden_grid_dims
      - .offset:         184
        .size:           4
        .value_kind:     hidden_dynamic_lds_size
    .group_segment_fixed_size: 0
    .kernarg_segment_align: 8
    .kernarg_segment_size: 320
    .language:       OpenCL C
    .language_version:
      - 2
      - 0
    .max_flat_workgroup_size: 1024
    .name:           _ZN5aiter19grouped_topk_kernelIN3c104HalfEDv1_fLi4ELb0ELb1ELb0EEEvPT_PKS4_PfPimiiiif
    .private_segment_fixed_size: 0
    .sgpr_count:     34
    .sgpr_spill_count: 0
    .symbol:         _ZN5aiter19grouped_topk_kernelIN3c104HalfEDv1_fLi4ELb0ELb1ELb0EEEvPT_PKS4_PfPimiiiif.kd
    .uniform_work_group_size: 1
    .uses_dynamic_stack: false
    .vgpr_count:     14
    .vgpr_spill_count: 0
    .wavefront_size: 64
  - .agpr_count:     0
    .args:
      - .actual_access:  read_only
        .address_space:  global
        .offset:         0
        .size:           8
        .value_kind:     global_buffer
      - .actual_access:  read_only
        .address_space:  global
        .offset:         8
        .size:           8
        .value_kind:     global_buffer
      - .actual_access:  write_only
        .address_space:  global
        .offset:         16
        .size:           8
        .value_kind:     global_buffer
      - .actual_access:  write_only
        .address_space:  global
        .offset:         24
        .size:           8
        .value_kind:     global_buffer
      - .offset:         32
        .size:           8
        .value_kind:     by_value
      - .offset:         40
        .size:           4
        .value_kind:     by_value
      - .offset:         44
        .size:           4
        .value_kind:     by_value
      - .offset:         48
        .size:           4
        .value_kind:     by_value
      - .offset:         52
        .size:           4
        .value_kind:     by_value
      - .offset:         56
        .size:           4
        .value_kind:     by_value
      - .offset:         64
        .size:           4
        .value_kind:     hidden_block_count_x
      - .offset:         68
        .size:           4
        .value_kind:     hidden_block_count_y
      - .offset:         72
        .size:           4
        .value_kind:     hidden_block_count_z
      - .offset:         76
        .size:           2
        .value_kind:     hidden_group_size_x
      - .offset:         78
        .size:           2
        .value_kind:     hidden_group_size_y
      - .offset:         80
        .size:           2
        .value_kind:     hidden_group_size_z
      - .offset:         82
        .size:           2
        .value_kind:     hidden_remainder_x
      - .offset:         84
        .size:           2
        .value_kind:     hidden_remainder_y
      - .offset:         86
        .size:           2
        .value_kind:     hidden_remainder_z
      - .offset:         104
        .size:           8
        .value_kind:     hidden_global_offset_x
      - .offset:         112
        .size:           8
        .value_kind:     hidden_global_offset_y
      - .offset:         120
        .size:           8
        .value_kind:     hidden_global_offset_z
      - .offset:         128
        .size:           2
        .value_kind:     hidden_grid_dims
      - .offset:         184
        .size:           4
        .value_kind:     hidden_dynamic_lds_size
    .group_segment_fixed_size: 0
    .kernarg_segment_align: 8
    .kernarg_segment_size: 320
    .language:       OpenCL C
    .language_version:
      - 2
      - 0
    .max_flat_workgroup_size: 1024
    .name:           _ZN5aiter19grouped_topk_kernelIN3c108BFloat16EDv1_fLi4ELb0ELb1ELb0EEEvPT_PKS4_PfPimiiiif
    .private_segment_fixed_size: 0
    .sgpr_count:     34
    .sgpr_spill_count: 0
    .symbol:         _ZN5aiter19grouped_topk_kernelIN3c108BFloat16EDv1_fLi4ELb0ELb1ELb0EEEvPT_PKS4_PfPimiiiif.kd
    .uniform_work_group_size: 1
    .uses_dynamic_stack: false
    .vgpr_count:     14
    .vgpr_spill_count: 0
    .wavefront_size: 64
  - .agpr_count:     0
    .args:
      - .actual_access:  read_only
        .address_space:  global
        .offset:         0
        .size:           8
        .value_kind:     global_buffer
      - .actual_access:  read_only
        .address_space:  global
        .offset:         8
        .size:           8
        .value_kind:     global_buffer
      - .actual_access:  write_only
        .address_space:  global
        .offset:         16
        .size:           8
        .value_kind:     global_buffer
      - .actual_access:  write_only
        .address_space:  global
        .offset:         24
        .size:           8
        .value_kind:     global_buffer
      - .offset:         32
        .size:           8
        .value_kind:     by_value
      - .offset:         40
        .size:           4
        .value_kind:     by_value
      - .offset:         44
        .size:           4
        .value_kind:     by_value
      - .offset:         48
        .size:           4
        .value_kind:     by_value
      - .offset:         52
        .size:           4
        .value_kind:     by_value
      - .offset:         56
        .size:           4
        .value_kind:     by_value
      - .offset:         64
        .size:           4
        .value_kind:     hidden_block_count_x
      - .offset:         68
        .size:           4
        .value_kind:     hidden_block_count_y
      - .offset:         72
        .size:           4
        .value_kind:     hidden_block_count_z
      - .offset:         76
        .size:           2
        .value_kind:     hidden_group_size_x
      - .offset:         78
        .size:           2
        .value_kind:     hidden_group_size_y
      - .offset:         80
        .size:           2
        .value_kind:     hidden_group_size_z
      - .offset:         82
        .size:           2
        .value_kind:     hidden_remainder_x
      - .offset:         84
        .size:           2
        .value_kind:     hidden_remainder_y
      - .offset:         86
        .size:           2
        .value_kind:     hidden_remainder_z
      - .offset:         104
        .size:           8
        .value_kind:     hidden_global_offset_x
      - .offset:         112
        .size:           8
        .value_kind:     hidden_global_offset_y
      - .offset:         120
        .size:           8
        .value_kind:     hidden_global_offset_z
      - .offset:         128
        .size:           2
        .value_kind:     hidden_grid_dims
      - .offset:         184
        .size:           4
        .value_kind:     hidden_dynamic_lds_size
    .group_segment_fixed_size: 0
    .kernarg_segment_align: 8
    .kernarg_segment_size: 320
    .language:       OpenCL C
    .language_version:
      - 2
      - 0
    .max_flat_workgroup_size: 1024
    .name:           _ZN5aiter19grouped_topk_kernelIfDv1_fLi4ELb0ELb0ELb1EEEvPT_PKS2_PfPimiiiif
    .private_segment_fixed_size: 0
    .sgpr_count:     28
    .sgpr_spill_count: 0
    .symbol:         _ZN5aiter19grouped_topk_kernelIfDv1_fLi4ELb0ELb0ELb1EEEvPT_PKS2_PfPimiiiif.kd
    .uniform_work_group_size: 1
    .uses_dynamic_stack: false
    .vgpr_count:     12
    .vgpr_spill_count: 0
    .wavefront_size: 64
  - .agpr_count:     0
    .args:
      - .actual_access:  read_only
        .address_space:  global
        .offset:         0
        .size:           8
        .value_kind:     global_buffer
      - .actual_access:  read_only
        .address_space:  global
        .offset:         8
        .size:           8
        .value_kind:     global_buffer
      - .actual_access:  write_only
        .address_space:  global
        .offset:         16
        .size:           8
        .value_kind:     global_buffer
      - .actual_access:  write_only
        .address_space:  global
        .offset:         24
        .size:           8
        .value_kind:     global_buffer
      - .offset:         32
        .size:           8
        .value_kind:     by_value
      - .offset:         40
        .size:           4
        .value_kind:     by_value
      - .offset:         44
        .size:           4
        .value_kind:     by_value
      - .offset:         48
        .size:           4
        .value_kind:     by_value
      - .offset:         52
        .size:           4
        .value_kind:     by_value
      - .offset:         56
        .size:           4
        .value_kind:     by_value
      - .offset:         64
        .size:           4
        .value_kind:     hidden_block_count_x
      - .offset:         68
        .size:           4
        .value_kind:     hidden_block_count_y
      - .offset:         72
        .size:           4
        .value_kind:     hidden_block_count_z
      - .offset:         76
        .size:           2
        .value_kind:     hidden_group_size_x
      - .offset:         78
        .size:           2
        .value_kind:     hidden_group_size_y
      - .offset:         80
        .size:           2
        .value_kind:     hidden_group_size_z
      - .offset:         82
        .size:           2
        .value_kind:     hidden_remainder_x
      - .offset:         84
        .size:           2
        .value_kind:     hidden_remainder_y
      - .offset:         86
        .size:           2
        .value_kind:     hidden_remainder_z
      - .offset:         104
        .size:           8
        .value_kind:     hidden_global_offset_x
      - .offset:         112
        .size:           8
        .value_kind:     hidden_global_offset_y
      - .offset:         120
        .size:           8
        .value_kind:     hidden_global_offset_z
      - .offset:         128
        .size:           2
        .value_kind:     hidden_grid_dims
      - .offset:         184
        .size:           4
        .value_kind:     hidden_dynamic_lds_size
    .group_segment_fixed_size: 0
    .kernarg_segment_align: 8
    .kernarg_segment_size: 320
    .language:       OpenCL C
    .language_version:
      - 2
      - 0
    .max_flat_workgroup_size: 1024
    .name:           _ZN5aiter19grouped_topk_kernelIN3c104HalfEDv1_fLi4ELb0ELb0ELb1EEEvPT_PKS4_PfPimiiiif
    .private_segment_fixed_size: 0
    .sgpr_count:     28
    .sgpr_spill_count: 0
    .symbol:         _ZN5aiter19grouped_topk_kernelIN3c104HalfEDv1_fLi4ELb0ELb0ELb1EEEvPT_PKS4_PfPimiiiif.kd
    .uniform_work_group_size: 1
    .uses_dynamic_stack: false
    .vgpr_count:     12
    .vgpr_spill_count: 0
    .wavefront_size: 64
  - .agpr_count:     0
    .args:
      - .actual_access:  read_only
        .address_space:  global
        .offset:         0
        .size:           8
        .value_kind:     global_buffer
      - .actual_access:  read_only
        .address_space:  global
        .offset:         8
        .size:           8
        .value_kind:     global_buffer
      - .actual_access:  write_only
        .address_space:  global
        .offset:         16
        .size:           8
        .value_kind:     global_buffer
      - .actual_access:  write_only
        .address_space:  global
        .offset:         24
        .size:           8
        .value_kind:     global_buffer
      - .offset:         32
        .size:           8
        .value_kind:     by_value
      - .offset:         40
        .size:           4
        .value_kind:     by_value
      - .offset:         44
        .size:           4
        .value_kind:     by_value
      - .offset:         48
        .size:           4
        .value_kind:     by_value
      - .offset:         52
        .size:           4
        .value_kind:     by_value
      - .offset:         56
        .size:           4
        .value_kind:     by_value
      - .offset:         64
        .size:           4
        .value_kind:     hidden_block_count_x
      - .offset:         68
        .size:           4
        .value_kind:     hidden_block_count_y
      - .offset:         72
        .size:           4
        .value_kind:     hidden_block_count_z
      - .offset:         76
        .size:           2
        .value_kind:     hidden_group_size_x
      - .offset:         78
        .size:           2
        .value_kind:     hidden_group_size_y
      - .offset:         80
        .size:           2
        .value_kind:     hidden_group_size_z
      - .offset:         82
        .size:           2
        .value_kind:     hidden_remainder_x
      - .offset:         84
        .size:           2
        .value_kind:     hidden_remainder_y
      - .offset:         86
        .size:           2
        .value_kind:     hidden_remainder_z
      - .offset:         104
        .size:           8
        .value_kind:     hidden_global_offset_x
      - .offset:         112
        .size:           8
        .value_kind:     hidden_global_offset_y
      - .offset:         120
        .size:           8
        .value_kind:     hidden_global_offset_z
      - .offset:         128
        .size:           2
        .value_kind:     hidden_grid_dims
      - .offset:         184
        .size:           4
        .value_kind:     hidden_dynamic_lds_size
    .group_segment_fixed_size: 0
    .kernarg_segment_align: 8
    .kernarg_segment_size: 320
    .language:       OpenCL C
    .language_version:
      - 2
      - 0
    .max_flat_workgroup_size: 1024
    .name:           _ZN5aiter19grouped_topk_kernelIN3c108BFloat16EDv1_fLi4ELb0ELb0ELb1EEEvPT_PKS4_PfPimiiiif
    .private_segment_fixed_size: 0
    .sgpr_count:     28
    .sgpr_spill_count: 0
    .symbol:         _ZN5aiter19grouped_topk_kernelIN3c108BFloat16EDv1_fLi4ELb0ELb0ELb1EEEvPT_PKS4_PfPimiiiif.kd
    .uniform_work_group_size: 1
    .uses_dynamic_stack: false
    .vgpr_count:     12
    .vgpr_spill_count: 0
    .wavefront_size: 64
  - .agpr_count:     0
    .args:
      - .actual_access:  read_only
        .address_space:  global
        .offset:         0
        .size:           8
        .value_kind:     global_buffer
      - .actual_access:  read_only
        .address_space:  global
        .offset:         8
        .size:           8
        .value_kind:     global_buffer
      - .actual_access:  write_only
        .address_space:  global
        .offset:         16
        .size:           8
        .value_kind:     global_buffer
      - .actual_access:  write_only
        .address_space:  global
        .offset:         24
        .size:           8
        .value_kind:     global_buffer
      - .offset:         32
        .size:           8
        .value_kind:     by_value
      - .offset:         40
        .size:           4
        .value_kind:     by_value
      - .offset:         44
        .size:           4
        .value_kind:     by_value
      - .offset:         48
        .size:           4
        .value_kind:     by_value
      - .offset:         52
        .size:           4
        .value_kind:     by_value
      - .offset:         56
        .size:           4
        .value_kind:     by_value
      - .offset:         64
        .size:           4
        .value_kind:     hidden_block_count_x
      - .offset:         68
        .size:           4
        .value_kind:     hidden_block_count_y
      - .offset:         72
        .size:           4
        .value_kind:     hidden_block_count_z
      - .offset:         76
        .size:           2
        .value_kind:     hidden_group_size_x
      - .offset:         78
        .size:           2
        .value_kind:     hidden_group_size_y
      - .offset:         80
        .size:           2
        .value_kind:     hidden_group_size_z
      - .offset:         82
        .size:           2
        .value_kind:     hidden_remainder_x
      - .offset:         84
        .size:           2
        .value_kind:     hidden_remainder_y
      - .offset:         86
        .size:           2
        .value_kind:     hidden_remainder_z
      - .offset:         104
        .size:           8
        .value_kind:     hidden_global_offset_x
      - .offset:         112
        .size:           8
        .value_kind:     hidden_global_offset_y
      - .offset:         120
        .size:           8
        .value_kind:     hidden_global_offset_z
      - .offset:         128
        .size:           2
        .value_kind:     hidden_grid_dims
      - .offset:         184
        .size:           4
        .value_kind:     hidden_dynamic_lds_size
    .group_segment_fixed_size: 0
    .kernarg_segment_align: 8
    .kernarg_segment_size: 320
    .language:       OpenCL C
    .language_version:
      - 2
      - 0
    .max_flat_workgroup_size: 1024
    .name:           _ZN5aiter19grouped_topk_kernelIfDv1_fLi4ELb0ELb0ELb0EEEvPT_PKS2_PfPimiiiif
    .private_segment_fixed_size: 0
    .sgpr_count:     28
    .sgpr_spill_count: 0
    .symbol:         _ZN5aiter19grouped_topk_kernelIfDv1_fLi4ELb0ELb0ELb0EEEvPT_PKS2_PfPimiiiif.kd
    .uniform_work_group_size: 1
    .uses_dynamic_stack: false
    .vgpr_count:     12
    .vgpr_spill_count: 0
    .wavefront_size: 64
  - .agpr_count:     0
    .args:
      - .actual_access:  read_only
        .address_space:  global
        .offset:         0
        .size:           8
        .value_kind:     global_buffer
      - .actual_access:  read_only
        .address_space:  global
        .offset:         8
        .size:           8
        .value_kind:     global_buffer
      - .actual_access:  write_only
        .address_space:  global
        .offset:         16
        .size:           8
        .value_kind:     global_buffer
      - .actual_access:  write_only
        .address_space:  global
        .offset:         24
        .size:           8
        .value_kind:     global_buffer
      - .offset:         32
        .size:           8
        .value_kind:     by_value
      - .offset:         40
        .size:           4
        .value_kind:     by_value
      - .offset:         44
        .size:           4
        .value_kind:     by_value
      - .offset:         48
        .size:           4
        .value_kind:     by_value
      - .offset:         52
        .size:           4
        .value_kind:     by_value
      - .offset:         56
        .size:           4
        .value_kind:     by_value
      - .offset:         64
        .size:           4
        .value_kind:     hidden_block_count_x
      - .offset:         68
        .size:           4
        .value_kind:     hidden_block_count_y
      - .offset:         72
        .size:           4
        .value_kind:     hidden_block_count_z
      - .offset:         76
        .size:           2
        .value_kind:     hidden_group_size_x
      - .offset:         78
        .size:           2
        .value_kind:     hidden_group_size_y
      - .offset:         80
        .size:           2
        .value_kind:     hidden_group_size_z
      - .offset:         82
        .size:           2
        .value_kind:     hidden_remainder_x
      - .offset:         84
        .size:           2
        .value_kind:     hidden_remainder_y
      - .offset:         86
        .size:           2
        .value_kind:     hidden_remainder_z
      - .offset:         104
        .size:           8
        .value_kind:     hidden_global_offset_x
      - .offset:         112
        .size:           8
        .value_kind:     hidden_global_offset_y
      - .offset:         120
        .size:           8
        .value_kind:     hidden_global_offset_z
      - .offset:         128
        .size:           2
        .value_kind:     hidden_grid_dims
      - .offset:         184
        .size:           4
        .value_kind:     hidden_dynamic_lds_size
    .group_segment_fixed_size: 0
    .kernarg_segment_align: 8
    .kernarg_segment_size: 320
    .language:       OpenCL C
    .language_version:
      - 2
      - 0
    .max_flat_workgroup_size: 1024
    .name:           _ZN5aiter19grouped_topk_kernelIN3c104HalfEDv1_fLi4ELb0ELb0ELb0EEEvPT_PKS4_PfPimiiiif
    .private_segment_fixed_size: 0
    .sgpr_count:     30
    .sgpr_spill_count: 0
    .symbol:         _ZN5aiter19grouped_topk_kernelIN3c104HalfEDv1_fLi4ELb0ELb0ELb0EEEvPT_PKS4_PfPimiiiif.kd
    .uniform_work_group_size: 1
    .uses_dynamic_stack: false
    .vgpr_count:     12
    .vgpr_spill_count: 0
    .wavefront_size: 64
  - .agpr_count:     0
    .args:
      - .actual_access:  read_only
        .address_space:  global
        .offset:         0
        .size:           8
        .value_kind:     global_buffer
      - .actual_access:  read_only
        .address_space:  global
        .offset:         8
        .size:           8
        .value_kind:     global_buffer
      - .actual_access:  write_only
        .address_space:  global
        .offset:         16
        .size:           8
        .value_kind:     global_buffer
      - .actual_access:  write_only
        .address_space:  global
        .offset:         24
        .size:           8
        .value_kind:     global_buffer
      - .offset:         32
        .size:           8
        .value_kind:     by_value
      - .offset:         40
        .size:           4
        .value_kind:     by_value
      - .offset:         44
        .size:           4
        .value_kind:     by_value
      - .offset:         48
        .size:           4
        .value_kind:     by_value
      - .offset:         52
        .size:           4
        .value_kind:     by_value
      - .offset:         56
        .size:           4
        .value_kind:     by_value
      - .offset:         64
        .size:           4
        .value_kind:     hidden_block_count_x
      - .offset:         68
        .size:           4
        .value_kind:     hidden_block_count_y
      - .offset:         72
        .size:           4
        .value_kind:     hidden_block_count_z
      - .offset:         76
        .size:           2
        .value_kind:     hidden_group_size_x
      - .offset:         78
        .size:           2
        .value_kind:     hidden_group_size_y
      - .offset:         80
        .size:           2
        .value_kind:     hidden_group_size_z
      - .offset:         82
        .size:           2
        .value_kind:     hidden_remainder_x
      - .offset:         84
        .size:           2
        .value_kind:     hidden_remainder_y
      - .offset:         86
        .size:           2
        .value_kind:     hidden_remainder_z
      - .offset:         104
        .size:           8
        .value_kind:     hidden_global_offset_x
      - .offset:         112
        .size:           8
        .value_kind:     hidden_global_offset_y
      - .offset:         120
        .size:           8
        .value_kind:     hidden_global_offset_z
      - .offset:         128
        .size:           2
        .value_kind:     hidden_grid_dims
      - .offset:         184
        .size:           4
        .value_kind:     hidden_dynamic_lds_size
    .group_segment_fixed_size: 0
    .kernarg_segment_align: 8
    .kernarg_segment_size: 320
    .language:       OpenCL C
    .language_version:
      - 2
      - 0
    .max_flat_workgroup_size: 1024
    .name:           _ZN5aiter19grouped_topk_kernelIN3c108BFloat16EDv1_fLi4ELb0ELb0ELb0EEEvPT_PKS4_PfPimiiiif
    .private_segment_fixed_size: 0
    .sgpr_count:     28
    .sgpr_spill_count: 0
    .symbol:         _ZN5aiter19grouped_topk_kernelIN3c108BFloat16EDv1_fLi4ELb0ELb0ELb0EEEvPT_PKS4_PfPimiiiif.kd
    .uniform_work_group_size: 1
    .uses_dynamic_stack: false
    .vgpr_count:     12
    .vgpr_spill_count: 0
    .wavefront_size: 64
  - .agpr_count:     0
    .args:
      - .actual_access:  read_only
        .address_space:  global
        .offset:         0
        .size:           8
        .value_kind:     global_buffer
      - .actual_access:  read_only
        .address_space:  global
        .offset:         8
        .size:           8
        .value_kind:     global_buffer
      - .actual_access:  read_only
        .address_space:  global
        .offset:         16
        .size:           8
        .value_kind:     global_buffer
      - .actual_access:  read_only
        .address_space:  global
        .offset:         24
        .size:           8
        .value_kind:     global_buffer
      - .offset:         32
        .size:           8
        .value_kind:     by_value
      - .offset:         40
        .size:           4
        .value_kind:     by_value
      - .offset:         44
        .size:           4
        .value_kind:     by_value
      - .offset:         48
        .size:           4
        .value_kind:     by_value
      - .offset:         52
        .size:           4
        .value_kind:     by_value
      - .offset:         56
        .size:           4
        .value_kind:     by_value
    .group_segment_fixed_size: 0
    .kernarg_segment_align: 8
    .kernarg_segment_size: 60
    .language:       OpenCL C
    .language_version:
      - 2
      - 0
    .max_flat_workgroup_size: 1024
    .name:           _ZN5aiter28grouped_topk_opt_sort_kernelIfDv1_fLi2ELb1ELb1ELb0EEEvPT_PKS2_PfPimiiiif
    .private_segment_fixed_size: 0
    .sgpr_count:     13
    .sgpr_spill_count: 0
    .symbol:         _ZN5aiter28grouped_topk_opt_sort_kernelIfDv1_fLi2ELb1ELb1ELb0EEEvPT_PKS2_PfPimiiiif.kd
    .uniform_work_group_size: 1
    .uses_dynamic_stack: false
    .vgpr_count:     10
    .vgpr_spill_count: 0
    .wavefront_size: 64
  - .agpr_count:     0
    .args:
      - .actual_access:  read_only
        .address_space:  global
        .offset:         0
        .size:           8
        .value_kind:     global_buffer
      - .actual_access:  read_only
        .address_space:  global
        .offset:         8
        .size:           8
        .value_kind:     global_buffer
      - .actual_access:  read_only
        .address_space:  global
        .offset:         16
        .size:           8
        .value_kind:     global_buffer
      - .actual_access:  read_only
        .address_space:  global
        .offset:         24
        .size:           8
        .value_kind:     global_buffer
      - .offset:         32
        .size:           8
        .value_kind:     by_value
      - .offset:         40
        .size:           4
        .value_kind:     by_value
      - .offset:         44
        .size:           4
        .value_kind:     by_value
      - .offset:         48
        .size:           4
        .value_kind:     by_value
      - .offset:         52
        .size:           4
        .value_kind:     by_value
      - .offset:         56
        .size:           4
        .value_kind:     by_value
    .group_segment_fixed_size: 0
    .kernarg_segment_align: 8
    .kernarg_segment_size: 60
    .language:       OpenCL C
    .language_version:
      - 2
      - 0
    .max_flat_workgroup_size: 1024
    .name:           _ZN5aiter28grouped_topk_opt_sort_kernelIN3c104HalfEDv1_fLi2ELb1ELb1ELb0EEEvPT_PKS4_PfPimiiiif
    .private_segment_fixed_size: 0
    .sgpr_count:     13
    .sgpr_spill_count: 0
    .symbol:         _ZN5aiter28grouped_topk_opt_sort_kernelIN3c104HalfEDv1_fLi2ELb1ELb1ELb0EEEvPT_PKS4_PfPimiiiif.kd
    .uniform_work_group_size: 1
    .uses_dynamic_stack: false
    .vgpr_count:     10
    .vgpr_spill_count: 0
    .wavefront_size: 64
  - .agpr_count:     0
    .args:
      - .actual_access:  read_only
        .address_space:  global
        .offset:         0
        .size:           8
        .value_kind:     global_buffer
      - .actual_access:  read_only
        .address_space:  global
        .offset:         8
        .size:           8
        .value_kind:     global_buffer
      - .actual_access:  read_only
        .address_space:  global
        .offset:         16
        .size:           8
        .value_kind:     global_buffer
      - .actual_access:  read_only
        .address_space:  global
        .offset:         24
        .size:           8
        .value_kind:     global_buffer
      - .offset:         32
        .size:           8
        .value_kind:     by_value
      - .offset:         40
        .size:           4
        .value_kind:     by_value
      - .offset:         44
        .size:           4
        .value_kind:     by_value
      - .offset:         48
        .size:           4
        .value_kind:     by_value
      - .offset:         52
        .size:           4
        .value_kind:     by_value
      - .offset:         56
        .size:           4
        .value_kind:     by_value
    .group_segment_fixed_size: 0
    .kernarg_segment_align: 8
    .kernarg_segment_size: 60
    .language:       OpenCL C
    .language_version:
      - 2
      - 0
    .max_flat_workgroup_size: 1024
    .name:           _ZN5aiter28grouped_topk_opt_sort_kernelIN3c108BFloat16EDv1_fLi2ELb1ELb1ELb0EEEvPT_PKS4_PfPimiiiif
    .private_segment_fixed_size: 0
    .sgpr_count:     13
    .sgpr_spill_count: 0
    .symbol:         _ZN5aiter28grouped_topk_opt_sort_kernelIN3c108BFloat16EDv1_fLi2ELb1ELb1ELb0EEEvPT_PKS4_PfPimiiiif.kd
    .uniform_work_group_size: 1
    .uses_dynamic_stack: false
    .vgpr_count:     10
    .vgpr_spill_count: 0
    .wavefront_size: 64
  - .agpr_count:     0
    .args:
      - .actual_access:  read_only
        .address_space:  global
        .offset:         0
        .size:           8
        .value_kind:     global_buffer
      - .actual_access:  read_only
        .address_space:  global
        .offset:         8
        .size:           8
        .value_kind:     global_buffer
      - .actual_access:  write_only
        .address_space:  global
        .offset:         16
        .size:           8
        .value_kind:     global_buffer
      - .actual_access:  write_only
        .address_space:  global
        .offset:         24
        .size:           8
        .value_kind:     global_buffer
      - .offset:         32
        .size:           8
        .value_kind:     by_value
      - .offset:         40
        .size:           4
        .value_kind:     by_value
      - .offset:         44
        .size:           4
        .value_kind:     by_value
      - .offset:         48
        .size:           4
        .value_kind:     by_value
      - .offset:         52
        .size:           4
        .value_kind:     by_value
      - .offset:         56
        .size:           4
        .value_kind:     by_value
      - .offset:         64
        .size:           4
        .value_kind:     hidden_block_count_x
      - .offset:         68
        .size:           4
        .value_kind:     hidden_block_count_y
      - .offset:         72
        .size:           4
        .value_kind:     hidden_block_count_z
      - .offset:         76
        .size:           2
        .value_kind:     hidden_group_size_x
      - .offset:         78
        .size:           2
        .value_kind:     hidden_group_size_y
      - .offset:         80
        .size:           2
        .value_kind:     hidden_group_size_z
      - .offset:         82
        .size:           2
        .value_kind:     hidden_remainder_x
      - .offset:         84
        .size:           2
        .value_kind:     hidden_remainder_y
      - .offset:         86
        .size:           2
        .value_kind:     hidden_remainder_z
      - .offset:         104
        .size:           8
        .value_kind:     hidden_global_offset_x
      - .offset:         112
        .size:           8
        .value_kind:     hidden_global_offset_y
      - .offset:         120
        .size:           8
        .value_kind:     hidden_global_offset_z
      - .offset:         128
        .size:           2
        .value_kind:     hidden_grid_dims
      - .offset:         184
        .size:           4
        .value_kind:     hidden_dynamic_lds_size
    .group_segment_fixed_size: 0
    .kernarg_segment_align: 8
    .kernarg_segment_size: 320
    .language:       OpenCL C
    .language_version:
      - 2
      - 0
    .max_flat_workgroup_size: 1024
    .name:           _ZN5aiter19grouped_topk_kernelIfDv1_fLi2ELb1ELb1ELb0EEEvPT_PKS2_PfPimiiiif
    .private_segment_fixed_size: 0
    .sgpr_count:     34
    .sgpr_spill_count: 0
    .symbol:         _ZN5aiter19grouped_topk_kernelIfDv1_fLi2ELb1ELb1ELb0EEEvPT_PKS2_PfPimiiiif.kd
    .uniform_work_group_size: 1
    .uses_dynamic_stack: false
    .vgpr_count:     14
    .vgpr_spill_count: 0
    .wavefront_size: 64
  - .agpr_count:     0
    .args:
      - .actual_access:  read_only
        .address_space:  global
        .offset:         0
        .size:           8
        .value_kind:     global_buffer
      - .actual_access:  read_only
        .address_space:  global
        .offset:         8
        .size:           8
        .value_kind:     global_buffer
      - .actual_access:  write_only
        .address_space:  global
        .offset:         16
        .size:           8
        .value_kind:     global_buffer
      - .actual_access:  write_only
        .address_space:  global
        .offset:         24
        .size:           8
        .value_kind:     global_buffer
      - .offset:         32
        .size:           8
        .value_kind:     by_value
      - .offset:         40
        .size:           4
        .value_kind:     by_value
      - .offset:         44
        .size:           4
        .value_kind:     by_value
      - .offset:         48
        .size:           4
        .value_kind:     by_value
      - .offset:         52
        .size:           4
        .value_kind:     by_value
      - .offset:         56
        .size:           4
        .value_kind:     by_value
      - .offset:         64
        .size:           4
        .value_kind:     hidden_block_count_x
      - .offset:         68
        .size:           4
        .value_kind:     hidden_block_count_y
      - .offset:         72
        .size:           4
        .value_kind:     hidden_block_count_z
      - .offset:         76
        .size:           2
        .value_kind:     hidden_group_size_x
      - .offset:         78
        .size:           2
        .value_kind:     hidden_group_size_y
      - .offset:         80
        .size:           2
        .value_kind:     hidden_group_size_z
      - .offset:         82
        .size:           2
        .value_kind:     hidden_remainder_x
      - .offset:         84
        .size:           2
        .value_kind:     hidden_remainder_y
      - .offset:         86
        .size:           2
        .value_kind:     hidden_remainder_z
      - .offset:         104
        .size:           8
        .value_kind:     hidden_global_offset_x
      - .offset:         112
        .size:           8
        .value_kind:     hidden_global_offset_y
      - .offset:         120
        .size:           8
        .value_kind:     hidden_global_offset_z
      - .offset:         128
        .size:           2
        .value_kind:     hidden_grid_dims
      - .offset:         184
        .size:           4
        .value_kind:     hidden_dynamic_lds_size
    .group_segment_fixed_size: 0
    .kernarg_segment_align: 8
    .kernarg_segment_size: 320
    .language:       OpenCL C
    .language_version:
      - 2
      - 0
    .max_flat_workgroup_size: 1024
    .name:           _ZN5aiter19grouped_topk_kernelIN3c104HalfEDv1_fLi2ELb1ELb1ELb0EEEvPT_PKS4_PfPimiiiif
    .private_segment_fixed_size: 0
    .sgpr_count:     34
    .sgpr_spill_count: 0
    .symbol:         _ZN5aiter19grouped_topk_kernelIN3c104HalfEDv1_fLi2ELb1ELb1ELb0EEEvPT_PKS4_PfPimiiiif.kd
    .uniform_work_group_size: 1
    .uses_dynamic_stack: false
    .vgpr_count:     14
    .vgpr_spill_count: 0
    .wavefront_size: 64
  - .agpr_count:     0
    .args:
      - .actual_access:  read_only
        .address_space:  global
        .offset:         0
        .size:           8
        .value_kind:     global_buffer
      - .actual_access:  read_only
        .address_space:  global
        .offset:         8
        .size:           8
        .value_kind:     global_buffer
      - .actual_access:  write_only
        .address_space:  global
        .offset:         16
        .size:           8
        .value_kind:     global_buffer
      - .actual_access:  write_only
        .address_space:  global
        .offset:         24
        .size:           8
        .value_kind:     global_buffer
      - .offset:         32
        .size:           8
        .value_kind:     by_value
      - .offset:         40
        .size:           4
        .value_kind:     by_value
      - .offset:         44
        .size:           4
        .value_kind:     by_value
      - .offset:         48
        .size:           4
        .value_kind:     by_value
      - .offset:         52
        .size:           4
        .value_kind:     by_value
      - .offset:         56
        .size:           4
        .value_kind:     by_value
      - .offset:         64
        .size:           4
        .value_kind:     hidden_block_count_x
      - .offset:         68
        .size:           4
        .value_kind:     hidden_block_count_y
      - .offset:         72
        .size:           4
        .value_kind:     hidden_block_count_z
      - .offset:         76
        .size:           2
        .value_kind:     hidden_group_size_x
      - .offset:         78
        .size:           2
        .value_kind:     hidden_group_size_y
      - .offset:         80
        .size:           2
        .value_kind:     hidden_group_size_z
      - .offset:         82
        .size:           2
        .value_kind:     hidden_remainder_x
      - .offset:         84
        .size:           2
        .value_kind:     hidden_remainder_y
      - .offset:         86
        .size:           2
        .value_kind:     hidden_remainder_z
      - .offset:         104
        .size:           8
        .value_kind:     hidden_global_offset_x
      - .offset:         112
        .size:           8
        .value_kind:     hidden_global_offset_y
      - .offset:         120
        .size:           8
        .value_kind:     hidden_global_offset_z
      - .offset:         128
        .size:           2
        .value_kind:     hidden_grid_dims
      - .offset:         184
        .size:           4
        .value_kind:     hidden_dynamic_lds_size
    .group_segment_fixed_size: 0
    .kernarg_segment_align: 8
    .kernarg_segment_size: 320
    .language:       OpenCL C
    .language_version:
      - 2
      - 0
    .max_flat_workgroup_size: 1024
    .name:           _ZN5aiter19grouped_topk_kernelIN3c108BFloat16EDv1_fLi2ELb1ELb1ELb0EEEvPT_PKS4_PfPimiiiif
    .private_segment_fixed_size: 0
    .sgpr_count:     34
    .sgpr_spill_count: 0
    .symbol:         _ZN5aiter19grouped_topk_kernelIN3c108BFloat16EDv1_fLi2ELb1ELb1ELb0EEEvPT_PKS4_PfPimiiiif.kd
    .uniform_work_group_size: 1
    .uses_dynamic_stack: false
    .vgpr_count:     14
    .vgpr_spill_count: 0
    .wavefront_size: 64
  - .agpr_count:     0
    .args:
      - .actual_access:  read_only
        .address_space:  global
        .offset:         0
        .size:           8
        .value_kind:     global_buffer
      - .actual_access:  read_only
        .address_space:  global
        .offset:         8
        .size:           8
        .value_kind:     global_buffer
      - .actual_access:  write_only
        .address_space:  global
        .offset:         16
        .size:           8
        .value_kind:     global_buffer
      - .actual_access:  write_only
        .address_space:  global
        .offset:         24
        .size:           8
        .value_kind:     global_buffer
      - .offset:         32
        .size:           8
        .value_kind:     by_value
      - .offset:         40
        .size:           4
        .value_kind:     by_value
      - .offset:         44
        .size:           4
        .value_kind:     by_value
      - .offset:         48
        .size:           4
        .value_kind:     by_value
      - .offset:         52
        .size:           4
        .value_kind:     by_value
      - .offset:         56
        .size:           4
        .value_kind:     by_value
      - .offset:         64
        .size:           4
        .value_kind:     hidden_block_count_x
      - .offset:         68
        .size:           4
        .value_kind:     hidden_block_count_y
      - .offset:         72
        .size:           4
        .value_kind:     hidden_block_count_z
      - .offset:         76
        .size:           2
        .value_kind:     hidden_group_size_x
      - .offset:         78
        .size:           2
        .value_kind:     hidden_group_size_y
      - .offset:         80
        .size:           2
        .value_kind:     hidden_group_size_z
      - .offset:         82
        .size:           2
        .value_kind:     hidden_remainder_x
      - .offset:         84
        .size:           2
        .value_kind:     hidden_remainder_y
      - .offset:         86
        .size:           2
        .value_kind:     hidden_remainder_z
      - .offset:         104
        .size:           8
        .value_kind:     hidden_global_offset_x
      - .offset:         112
        .size:           8
        .value_kind:     hidden_global_offset_y
      - .offset:         120
        .size:           8
        .value_kind:     hidden_global_offset_z
      - .offset:         128
        .size:           2
        .value_kind:     hidden_grid_dims
      - .offset:         184
        .size:           4
        .value_kind:     hidden_dynamic_lds_size
    .group_segment_fixed_size: 0
    .kernarg_segment_align: 8
    .kernarg_segment_size: 320
    .language:       OpenCL C
    .language_version:
      - 2
      - 0
    .max_flat_workgroup_size: 1024
    .name:           _ZN5aiter19grouped_topk_kernelIfDv1_fLi2ELb1ELb0ELb1EEEvPT_PKS2_PfPimiiiif
    .private_segment_fixed_size: 0
    .sgpr_count:     28
    .sgpr_spill_count: 0
    .symbol:         _ZN5aiter19grouped_topk_kernelIfDv1_fLi2ELb1ELb0ELb1EEEvPT_PKS2_PfPimiiiif.kd
    .uniform_work_group_size: 1
    .uses_dynamic_stack: false
    .vgpr_count:     12
    .vgpr_spill_count: 0
    .wavefront_size: 64
  - .agpr_count:     0
    .args:
      - .actual_access:  read_only
        .address_space:  global
        .offset:         0
        .size:           8
        .value_kind:     global_buffer
      - .actual_access:  read_only
        .address_space:  global
        .offset:         8
        .size:           8
        .value_kind:     global_buffer
      - .actual_access:  write_only
        .address_space:  global
        .offset:         16
        .size:           8
        .value_kind:     global_buffer
      - .actual_access:  write_only
        .address_space:  global
        .offset:         24
        .size:           8
        .value_kind:     global_buffer
      - .offset:         32
        .size:           8
        .value_kind:     by_value
      - .offset:         40
        .size:           4
        .value_kind:     by_value
      - .offset:         44
        .size:           4
        .value_kind:     by_value
      - .offset:         48
        .size:           4
        .value_kind:     by_value
      - .offset:         52
        .size:           4
        .value_kind:     by_value
      - .offset:         56
        .size:           4
        .value_kind:     by_value
      - .offset:         64
        .size:           4
        .value_kind:     hidden_block_count_x
      - .offset:         68
        .size:           4
        .value_kind:     hidden_block_count_y
      - .offset:         72
        .size:           4
        .value_kind:     hidden_block_count_z
      - .offset:         76
        .size:           2
        .value_kind:     hidden_group_size_x
      - .offset:         78
        .size:           2
        .value_kind:     hidden_group_size_y
      - .offset:         80
        .size:           2
        .value_kind:     hidden_group_size_z
      - .offset:         82
        .size:           2
        .value_kind:     hidden_remainder_x
      - .offset:         84
        .size:           2
        .value_kind:     hidden_remainder_y
      - .offset:         86
        .size:           2
        .value_kind:     hidden_remainder_z
      - .offset:         104
        .size:           8
        .value_kind:     hidden_global_offset_x
      - .offset:         112
        .size:           8
        .value_kind:     hidden_global_offset_y
      - .offset:         120
        .size:           8
        .value_kind:     hidden_global_offset_z
      - .offset:         128
        .size:           2
        .value_kind:     hidden_grid_dims
      - .offset:         184
        .size:           4
        .value_kind:     hidden_dynamic_lds_size
    .group_segment_fixed_size: 0
    .kernarg_segment_align: 8
    .kernarg_segment_size: 320
    .language:       OpenCL C
    .language_version:
      - 2
      - 0
    .max_flat_workgroup_size: 1024
    .name:           _ZN5aiter19grouped_topk_kernelIN3c104HalfEDv1_fLi2ELb1ELb0ELb1EEEvPT_PKS4_PfPimiiiif
    .private_segment_fixed_size: 0
    .sgpr_count:     28
    .sgpr_spill_count: 0
    .symbol:         _ZN5aiter19grouped_topk_kernelIN3c104HalfEDv1_fLi2ELb1ELb0ELb1EEEvPT_PKS4_PfPimiiiif.kd
    .uniform_work_group_size: 1
    .uses_dynamic_stack: false
    .vgpr_count:     12
    .vgpr_spill_count: 0
    .wavefront_size: 64
  - .agpr_count:     0
    .args:
      - .actual_access:  read_only
        .address_space:  global
        .offset:         0
        .size:           8
        .value_kind:     global_buffer
      - .actual_access:  read_only
        .address_space:  global
        .offset:         8
        .size:           8
        .value_kind:     global_buffer
      - .actual_access:  write_only
        .address_space:  global
        .offset:         16
        .size:           8
        .value_kind:     global_buffer
      - .actual_access:  write_only
        .address_space:  global
        .offset:         24
        .size:           8
        .value_kind:     global_buffer
      - .offset:         32
        .size:           8
        .value_kind:     by_value
      - .offset:         40
        .size:           4
        .value_kind:     by_value
      - .offset:         44
        .size:           4
        .value_kind:     by_value
      - .offset:         48
        .size:           4
        .value_kind:     by_value
      - .offset:         52
        .size:           4
        .value_kind:     by_value
      - .offset:         56
        .size:           4
        .value_kind:     by_value
      - .offset:         64
        .size:           4
        .value_kind:     hidden_block_count_x
      - .offset:         68
        .size:           4
        .value_kind:     hidden_block_count_y
      - .offset:         72
        .size:           4
        .value_kind:     hidden_block_count_z
      - .offset:         76
        .size:           2
        .value_kind:     hidden_group_size_x
      - .offset:         78
        .size:           2
        .value_kind:     hidden_group_size_y
      - .offset:         80
        .size:           2
        .value_kind:     hidden_group_size_z
      - .offset:         82
        .size:           2
        .value_kind:     hidden_remainder_x
      - .offset:         84
        .size:           2
        .value_kind:     hidden_remainder_y
      - .offset:         86
        .size:           2
        .value_kind:     hidden_remainder_z
      - .offset:         104
        .size:           8
        .value_kind:     hidden_global_offset_x
      - .offset:         112
        .size:           8
        .value_kind:     hidden_global_offset_y
      - .offset:         120
        .size:           8
        .value_kind:     hidden_global_offset_z
      - .offset:         128
        .size:           2
        .value_kind:     hidden_grid_dims
      - .offset:         184
        .size:           4
        .value_kind:     hidden_dynamic_lds_size
    .group_segment_fixed_size: 0
    .kernarg_segment_align: 8
    .kernarg_segment_size: 320
    .language:       OpenCL C
    .language_version:
      - 2
      - 0
    .max_flat_workgroup_size: 1024
    .name:           _ZN5aiter19grouped_topk_kernelIN3c108BFloat16EDv1_fLi2ELb1ELb0ELb1EEEvPT_PKS4_PfPimiiiif
    .private_segment_fixed_size: 0
    .sgpr_count:     28
    .sgpr_spill_count: 0
    .symbol:         _ZN5aiter19grouped_topk_kernelIN3c108BFloat16EDv1_fLi2ELb1ELb0ELb1EEEvPT_PKS4_PfPimiiiif.kd
    .uniform_work_group_size: 1
    .uses_dynamic_stack: false
    .vgpr_count:     12
    .vgpr_spill_count: 0
    .wavefront_size: 64
  - .agpr_count:     0
    .args:
      - .actual_access:  read_only
        .address_space:  global
        .offset:         0
        .size:           8
        .value_kind:     global_buffer
      - .actual_access:  read_only
        .address_space:  global
        .offset:         8
        .size:           8
        .value_kind:     global_buffer
      - .actual_access:  write_only
        .address_space:  global
        .offset:         16
        .size:           8
        .value_kind:     global_buffer
      - .actual_access:  write_only
        .address_space:  global
        .offset:         24
        .size:           8
        .value_kind:     global_buffer
      - .offset:         32
        .size:           8
        .value_kind:     by_value
      - .offset:         40
        .size:           4
        .value_kind:     by_value
      - .offset:         44
        .size:           4
        .value_kind:     by_value
      - .offset:         48
        .size:           4
        .value_kind:     by_value
      - .offset:         52
        .size:           4
        .value_kind:     by_value
      - .offset:         56
        .size:           4
        .value_kind:     by_value
      - .offset:         64
        .size:           4
        .value_kind:     hidden_block_count_x
      - .offset:         68
        .size:           4
        .value_kind:     hidden_block_count_y
      - .offset:         72
        .size:           4
        .value_kind:     hidden_block_count_z
      - .offset:         76
        .size:           2
        .value_kind:     hidden_group_size_x
      - .offset:         78
        .size:           2
        .value_kind:     hidden_group_size_y
      - .offset:         80
        .size:           2
        .value_kind:     hidden_group_size_z
      - .offset:         82
        .size:           2
        .value_kind:     hidden_remainder_x
      - .offset:         84
        .size:           2
        .value_kind:     hidden_remainder_y
      - .offset:         86
        .size:           2
        .value_kind:     hidden_remainder_z
      - .offset:         104
        .size:           8
        .value_kind:     hidden_global_offset_x
      - .offset:         112
        .size:           8
        .value_kind:     hidden_global_offset_y
      - .offset:         120
        .size:           8
        .value_kind:     hidden_global_offset_z
      - .offset:         128
        .size:           2
        .value_kind:     hidden_grid_dims
      - .offset:         184
        .size:           4
        .value_kind:     hidden_dynamic_lds_size
    .group_segment_fixed_size: 0
    .kernarg_segment_align: 8
    .kernarg_segment_size: 320
    .language:       OpenCL C
    .language_version:
      - 2
      - 0
    .max_flat_workgroup_size: 1024
    .name:           _ZN5aiter19grouped_topk_kernelIfDv1_fLi2ELb1ELb0ELb0EEEvPT_PKS2_PfPimiiiif
    .private_segment_fixed_size: 0
    .sgpr_count:     28
    .sgpr_spill_count: 0
    .symbol:         _ZN5aiter19grouped_topk_kernelIfDv1_fLi2ELb1ELb0ELb0EEEvPT_PKS2_PfPimiiiif.kd
    .uniform_work_group_size: 1
    .uses_dynamic_stack: false
    .vgpr_count:     12
    .vgpr_spill_count: 0
    .wavefront_size: 64
  - .agpr_count:     0
    .args:
      - .actual_access:  read_only
        .address_space:  global
        .offset:         0
        .size:           8
        .value_kind:     global_buffer
      - .actual_access:  read_only
        .address_space:  global
        .offset:         8
        .size:           8
        .value_kind:     global_buffer
      - .actual_access:  write_only
        .address_space:  global
        .offset:         16
        .size:           8
        .value_kind:     global_buffer
      - .actual_access:  write_only
        .address_space:  global
        .offset:         24
        .size:           8
        .value_kind:     global_buffer
      - .offset:         32
        .size:           8
        .value_kind:     by_value
      - .offset:         40
        .size:           4
        .value_kind:     by_value
      - .offset:         44
        .size:           4
        .value_kind:     by_value
      - .offset:         48
        .size:           4
        .value_kind:     by_value
      - .offset:         52
        .size:           4
        .value_kind:     by_value
      - .offset:         56
        .size:           4
        .value_kind:     by_value
      - .offset:         64
        .size:           4
        .value_kind:     hidden_block_count_x
      - .offset:         68
        .size:           4
        .value_kind:     hidden_block_count_y
      - .offset:         72
        .size:           4
        .value_kind:     hidden_block_count_z
      - .offset:         76
        .size:           2
        .value_kind:     hidden_group_size_x
      - .offset:         78
        .size:           2
        .value_kind:     hidden_group_size_y
      - .offset:         80
        .size:           2
        .value_kind:     hidden_group_size_z
      - .offset:         82
        .size:           2
        .value_kind:     hidden_remainder_x
      - .offset:         84
        .size:           2
        .value_kind:     hidden_remainder_y
      - .offset:         86
        .size:           2
        .value_kind:     hidden_remainder_z
      - .offset:         104
        .size:           8
        .value_kind:     hidden_global_offset_x
      - .offset:         112
        .size:           8
        .value_kind:     hidden_global_offset_y
      - .offset:         120
        .size:           8
        .value_kind:     hidden_global_offset_z
      - .offset:         128
        .size:           2
        .value_kind:     hidden_grid_dims
      - .offset:         184
        .size:           4
        .value_kind:     hidden_dynamic_lds_size
    .group_segment_fixed_size: 0
    .kernarg_segment_align: 8
    .kernarg_segment_size: 320
    .language:       OpenCL C
    .language_version:
      - 2
      - 0
    .max_flat_workgroup_size: 1024
    .name:           _ZN5aiter19grouped_topk_kernelIN3c104HalfEDv1_fLi2ELb1ELb0ELb0EEEvPT_PKS4_PfPimiiiif
    .private_segment_fixed_size: 0
    .sgpr_count:     30
    .sgpr_spill_count: 0
    .symbol:         _ZN5aiter19grouped_topk_kernelIN3c104HalfEDv1_fLi2ELb1ELb0ELb0EEEvPT_PKS4_PfPimiiiif.kd
    .uniform_work_group_size: 1
    .uses_dynamic_stack: false
    .vgpr_count:     12
    .vgpr_spill_count: 0
    .wavefront_size: 64
  - .agpr_count:     0
    .args:
      - .actual_access:  read_only
        .address_space:  global
        .offset:         0
        .size:           8
        .value_kind:     global_buffer
      - .actual_access:  read_only
        .address_space:  global
        .offset:         8
        .size:           8
        .value_kind:     global_buffer
      - .actual_access:  write_only
        .address_space:  global
        .offset:         16
        .size:           8
        .value_kind:     global_buffer
      - .actual_access:  write_only
        .address_space:  global
        .offset:         24
        .size:           8
        .value_kind:     global_buffer
      - .offset:         32
        .size:           8
        .value_kind:     by_value
      - .offset:         40
        .size:           4
        .value_kind:     by_value
      - .offset:         44
        .size:           4
        .value_kind:     by_value
      - .offset:         48
        .size:           4
        .value_kind:     by_value
      - .offset:         52
        .size:           4
        .value_kind:     by_value
      - .offset:         56
        .size:           4
        .value_kind:     by_value
      - .offset:         64
        .size:           4
        .value_kind:     hidden_block_count_x
      - .offset:         68
        .size:           4
        .value_kind:     hidden_block_count_y
      - .offset:         72
        .size:           4
        .value_kind:     hidden_block_count_z
      - .offset:         76
        .size:           2
        .value_kind:     hidden_group_size_x
      - .offset:         78
        .size:           2
        .value_kind:     hidden_group_size_y
      - .offset:         80
        .size:           2
        .value_kind:     hidden_group_size_z
      - .offset:         82
        .size:           2
        .value_kind:     hidden_remainder_x
      - .offset:         84
        .size:           2
        .value_kind:     hidden_remainder_y
      - .offset:         86
        .size:           2
        .value_kind:     hidden_remainder_z
      - .offset:         104
        .size:           8
        .value_kind:     hidden_global_offset_x
      - .offset:         112
        .size:           8
        .value_kind:     hidden_global_offset_y
      - .offset:         120
        .size:           8
        .value_kind:     hidden_global_offset_z
      - .offset:         128
        .size:           2
        .value_kind:     hidden_grid_dims
      - .offset:         184
        .size:           4
        .value_kind:     hidden_dynamic_lds_size
    .group_segment_fixed_size: 0
    .kernarg_segment_align: 8
    .kernarg_segment_size: 320
    .language:       OpenCL C
    .language_version:
      - 2
      - 0
    .max_flat_workgroup_size: 1024
    .name:           _ZN5aiter19grouped_topk_kernelIN3c108BFloat16EDv1_fLi2ELb1ELb0ELb0EEEvPT_PKS4_PfPimiiiif
    .private_segment_fixed_size: 0
    .sgpr_count:     28
    .sgpr_spill_count: 0
    .symbol:         _ZN5aiter19grouped_topk_kernelIN3c108BFloat16EDv1_fLi2ELb1ELb0ELb0EEEvPT_PKS4_PfPimiiiif.kd
    .uniform_work_group_size: 1
    .uses_dynamic_stack: false
    .vgpr_count:     12
    .vgpr_spill_count: 0
    .wavefront_size: 64
  - .agpr_count:     0
    .args:
      - .actual_access:  read_only
        .address_space:  global
        .offset:         0
        .size:           8
        .value_kind:     global_buffer
      - .actual_access:  read_only
        .address_space:  global
        .offset:         8
        .size:           8
        .value_kind:     global_buffer
      - .actual_access:  read_only
        .address_space:  global
        .offset:         16
        .size:           8
        .value_kind:     global_buffer
      - .actual_access:  read_only
        .address_space:  global
        .offset:         24
        .size:           8
        .value_kind:     global_buffer
      - .offset:         32
        .size:           8
        .value_kind:     by_value
      - .offset:         40
        .size:           4
        .value_kind:     by_value
      - .offset:         44
        .size:           4
        .value_kind:     by_value
      - .offset:         48
        .size:           4
        .value_kind:     by_value
      - .offset:         52
        .size:           4
        .value_kind:     by_value
      - .offset:         56
        .size:           4
        .value_kind:     by_value
    .group_segment_fixed_size: 0
    .kernarg_segment_align: 8
    .kernarg_segment_size: 60
    .language:       OpenCL C
    .language_version:
      - 2
      - 0
    .max_flat_workgroup_size: 1024
    .name:           _ZN5aiter28grouped_topk_opt_sort_kernelIfDv1_fLi2ELb0ELb1ELb0EEEvPT_PKS2_PfPimiiiif
    .private_segment_fixed_size: 0
    .sgpr_count:     13
    .sgpr_spill_count: 0
    .symbol:         _ZN5aiter28grouped_topk_opt_sort_kernelIfDv1_fLi2ELb0ELb1ELb0EEEvPT_PKS2_PfPimiiiif.kd
    .uniform_work_group_size: 1
    .uses_dynamic_stack: false
    .vgpr_count:     10
    .vgpr_spill_count: 0
    .wavefront_size: 64
  - .agpr_count:     0
    .args:
      - .actual_access:  read_only
        .address_space:  global
        .offset:         0
        .size:           8
        .value_kind:     global_buffer
      - .actual_access:  read_only
        .address_space:  global
        .offset:         8
        .size:           8
        .value_kind:     global_buffer
      - .actual_access:  read_only
        .address_space:  global
        .offset:         16
        .size:           8
        .value_kind:     global_buffer
      - .actual_access:  read_only
        .address_space:  global
        .offset:         24
        .size:           8
        .value_kind:     global_buffer
      - .offset:         32
        .size:           8
        .value_kind:     by_value
      - .offset:         40
        .size:           4
        .value_kind:     by_value
      - .offset:         44
        .size:           4
        .value_kind:     by_value
      - .offset:         48
        .size:           4
        .value_kind:     by_value
      - .offset:         52
        .size:           4
        .value_kind:     by_value
      - .offset:         56
        .size:           4
        .value_kind:     by_value
    .group_segment_fixed_size: 0
    .kernarg_segment_align: 8
    .kernarg_segment_size: 60
    .language:       OpenCL C
    .language_version:
      - 2
      - 0
    .max_flat_workgroup_size: 1024
    .name:           _ZN5aiter28grouped_topk_opt_sort_kernelIN3c104HalfEDv1_fLi2ELb0ELb1ELb0EEEvPT_PKS4_PfPimiiiif
    .private_segment_fixed_size: 0
    .sgpr_count:     13
    .sgpr_spill_count: 0
    .symbol:         _ZN5aiter28grouped_topk_opt_sort_kernelIN3c104HalfEDv1_fLi2ELb0ELb1ELb0EEEvPT_PKS4_PfPimiiiif.kd
    .uniform_work_group_size: 1
    .uses_dynamic_stack: false
    .vgpr_count:     10
    .vgpr_spill_count: 0
    .wavefront_size: 64
  - .agpr_count:     0
    .args:
      - .actual_access:  read_only
        .address_space:  global
        .offset:         0
        .size:           8
        .value_kind:     global_buffer
      - .actual_access:  read_only
        .address_space:  global
        .offset:         8
        .size:           8
        .value_kind:     global_buffer
      - .actual_access:  read_only
        .address_space:  global
        .offset:         16
        .size:           8
        .value_kind:     global_buffer
      - .actual_access:  read_only
        .address_space:  global
        .offset:         24
        .size:           8
        .value_kind:     global_buffer
      - .offset:         32
        .size:           8
        .value_kind:     by_value
      - .offset:         40
        .size:           4
        .value_kind:     by_value
      - .offset:         44
        .size:           4
        .value_kind:     by_value
      - .offset:         48
        .size:           4
        .value_kind:     by_value
      - .offset:         52
        .size:           4
        .value_kind:     by_value
      - .offset:         56
        .size:           4
        .value_kind:     by_value
    .group_segment_fixed_size: 0
    .kernarg_segment_align: 8
    .kernarg_segment_size: 60
    .language:       OpenCL C
    .language_version:
      - 2
      - 0
    .max_flat_workgroup_size: 1024
    .name:           _ZN5aiter28grouped_topk_opt_sort_kernelIN3c108BFloat16EDv1_fLi2ELb0ELb1ELb0EEEvPT_PKS4_PfPimiiiif
    .private_segment_fixed_size: 0
    .sgpr_count:     13
    .sgpr_spill_count: 0
    .symbol:         _ZN5aiter28grouped_topk_opt_sort_kernelIN3c108BFloat16EDv1_fLi2ELb0ELb1ELb0EEEvPT_PKS4_PfPimiiiif.kd
    .uniform_work_group_size: 1
    .uses_dynamic_stack: false
    .vgpr_count:     10
    .vgpr_spill_count: 0
    .wavefront_size: 64
  - .agpr_count:     0
    .args:
      - .actual_access:  read_only
        .address_space:  global
        .offset:         0
        .size:           8
        .value_kind:     global_buffer
      - .actual_access:  read_only
        .address_space:  global
        .offset:         8
        .size:           8
        .value_kind:     global_buffer
      - .actual_access:  write_only
        .address_space:  global
        .offset:         16
        .size:           8
        .value_kind:     global_buffer
      - .actual_access:  write_only
        .address_space:  global
        .offset:         24
        .size:           8
        .value_kind:     global_buffer
      - .offset:         32
        .size:           8
        .value_kind:     by_value
      - .offset:         40
        .size:           4
        .value_kind:     by_value
      - .offset:         44
        .size:           4
        .value_kind:     by_value
      - .offset:         48
        .size:           4
        .value_kind:     by_value
      - .offset:         52
        .size:           4
        .value_kind:     by_value
      - .offset:         56
        .size:           4
        .value_kind:     by_value
      - .offset:         64
        .size:           4
        .value_kind:     hidden_block_count_x
      - .offset:         68
        .size:           4
        .value_kind:     hidden_block_count_y
      - .offset:         72
        .size:           4
        .value_kind:     hidden_block_count_z
      - .offset:         76
        .size:           2
        .value_kind:     hidden_group_size_x
      - .offset:         78
        .size:           2
        .value_kind:     hidden_group_size_y
      - .offset:         80
        .size:           2
        .value_kind:     hidden_group_size_z
      - .offset:         82
        .size:           2
        .value_kind:     hidden_remainder_x
      - .offset:         84
        .size:           2
        .value_kind:     hidden_remainder_y
      - .offset:         86
        .size:           2
        .value_kind:     hidden_remainder_z
      - .offset:         104
        .size:           8
        .value_kind:     hidden_global_offset_x
      - .offset:         112
        .size:           8
        .value_kind:     hidden_global_offset_y
      - .offset:         120
        .size:           8
        .value_kind:     hidden_global_offset_z
      - .offset:         128
        .size:           2
        .value_kind:     hidden_grid_dims
      - .offset:         184
        .size:           4
        .value_kind:     hidden_dynamic_lds_size
    .group_segment_fixed_size: 0
    .kernarg_segment_align: 8
    .kernarg_segment_size: 320
    .language:       OpenCL C
    .language_version:
      - 2
      - 0
    .max_flat_workgroup_size: 1024
    .name:           _ZN5aiter19grouped_topk_kernelIfDv1_fLi2ELb0ELb1ELb0EEEvPT_PKS2_PfPimiiiif
    .private_segment_fixed_size: 0
    .sgpr_count:     34
    .sgpr_spill_count: 0
    .symbol:         _ZN5aiter19grouped_topk_kernelIfDv1_fLi2ELb0ELb1ELb0EEEvPT_PKS2_PfPimiiiif.kd
    .uniform_work_group_size: 1
    .uses_dynamic_stack: false
    .vgpr_count:     14
    .vgpr_spill_count: 0
    .wavefront_size: 64
  - .agpr_count:     0
    .args:
      - .actual_access:  read_only
        .address_space:  global
        .offset:         0
        .size:           8
        .value_kind:     global_buffer
      - .actual_access:  read_only
        .address_space:  global
        .offset:         8
        .size:           8
        .value_kind:     global_buffer
      - .actual_access:  write_only
        .address_space:  global
        .offset:         16
        .size:           8
        .value_kind:     global_buffer
      - .actual_access:  write_only
        .address_space:  global
        .offset:         24
        .size:           8
        .value_kind:     global_buffer
      - .offset:         32
        .size:           8
        .value_kind:     by_value
      - .offset:         40
        .size:           4
        .value_kind:     by_value
      - .offset:         44
        .size:           4
        .value_kind:     by_value
      - .offset:         48
        .size:           4
        .value_kind:     by_value
      - .offset:         52
        .size:           4
        .value_kind:     by_value
      - .offset:         56
        .size:           4
        .value_kind:     by_value
      - .offset:         64
        .size:           4
        .value_kind:     hidden_block_count_x
      - .offset:         68
        .size:           4
        .value_kind:     hidden_block_count_y
      - .offset:         72
        .size:           4
        .value_kind:     hidden_block_count_z
      - .offset:         76
        .size:           2
        .value_kind:     hidden_group_size_x
      - .offset:         78
        .size:           2
        .value_kind:     hidden_group_size_y
      - .offset:         80
        .size:           2
        .value_kind:     hidden_group_size_z
      - .offset:         82
        .size:           2
        .value_kind:     hidden_remainder_x
      - .offset:         84
        .size:           2
        .value_kind:     hidden_remainder_y
      - .offset:         86
        .size:           2
        .value_kind:     hidden_remainder_z
      - .offset:         104
        .size:           8
        .value_kind:     hidden_global_offset_x
      - .offset:         112
        .size:           8
        .value_kind:     hidden_global_offset_y
      - .offset:         120
        .size:           8
        .value_kind:     hidden_global_offset_z
      - .offset:         128
        .size:           2
        .value_kind:     hidden_grid_dims
      - .offset:         184
        .size:           4
        .value_kind:     hidden_dynamic_lds_size
    .group_segment_fixed_size: 0
    .kernarg_segment_align: 8
    .kernarg_segment_size: 320
    .language:       OpenCL C
    .language_version:
      - 2
      - 0
    .max_flat_workgroup_size: 1024
    .name:           _ZN5aiter19grouped_topk_kernelIN3c104HalfEDv1_fLi2ELb0ELb1ELb0EEEvPT_PKS4_PfPimiiiif
    .private_segment_fixed_size: 0
    .sgpr_count:     34
    .sgpr_spill_count: 0
    .symbol:         _ZN5aiter19grouped_topk_kernelIN3c104HalfEDv1_fLi2ELb0ELb1ELb0EEEvPT_PKS4_PfPimiiiif.kd
    .uniform_work_group_size: 1
    .uses_dynamic_stack: false
    .vgpr_count:     14
    .vgpr_spill_count: 0
    .wavefront_size: 64
  - .agpr_count:     0
    .args:
      - .actual_access:  read_only
        .address_space:  global
        .offset:         0
        .size:           8
        .value_kind:     global_buffer
      - .actual_access:  read_only
        .address_space:  global
        .offset:         8
        .size:           8
        .value_kind:     global_buffer
      - .actual_access:  write_only
        .address_space:  global
        .offset:         16
        .size:           8
        .value_kind:     global_buffer
      - .actual_access:  write_only
        .address_space:  global
        .offset:         24
        .size:           8
        .value_kind:     global_buffer
      - .offset:         32
        .size:           8
        .value_kind:     by_value
      - .offset:         40
        .size:           4
        .value_kind:     by_value
      - .offset:         44
        .size:           4
        .value_kind:     by_value
      - .offset:         48
        .size:           4
        .value_kind:     by_value
      - .offset:         52
        .size:           4
        .value_kind:     by_value
      - .offset:         56
        .size:           4
        .value_kind:     by_value
      - .offset:         64
        .size:           4
        .value_kind:     hidden_block_count_x
      - .offset:         68
        .size:           4
        .value_kind:     hidden_block_count_y
      - .offset:         72
        .size:           4
        .value_kind:     hidden_block_count_z
      - .offset:         76
        .size:           2
        .value_kind:     hidden_group_size_x
      - .offset:         78
        .size:           2
        .value_kind:     hidden_group_size_y
      - .offset:         80
        .size:           2
        .value_kind:     hidden_group_size_z
      - .offset:         82
        .size:           2
        .value_kind:     hidden_remainder_x
      - .offset:         84
        .size:           2
        .value_kind:     hidden_remainder_y
      - .offset:         86
        .size:           2
        .value_kind:     hidden_remainder_z
      - .offset:         104
        .size:           8
        .value_kind:     hidden_global_offset_x
      - .offset:         112
        .size:           8
        .value_kind:     hidden_global_offset_y
      - .offset:         120
        .size:           8
        .value_kind:     hidden_global_offset_z
      - .offset:         128
        .size:           2
        .value_kind:     hidden_grid_dims
      - .offset:         184
        .size:           4
        .value_kind:     hidden_dynamic_lds_size
    .group_segment_fixed_size: 0
    .kernarg_segment_align: 8
    .kernarg_segment_size: 320
    .language:       OpenCL C
    .language_version:
      - 2
      - 0
    .max_flat_workgroup_size: 1024
    .name:           _ZN5aiter19grouped_topk_kernelIN3c108BFloat16EDv1_fLi2ELb0ELb1ELb0EEEvPT_PKS4_PfPimiiiif
    .private_segment_fixed_size: 0
    .sgpr_count:     34
    .sgpr_spill_count: 0
    .symbol:         _ZN5aiter19grouped_topk_kernelIN3c108BFloat16EDv1_fLi2ELb0ELb1ELb0EEEvPT_PKS4_PfPimiiiif.kd
    .uniform_work_group_size: 1
    .uses_dynamic_stack: false
    .vgpr_count:     14
    .vgpr_spill_count: 0
    .wavefront_size: 64
  - .agpr_count:     0
    .args:
      - .actual_access:  read_only
        .address_space:  global
        .offset:         0
        .size:           8
        .value_kind:     global_buffer
      - .actual_access:  read_only
        .address_space:  global
        .offset:         8
        .size:           8
        .value_kind:     global_buffer
      - .actual_access:  write_only
        .address_space:  global
        .offset:         16
        .size:           8
        .value_kind:     global_buffer
      - .actual_access:  write_only
        .address_space:  global
        .offset:         24
        .size:           8
        .value_kind:     global_buffer
      - .offset:         32
        .size:           8
        .value_kind:     by_value
      - .offset:         40
        .size:           4
        .value_kind:     by_value
      - .offset:         44
        .size:           4
        .value_kind:     by_value
      - .offset:         48
        .size:           4
        .value_kind:     by_value
      - .offset:         52
        .size:           4
        .value_kind:     by_value
      - .offset:         56
        .size:           4
        .value_kind:     by_value
      - .offset:         64
        .size:           4
        .value_kind:     hidden_block_count_x
      - .offset:         68
        .size:           4
        .value_kind:     hidden_block_count_y
      - .offset:         72
        .size:           4
        .value_kind:     hidden_block_count_z
      - .offset:         76
        .size:           2
        .value_kind:     hidden_group_size_x
      - .offset:         78
        .size:           2
        .value_kind:     hidden_group_size_y
      - .offset:         80
        .size:           2
        .value_kind:     hidden_group_size_z
      - .offset:         82
        .size:           2
        .value_kind:     hidden_remainder_x
      - .offset:         84
        .size:           2
        .value_kind:     hidden_remainder_y
      - .offset:         86
        .size:           2
        .value_kind:     hidden_remainder_z
      - .offset:         104
        .size:           8
        .value_kind:     hidden_global_offset_x
      - .offset:         112
        .size:           8
        .value_kind:     hidden_global_offset_y
      - .offset:         120
        .size:           8
        .value_kind:     hidden_global_offset_z
      - .offset:         128
        .size:           2
        .value_kind:     hidden_grid_dims
      - .offset:         184
        .size:           4
        .value_kind:     hidden_dynamic_lds_size
    .group_segment_fixed_size: 0
    .kernarg_segment_align: 8
    .kernarg_segment_size: 320
    .language:       OpenCL C
    .language_version:
      - 2
      - 0
    .max_flat_workgroup_size: 1024
    .name:           _ZN5aiter19grouped_topk_kernelIfDv1_fLi2ELb0ELb0ELb1EEEvPT_PKS2_PfPimiiiif
    .private_segment_fixed_size: 0
    .sgpr_count:     28
    .sgpr_spill_count: 0
    .symbol:         _ZN5aiter19grouped_topk_kernelIfDv1_fLi2ELb0ELb0ELb1EEEvPT_PKS2_PfPimiiiif.kd
    .uniform_work_group_size: 1
    .uses_dynamic_stack: false
    .vgpr_count:     12
    .vgpr_spill_count: 0
    .wavefront_size: 64
  - .agpr_count:     0
    .args:
      - .actual_access:  read_only
        .address_space:  global
        .offset:         0
        .size:           8
        .value_kind:     global_buffer
      - .actual_access:  read_only
        .address_space:  global
        .offset:         8
        .size:           8
        .value_kind:     global_buffer
      - .actual_access:  write_only
        .address_space:  global
        .offset:         16
        .size:           8
        .value_kind:     global_buffer
      - .actual_access:  write_only
        .address_space:  global
        .offset:         24
        .size:           8
        .value_kind:     global_buffer
      - .offset:         32
        .size:           8
        .value_kind:     by_value
      - .offset:         40
        .size:           4
        .value_kind:     by_value
      - .offset:         44
        .size:           4
        .value_kind:     by_value
      - .offset:         48
        .size:           4
        .value_kind:     by_value
      - .offset:         52
        .size:           4
        .value_kind:     by_value
      - .offset:         56
        .size:           4
        .value_kind:     by_value
      - .offset:         64
        .size:           4
        .value_kind:     hidden_block_count_x
      - .offset:         68
        .size:           4
        .value_kind:     hidden_block_count_y
      - .offset:         72
        .size:           4
        .value_kind:     hidden_block_count_z
      - .offset:         76
        .size:           2
        .value_kind:     hidden_group_size_x
      - .offset:         78
        .size:           2
        .value_kind:     hidden_group_size_y
      - .offset:         80
        .size:           2
        .value_kind:     hidden_group_size_z
      - .offset:         82
        .size:           2
        .value_kind:     hidden_remainder_x
      - .offset:         84
        .size:           2
        .value_kind:     hidden_remainder_y
      - .offset:         86
        .size:           2
        .value_kind:     hidden_remainder_z
      - .offset:         104
        .size:           8
        .value_kind:     hidden_global_offset_x
      - .offset:         112
        .size:           8
        .value_kind:     hidden_global_offset_y
      - .offset:         120
        .size:           8
        .value_kind:     hidden_global_offset_z
      - .offset:         128
        .size:           2
        .value_kind:     hidden_grid_dims
      - .offset:         184
        .size:           4
        .value_kind:     hidden_dynamic_lds_size
    .group_segment_fixed_size: 0
    .kernarg_segment_align: 8
    .kernarg_segment_size: 320
    .language:       OpenCL C
    .language_version:
      - 2
      - 0
    .max_flat_workgroup_size: 1024
    .name:           _ZN5aiter19grouped_topk_kernelIN3c104HalfEDv1_fLi2ELb0ELb0ELb1EEEvPT_PKS4_PfPimiiiif
    .private_segment_fixed_size: 0
    .sgpr_count:     28
    .sgpr_spill_count: 0
    .symbol:         _ZN5aiter19grouped_topk_kernelIN3c104HalfEDv1_fLi2ELb0ELb0ELb1EEEvPT_PKS4_PfPimiiiif.kd
    .uniform_work_group_size: 1
    .uses_dynamic_stack: false
    .vgpr_count:     12
    .vgpr_spill_count: 0
    .wavefront_size: 64
  - .agpr_count:     0
    .args:
      - .actual_access:  read_only
        .address_space:  global
        .offset:         0
        .size:           8
        .value_kind:     global_buffer
      - .actual_access:  read_only
        .address_space:  global
        .offset:         8
        .size:           8
        .value_kind:     global_buffer
      - .actual_access:  write_only
        .address_space:  global
        .offset:         16
        .size:           8
        .value_kind:     global_buffer
      - .actual_access:  write_only
        .address_space:  global
        .offset:         24
        .size:           8
        .value_kind:     global_buffer
      - .offset:         32
        .size:           8
        .value_kind:     by_value
      - .offset:         40
        .size:           4
        .value_kind:     by_value
      - .offset:         44
        .size:           4
        .value_kind:     by_value
      - .offset:         48
        .size:           4
        .value_kind:     by_value
      - .offset:         52
        .size:           4
        .value_kind:     by_value
      - .offset:         56
        .size:           4
        .value_kind:     by_value
      - .offset:         64
        .size:           4
        .value_kind:     hidden_block_count_x
      - .offset:         68
        .size:           4
        .value_kind:     hidden_block_count_y
      - .offset:         72
        .size:           4
        .value_kind:     hidden_block_count_z
      - .offset:         76
        .size:           2
        .value_kind:     hidden_group_size_x
      - .offset:         78
        .size:           2
        .value_kind:     hidden_group_size_y
      - .offset:         80
        .size:           2
        .value_kind:     hidden_group_size_z
      - .offset:         82
        .size:           2
        .value_kind:     hidden_remainder_x
      - .offset:         84
        .size:           2
        .value_kind:     hidden_remainder_y
      - .offset:         86
        .size:           2
        .value_kind:     hidden_remainder_z
      - .offset:         104
        .size:           8
        .value_kind:     hidden_global_offset_x
      - .offset:         112
        .size:           8
        .value_kind:     hidden_global_offset_y
      - .offset:         120
        .size:           8
        .value_kind:     hidden_global_offset_z
      - .offset:         128
        .size:           2
        .value_kind:     hidden_grid_dims
      - .offset:         184
        .size:           4
        .value_kind:     hidden_dynamic_lds_size
    .group_segment_fixed_size: 0
    .kernarg_segment_align: 8
    .kernarg_segment_size: 320
    .language:       OpenCL C
    .language_version:
      - 2
      - 0
    .max_flat_workgroup_size: 1024
    .name:           _ZN5aiter19grouped_topk_kernelIN3c108BFloat16EDv1_fLi2ELb0ELb0ELb1EEEvPT_PKS4_PfPimiiiif
    .private_segment_fixed_size: 0
    .sgpr_count:     28
    .sgpr_spill_count: 0
    .symbol:         _ZN5aiter19grouped_topk_kernelIN3c108BFloat16EDv1_fLi2ELb0ELb0ELb1EEEvPT_PKS4_PfPimiiiif.kd
    .uniform_work_group_size: 1
    .uses_dynamic_stack: false
    .vgpr_count:     12
    .vgpr_spill_count: 0
    .wavefront_size: 64
  - .agpr_count:     0
    .args:
      - .actual_access:  read_only
        .address_space:  global
        .offset:         0
        .size:           8
        .value_kind:     global_buffer
      - .actual_access:  read_only
        .address_space:  global
        .offset:         8
        .size:           8
        .value_kind:     global_buffer
      - .actual_access:  write_only
        .address_space:  global
        .offset:         16
        .size:           8
        .value_kind:     global_buffer
      - .actual_access:  write_only
        .address_space:  global
        .offset:         24
        .size:           8
        .value_kind:     global_buffer
      - .offset:         32
        .size:           8
        .value_kind:     by_value
      - .offset:         40
        .size:           4
        .value_kind:     by_value
      - .offset:         44
        .size:           4
        .value_kind:     by_value
      - .offset:         48
        .size:           4
        .value_kind:     by_value
      - .offset:         52
        .size:           4
        .value_kind:     by_value
      - .offset:         56
        .size:           4
        .value_kind:     by_value
      - .offset:         64
        .size:           4
        .value_kind:     hidden_block_count_x
      - .offset:         68
        .size:           4
        .value_kind:     hidden_block_count_y
      - .offset:         72
        .size:           4
        .value_kind:     hidden_block_count_z
      - .offset:         76
        .size:           2
        .value_kind:     hidden_group_size_x
      - .offset:         78
        .size:           2
        .value_kind:     hidden_group_size_y
      - .offset:         80
        .size:           2
        .value_kind:     hidden_group_size_z
      - .offset:         82
        .size:           2
        .value_kind:     hidden_remainder_x
      - .offset:         84
        .size:           2
        .value_kind:     hidden_remainder_y
      - .offset:         86
        .size:           2
        .value_kind:     hidden_remainder_z
      - .offset:         104
        .size:           8
        .value_kind:     hidden_global_offset_x
      - .offset:         112
        .size:           8
        .value_kind:     hidden_global_offset_y
      - .offset:         120
        .size:           8
        .value_kind:     hidden_global_offset_z
      - .offset:         128
        .size:           2
        .value_kind:     hidden_grid_dims
      - .offset:         184
        .size:           4
        .value_kind:     hidden_dynamic_lds_size
    .group_segment_fixed_size: 0
    .kernarg_segment_align: 8
    .kernarg_segment_size: 320
    .language:       OpenCL C
    .language_version:
      - 2
      - 0
    .max_flat_workgroup_size: 1024
    .name:           _ZN5aiter19grouped_topk_kernelIfDv1_fLi2ELb0ELb0ELb0EEEvPT_PKS2_PfPimiiiif
    .private_segment_fixed_size: 0
    .sgpr_count:     28
    .sgpr_spill_count: 0
    .symbol:         _ZN5aiter19grouped_topk_kernelIfDv1_fLi2ELb0ELb0ELb0EEEvPT_PKS2_PfPimiiiif.kd
    .uniform_work_group_size: 1
    .uses_dynamic_stack: false
    .vgpr_count:     12
    .vgpr_spill_count: 0
    .wavefront_size: 64
  - .agpr_count:     0
    .args:
      - .actual_access:  read_only
        .address_space:  global
        .offset:         0
        .size:           8
        .value_kind:     global_buffer
      - .actual_access:  read_only
        .address_space:  global
        .offset:         8
        .size:           8
        .value_kind:     global_buffer
      - .actual_access:  write_only
        .address_space:  global
        .offset:         16
        .size:           8
        .value_kind:     global_buffer
      - .actual_access:  write_only
        .address_space:  global
        .offset:         24
        .size:           8
        .value_kind:     global_buffer
      - .offset:         32
        .size:           8
        .value_kind:     by_value
      - .offset:         40
        .size:           4
        .value_kind:     by_value
      - .offset:         44
        .size:           4
        .value_kind:     by_value
      - .offset:         48
        .size:           4
        .value_kind:     by_value
      - .offset:         52
        .size:           4
        .value_kind:     by_value
      - .offset:         56
        .size:           4
        .value_kind:     by_value
      - .offset:         64
        .size:           4
        .value_kind:     hidden_block_count_x
      - .offset:         68
        .size:           4
        .value_kind:     hidden_block_count_y
      - .offset:         72
        .size:           4
        .value_kind:     hidden_block_count_z
      - .offset:         76
        .size:           2
        .value_kind:     hidden_group_size_x
      - .offset:         78
        .size:           2
        .value_kind:     hidden_group_size_y
      - .offset:         80
        .size:           2
        .value_kind:     hidden_group_size_z
      - .offset:         82
        .size:           2
        .value_kind:     hidden_remainder_x
      - .offset:         84
        .size:           2
        .value_kind:     hidden_remainder_y
      - .offset:         86
        .size:           2
        .value_kind:     hidden_remainder_z
      - .offset:         104
        .size:           8
        .value_kind:     hidden_global_offset_x
      - .offset:         112
        .size:           8
        .value_kind:     hidden_global_offset_y
      - .offset:         120
        .size:           8
        .value_kind:     hidden_global_offset_z
      - .offset:         128
        .size:           2
        .value_kind:     hidden_grid_dims
      - .offset:         184
        .size:           4
        .value_kind:     hidden_dynamic_lds_size
    .group_segment_fixed_size: 0
    .kernarg_segment_align: 8
    .kernarg_segment_size: 320
    .language:       OpenCL C
    .language_version:
      - 2
      - 0
    .max_flat_workgroup_size: 1024
    .name:           _ZN5aiter19grouped_topk_kernelIN3c104HalfEDv1_fLi2ELb0ELb0ELb0EEEvPT_PKS4_PfPimiiiif
    .private_segment_fixed_size: 0
    .sgpr_count:     30
    .sgpr_spill_count: 0
    .symbol:         _ZN5aiter19grouped_topk_kernelIN3c104HalfEDv1_fLi2ELb0ELb0ELb0EEEvPT_PKS4_PfPimiiiif.kd
    .uniform_work_group_size: 1
    .uses_dynamic_stack: false
    .vgpr_count:     12
    .vgpr_spill_count: 0
    .wavefront_size: 64
  - .agpr_count:     0
    .args:
      - .actual_access:  read_only
        .address_space:  global
        .offset:         0
        .size:           8
        .value_kind:     global_buffer
      - .actual_access:  read_only
        .address_space:  global
        .offset:         8
        .size:           8
        .value_kind:     global_buffer
      - .actual_access:  write_only
        .address_space:  global
        .offset:         16
        .size:           8
        .value_kind:     global_buffer
      - .actual_access:  write_only
        .address_space:  global
        .offset:         24
        .size:           8
        .value_kind:     global_buffer
      - .offset:         32
        .size:           8
        .value_kind:     by_value
      - .offset:         40
        .size:           4
        .value_kind:     by_value
      - .offset:         44
        .size:           4
        .value_kind:     by_value
      - .offset:         48
        .size:           4
        .value_kind:     by_value
      - .offset:         52
        .size:           4
        .value_kind:     by_value
      - .offset:         56
        .size:           4
        .value_kind:     by_value
      - .offset:         64
        .size:           4
        .value_kind:     hidden_block_count_x
      - .offset:         68
        .size:           4
        .value_kind:     hidden_block_count_y
      - .offset:         72
        .size:           4
        .value_kind:     hidden_block_count_z
      - .offset:         76
        .size:           2
        .value_kind:     hidden_group_size_x
      - .offset:         78
        .size:           2
        .value_kind:     hidden_group_size_y
      - .offset:         80
        .size:           2
        .value_kind:     hidden_group_size_z
      - .offset:         82
        .size:           2
        .value_kind:     hidden_remainder_x
      - .offset:         84
        .size:           2
        .value_kind:     hidden_remainder_y
      - .offset:         86
        .size:           2
        .value_kind:     hidden_remainder_z
      - .offset:         104
        .size:           8
        .value_kind:     hidden_global_offset_x
      - .offset:         112
        .size:           8
        .value_kind:     hidden_global_offset_y
      - .offset:         120
        .size:           8
        .value_kind:     hidden_global_offset_z
      - .offset:         128
        .size:           2
        .value_kind:     hidden_grid_dims
      - .offset:         184
        .size:           4
        .value_kind:     hidden_dynamic_lds_size
    .group_segment_fixed_size: 0
    .kernarg_segment_align: 8
    .kernarg_segment_size: 320
    .language:       OpenCL C
    .language_version:
      - 2
      - 0
    .max_flat_workgroup_size: 1024
    .name:           _ZN5aiter19grouped_topk_kernelIN3c108BFloat16EDv1_fLi2ELb0ELb0ELb0EEEvPT_PKS4_PfPimiiiif
    .private_segment_fixed_size: 0
    .sgpr_count:     28
    .sgpr_spill_count: 0
    .symbol:         _ZN5aiter19grouped_topk_kernelIN3c108BFloat16EDv1_fLi2ELb0ELb0ELb0EEEvPT_PKS4_PfPimiiiif.kd
    .uniform_work_group_size: 1
    .uses_dynamic_stack: false
    .vgpr_count:     12
    .vgpr_spill_count: 0
    .wavefront_size: 64
  - .agpr_count:     0
    .args:
      - .actual_access:  read_only
        .address_space:  global
        .offset:         0
        .size:           8
        .value_kind:     global_buffer
      - .actual_access:  read_only
        .address_space:  global
        .offset:         8
        .size:           8
        .value_kind:     global_buffer
      - .actual_access:  read_only
        .address_space:  global
        .offset:         16
        .size:           8
        .value_kind:     global_buffer
      - .actual_access:  read_only
        .address_space:  global
        .offset:         24
        .size:           8
        .value_kind:     global_buffer
      - .offset:         32
        .size:           8
        .value_kind:     by_value
      - .offset:         40
        .size:           4
        .value_kind:     by_value
      - .offset:         44
        .size:           4
        .value_kind:     by_value
      - .offset:         48
        .size:           4
        .value_kind:     by_value
      - .offset:         52
        .size:           4
        .value_kind:     by_value
      - .offset:         56
        .size:           4
        .value_kind:     by_value
    .group_segment_fixed_size: 0
    .kernarg_segment_align: 8
    .kernarg_segment_size: 60
    .language:       OpenCL C
    .language_version:
      - 2
      - 0
    .max_flat_workgroup_size: 1024
    .name:           _ZN5aiter28grouped_topk_opt_sort_kernelIfDv1_fLi1ELb1ELb1ELb0EEEvPT_PKS2_PfPimiiiif
    .private_segment_fixed_size: 0
    .sgpr_count:     16
    .sgpr_spill_count: 0
    .symbol:         _ZN5aiter28grouped_topk_opt_sort_kernelIfDv1_fLi1ELb1ELb1ELb0EEEvPT_PKS2_PfPimiiiif.kd
    .uniform_work_group_size: 1
    .uses_dynamic_stack: false
    .vgpr_count:     5
    .vgpr_spill_count: 0
    .wavefront_size: 64
  - .agpr_count:     0
    .args:
      - .actual_access:  read_only
        .address_space:  global
        .offset:         0
        .size:           8
        .value_kind:     global_buffer
      - .actual_access:  read_only
        .address_space:  global
        .offset:         8
        .size:           8
        .value_kind:     global_buffer
      - .actual_access:  read_only
        .address_space:  global
        .offset:         16
        .size:           8
        .value_kind:     global_buffer
      - .actual_access:  read_only
        .address_space:  global
        .offset:         24
        .size:           8
        .value_kind:     global_buffer
      - .offset:         32
        .size:           8
        .value_kind:     by_value
      - .offset:         40
        .size:           4
        .value_kind:     by_value
      - .offset:         44
        .size:           4
        .value_kind:     by_value
      - .offset:         48
        .size:           4
        .value_kind:     by_value
      - .offset:         52
        .size:           4
        .value_kind:     by_value
      - .offset:         56
        .size:           4
        .value_kind:     by_value
    .group_segment_fixed_size: 0
    .kernarg_segment_align: 8
    .kernarg_segment_size: 60
    .language:       OpenCL C
    .language_version:
      - 2
      - 0
    .max_flat_workgroup_size: 1024
    .name:           _ZN5aiter28grouped_topk_opt_sort_kernelIN3c104HalfEDv1_fLi1ELb1ELb1ELb0EEEvPT_PKS4_PfPimiiiif
    .private_segment_fixed_size: 0
    .sgpr_count:     16
    .sgpr_spill_count: 0
    .symbol:         _ZN5aiter28grouped_topk_opt_sort_kernelIN3c104HalfEDv1_fLi1ELb1ELb1ELb0EEEvPT_PKS4_PfPimiiiif.kd
    .uniform_work_group_size: 1
    .uses_dynamic_stack: false
    .vgpr_count:     6
    .vgpr_spill_count: 0
    .wavefront_size: 64
  - .agpr_count:     0
    .args:
      - .actual_access:  read_only
        .address_space:  global
        .offset:         0
        .size:           8
        .value_kind:     global_buffer
      - .actual_access:  read_only
        .address_space:  global
        .offset:         8
        .size:           8
        .value_kind:     global_buffer
      - .actual_access:  read_only
        .address_space:  global
        .offset:         16
        .size:           8
        .value_kind:     global_buffer
      - .actual_access:  read_only
        .address_space:  global
        .offset:         24
        .size:           8
        .value_kind:     global_buffer
      - .offset:         32
        .size:           8
        .value_kind:     by_value
      - .offset:         40
        .size:           4
        .value_kind:     by_value
      - .offset:         44
        .size:           4
        .value_kind:     by_value
      - .offset:         48
        .size:           4
        .value_kind:     by_value
      - .offset:         52
        .size:           4
        .value_kind:     by_value
      - .offset:         56
        .size:           4
        .value_kind:     by_value
    .group_segment_fixed_size: 0
    .kernarg_segment_align: 8
    .kernarg_segment_size: 60
    .language:       OpenCL C
    .language_version:
      - 2
      - 0
    .max_flat_workgroup_size: 1024
    .name:           _ZN5aiter28grouped_topk_opt_sort_kernelIN3c108BFloat16EDv1_fLi1ELb1ELb1ELb0EEEvPT_PKS4_PfPimiiiif
    .private_segment_fixed_size: 0
    .sgpr_count:     16
    .sgpr_spill_count: 0
    .symbol:         _ZN5aiter28grouped_topk_opt_sort_kernelIN3c108BFloat16EDv1_fLi1ELb1ELb1ELb0EEEvPT_PKS4_PfPimiiiif.kd
    .uniform_work_group_size: 1
    .uses_dynamic_stack: false
    .vgpr_count:     5
    .vgpr_spill_count: 0
    .wavefront_size: 64
  - .agpr_count:     0
    .args:
      - .actual_access:  read_only
        .address_space:  global
        .offset:         0
        .size:           8
        .value_kind:     global_buffer
      - .actual_access:  read_only
        .address_space:  global
        .offset:         8
        .size:           8
        .value_kind:     global_buffer
      - .actual_access:  write_only
        .address_space:  global
        .offset:         16
        .size:           8
        .value_kind:     global_buffer
      - .actual_access:  write_only
        .address_space:  global
        .offset:         24
        .size:           8
        .value_kind:     global_buffer
      - .offset:         32
        .size:           8
        .value_kind:     by_value
      - .offset:         40
        .size:           4
        .value_kind:     by_value
      - .offset:         44
        .size:           4
        .value_kind:     by_value
      - .offset:         48
        .size:           4
        .value_kind:     by_value
      - .offset:         52
        .size:           4
        .value_kind:     by_value
      - .offset:         56
        .size:           4
        .value_kind:     by_value
      - .offset:         64
        .size:           4
        .value_kind:     hidden_block_count_x
      - .offset:         68
        .size:           4
        .value_kind:     hidden_block_count_y
      - .offset:         72
        .size:           4
        .value_kind:     hidden_block_count_z
      - .offset:         76
        .size:           2
        .value_kind:     hidden_group_size_x
      - .offset:         78
        .size:           2
        .value_kind:     hidden_group_size_y
      - .offset:         80
        .size:           2
        .value_kind:     hidden_group_size_z
      - .offset:         82
        .size:           2
        .value_kind:     hidden_remainder_x
      - .offset:         84
        .size:           2
        .value_kind:     hidden_remainder_y
      - .offset:         86
        .size:           2
        .value_kind:     hidden_remainder_z
      - .offset:         104
        .size:           8
        .value_kind:     hidden_global_offset_x
      - .offset:         112
        .size:           8
        .value_kind:     hidden_global_offset_y
      - .offset:         120
        .size:           8
        .value_kind:     hidden_global_offset_z
      - .offset:         128
        .size:           2
        .value_kind:     hidden_grid_dims
      - .offset:         184
        .size:           4
        .value_kind:     hidden_dynamic_lds_size
    .group_segment_fixed_size: 0
    .kernarg_segment_align: 8
    .kernarg_segment_size: 320
    .language:       OpenCL C
    .language_version:
      - 2
      - 0
    .max_flat_workgroup_size: 1024
    .name:           _ZN5aiter19grouped_topk_kernelIfDv1_fLi1ELb1ELb1ELb0EEEvPT_PKS2_PfPimiiiif
    .private_segment_fixed_size: 0
    .sgpr_count:     30
    .sgpr_spill_count: 0
    .symbol:         _ZN5aiter19grouped_topk_kernelIfDv1_fLi1ELb1ELb1ELb0EEEvPT_PKS2_PfPimiiiif.kd
    .uniform_work_group_size: 1
    .uses_dynamic_stack: false
    .vgpr_count:     14
    .vgpr_spill_count: 0
    .wavefront_size: 64
  - .agpr_count:     0
    .args:
      - .actual_access:  read_only
        .address_space:  global
        .offset:         0
        .size:           8
        .value_kind:     global_buffer
      - .actual_access:  read_only
        .address_space:  global
        .offset:         8
        .size:           8
        .value_kind:     global_buffer
      - .actual_access:  write_only
        .address_space:  global
        .offset:         16
        .size:           8
        .value_kind:     global_buffer
      - .actual_access:  write_only
        .address_space:  global
        .offset:         24
        .size:           8
        .value_kind:     global_buffer
      - .offset:         32
        .size:           8
        .value_kind:     by_value
      - .offset:         40
        .size:           4
        .value_kind:     by_value
      - .offset:         44
        .size:           4
        .value_kind:     by_value
      - .offset:         48
        .size:           4
        .value_kind:     by_value
      - .offset:         52
        .size:           4
        .value_kind:     by_value
      - .offset:         56
        .size:           4
        .value_kind:     by_value
      - .offset:         64
        .size:           4
        .value_kind:     hidden_block_count_x
      - .offset:         68
        .size:           4
        .value_kind:     hidden_block_count_y
      - .offset:         72
        .size:           4
        .value_kind:     hidden_block_count_z
      - .offset:         76
        .size:           2
        .value_kind:     hidden_group_size_x
      - .offset:         78
        .size:           2
        .value_kind:     hidden_group_size_y
      - .offset:         80
        .size:           2
        .value_kind:     hidden_group_size_z
      - .offset:         82
        .size:           2
        .value_kind:     hidden_remainder_x
      - .offset:         84
        .size:           2
        .value_kind:     hidden_remainder_y
      - .offset:         86
        .size:           2
        .value_kind:     hidden_remainder_z
      - .offset:         104
        .size:           8
        .value_kind:     hidden_global_offset_x
      - .offset:         112
        .size:           8
        .value_kind:     hidden_global_offset_y
      - .offset:         120
        .size:           8
        .value_kind:     hidden_global_offset_z
      - .offset:         128
        .size:           2
        .value_kind:     hidden_grid_dims
      - .offset:         184
        .size:           4
        .value_kind:     hidden_dynamic_lds_size
    .group_segment_fixed_size: 0
    .kernarg_segment_align: 8
    .kernarg_segment_size: 320
    .language:       OpenCL C
    .language_version:
      - 2
      - 0
    .max_flat_workgroup_size: 1024
    .name:           _ZN5aiter19grouped_topk_kernelIN3c104HalfEDv1_fLi1ELb1ELb1ELb0EEEvPT_PKS4_PfPimiiiif
    .private_segment_fixed_size: 0
    .sgpr_count:     30
    .sgpr_spill_count: 0
    .symbol:         _ZN5aiter19grouped_topk_kernelIN3c104HalfEDv1_fLi1ELb1ELb1ELb0EEEvPT_PKS4_PfPimiiiif.kd
    .uniform_work_group_size: 1
    .uses_dynamic_stack: false
    .vgpr_count:     14
    .vgpr_spill_count: 0
    .wavefront_size: 64
  - .agpr_count:     0
    .args:
      - .actual_access:  read_only
        .address_space:  global
        .offset:         0
        .size:           8
        .value_kind:     global_buffer
      - .actual_access:  read_only
        .address_space:  global
        .offset:         8
        .size:           8
        .value_kind:     global_buffer
      - .actual_access:  write_only
        .address_space:  global
        .offset:         16
        .size:           8
        .value_kind:     global_buffer
      - .actual_access:  write_only
        .address_space:  global
        .offset:         24
        .size:           8
        .value_kind:     global_buffer
      - .offset:         32
        .size:           8
        .value_kind:     by_value
      - .offset:         40
        .size:           4
        .value_kind:     by_value
      - .offset:         44
        .size:           4
        .value_kind:     by_value
      - .offset:         48
        .size:           4
        .value_kind:     by_value
      - .offset:         52
        .size:           4
        .value_kind:     by_value
      - .offset:         56
        .size:           4
        .value_kind:     by_value
      - .offset:         64
        .size:           4
        .value_kind:     hidden_block_count_x
      - .offset:         68
        .size:           4
        .value_kind:     hidden_block_count_y
      - .offset:         72
        .size:           4
        .value_kind:     hidden_block_count_z
      - .offset:         76
        .size:           2
        .value_kind:     hidden_group_size_x
      - .offset:         78
        .size:           2
        .value_kind:     hidden_group_size_y
      - .offset:         80
        .size:           2
        .value_kind:     hidden_group_size_z
      - .offset:         82
        .size:           2
        .value_kind:     hidden_remainder_x
      - .offset:         84
        .size:           2
        .value_kind:     hidden_remainder_y
      - .offset:         86
        .size:           2
        .value_kind:     hidden_remainder_z
      - .offset:         104
        .size:           8
        .value_kind:     hidden_global_offset_x
      - .offset:         112
        .size:           8
        .value_kind:     hidden_global_offset_y
      - .offset:         120
        .size:           8
        .value_kind:     hidden_global_offset_z
      - .offset:         128
        .size:           2
        .value_kind:     hidden_grid_dims
      - .offset:         184
        .size:           4
        .value_kind:     hidden_dynamic_lds_size
    .group_segment_fixed_size: 0
    .kernarg_segment_align: 8
    .kernarg_segment_size: 320
    .language:       OpenCL C
    .language_version:
      - 2
      - 0
    .max_flat_workgroup_size: 1024
    .name:           _ZN5aiter19grouped_topk_kernelIN3c108BFloat16EDv1_fLi1ELb1ELb1ELb0EEEvPT_PKS4_PfPimiiiif
    .private_segment_fixed_size: 0
    .sgpr_count:     30
    .sgpr_spill_count: 0
    .symbol:         _ZN5aiter19grouped_topk_kernelIN3c108BFloat16EDv1_fLi1ELb1ELb1ELb0EEEvPT_PKS4_PfPimiiiif.kd
    .uniform_work_group_size: 1
    .uses_dynamic_stack: false
    .vgpr_count:     14
    .vgpr_spill_count: 0
    .wavefront_size: 64
  - .agpr_count:     0
    .args:
      - .actual_access:  read_only
        .address_space:  global
        .offset:         0
        .size:           8
        .value_kind:     global_buffer
      - .actual_access:  read_only
        .address_space:  global
        .offset:         8
        .size:           8
        .value_kind:     global_buffer
      - .actual_access:  write_only
        .address_space:  global
        .offset:         16
        .size:           8
        .value_kind:     global_buffer
      - .actual_access:  write_only
        .address_space:  global
        .offset:         24
        .size:           8
        .value_kind:     global_buffer
      - .offset:         32
        .size:           8
        .value_kind:     by_value
      - .offset:         40
        .size:           4
        .value_kind:     by_value
      - .offset:         44
        .size:           4
        .value_kind:     by_value
      - .offset:         48
        .size:           4
        .value_kind:     by_value
      - .offset:         52
        .size:           4
        .value_kind:     by_value
      - .offset:         56
        .size:           4
        .value_kind:     by_value
      - .offset:         64
        .size:           4
        .value_kind:     hidden_block_count_x
      - .offset:         68
        .size:           4
        .value_kind:     hidden_block_count_y
      - .offset:         72
        .size:           4
        .value_kind:     hidden_block_count_z
      - .offset:         76
        .size:           2
        .value_kind:     hidden_group_size_x
      - .offset:         78
        .size:           2
        .value_kind:     hidden_group_size_y
      - .offset:         80
        .size:           2
        .value_kind:     hidden_group_size_z
      - .offset:         82
        .size:           2
        .value_kind:     hidden_remainder_x
      - .offset:         84
        .size:           2
        .value_kind:     hidden_remainder_y
      - .offset:         86
        .size:           2
        .value_kind:     hidden_remainder_z
      - .offset:         104
        .size:           8
        .value_kind:     hidden_global_offset_x
      - .offset:         112
        .size:           8
        .value_kind:     hidden_global_offset_y
      - .offset:         120
        .size:           8
        .value_kind:     hidden_global_offset_z
      - .offset:         128
        .size:           2
        .value_kind:     hidden_grid_dims
      - .offset:         184
        .size:           4
        .value_kind:     hidden_dynamic_lds_size
    .group_segment_fixed_size: 0
    .kernarg_segment_align: 8
    .kernarg_segment_size: 320
    .language:       OpenCL C
    .language_version:
      - 2
      - 0
    .max_flat_workgroup_size: 1024
    .name:           _ZN5aiter19grouped_topk_kernelIfDv1_fLi1ELb1ELb0ELb1EEEvPT_PKS2_PfPimiiiif
    .private_segment_fixed_size: 0
    .sgpr_count:     24
    .sgpr_spill_count: 0
    .symbol:         _ZN5aiter19grouped_topk_kernelIfDv1_fLi1ELb1ELb0ELb1EEEvPT_PKS2_PfPimiiiif.kd
    .uniform_work_group_size: 1
    .uses_dynamic_stack: false
    .vgpr_count:     12
    .vgpr_spill_count: 0
    .wavefront_size: 64
  - .agpr_count:     0
    .args:
      - .actual_access:  read_only
        .address_space:  global
        .offset:         0
        .size:           8
        .value_kind:     global_buffer
      - .actual_access:  read_only
        .address_space:  global
        .offset:         8
        .size:           8
        .value_kind:     global_buffer
      - .actual_access:  write_only
        .address_space:  global
        .offset:         16
        .size:           8
        .value_kind:     global_buffer
      - .actual_access:  write_only
        .address_space:  global
        .offset:         24
        .size:           8
        .value_kind:     global_buffer
      - .offset:         32
        .size:           8
        .value_kind:     by_value
      - .offset:         40
        .size:           4
        .value_kind:     by_value
      - .offset:         44
        .size:           4
        .value_kind:     by_value
      - .offset:         48
        .size:           4
        .value_kind:     by_value
      - .offset:         52
        .size:           4
        .value_kind:     by_value
      - .offset:         56
        .size:           4
        .value_kind:     by_value
      - .offset:         64
        .size:           4
        .value_kind:     hidden_block_count_x
      - .offset:         68
        .size:           4
        .value_kind:     hidden_block_count_y
      - .offset:         72
        .size:           4
        .value_kind:     hidden_block_count_z
      - .offset:         76
        .size:           2
        .value_kind:     hidden_group_size_x
      - .offset:         78
        .size:           2
        .value_kind:     hidden_group_size_y
      - .offset:         80
        .size:           2
        .value_kind:     hidden_group_size_z
      - .offset:         82
        .size:           2
        .value_kind:     hidden_remainder_x
      - .offset:         84
        .size:           2
        .value_kind:     hidden_remainder_y
      - .offset:         86
        .size:           2
        .value_kind:     hidden_remainder_z
      - .offset:         104
        .size:           8
        .value_kind:     hidden_global_offset_x
      - .offset:         112
        .size:           8
        .value_kind:     hidden_global_offset_y
      - .offset:         120
        .size:           8
        .value_kind:     hidden_global_offset_z
      - .offset:         128
        .size:           2
        .value_kind:     hidden_grid_dims
      - .offset:         184
        .size:           4
        .value_kind:     hidden_dynamic_lds_size
    .group_segment_fixed_size: 0
    .kernarg_segment_align: 8
    .kernarg_segment_size: 320
    .language:       OpenCL C
    .language_version:
      - 2
      - 0
    .max_flat_workgroup_size: 1024
    .name:           _ZN5aiter19grouped_topk_kernelIN3c104HalfEDv1_fLi1ELb1ELb0ELb1EEEvPT_PKS4_PfPimiiiif
    .private_segment_fixed_size: 0
    .sgpr_count:     24
    .sgpr_spill_count: 0
    .symbol:         _ZN5aiter19grouped_topk_kernelIN3c104HalfEDv1_fLi1ELb1ELb0ELb1EEEvPT_PKS4_PfPimiiiif.kd
    .uniform_work_group_size: 1
    .uses_dynamic_stack: false
    .vgpr_count:     12
    .vgpr_spill_count: 0
    .wavefront_size: 64
  - .agpr_count:     0
    .args:
      - .actual_access:  read_only
        .address_space:  global
        .offset:         0
        .size:           8
        .value_kind:     global_buffer
      - .actual_access:  read_only
        .address_space:  global
        .offset:         8
        .size:           8
        .value_kind:     global_buffer
      - .actual_access:  write_only
        .address_space:  global
        .offset:         16
        .size:           8
        .value_kind:     global_buffer
      - .actual_access:  write_only
        .address_space:  global
        .offset:         24
        .size:           8
        .value_kind:     global_buffer
      - .offset:         32
        .size:           8
        .value_kind:     by_value
      - .offset:         40
        .size:           4
        .value_kind:     by_value
      - .offset:         44
        .size:           4
        .value_kind:     by_value
      - .offset:         48
        .size:           4
        .value_kind:     by_value
      - .offset:         52
        .size:           4
        .value_kind:     by_value
      - .offset:         56
        .size:           4
        .value_kind:     by_value
      - .offset:         64
        .size:           4
        .value_kind:     hidden_block_count_x
      - .offset:         68
        .size:           4
        .value_kind:     hidden_block_count_y
      - .offset:         72
        .size:           4
        .value_kind:     hidden_block_count_z
      - .offset:         76
        .size:           2
        .value_kind:     hidden_group_size_x
      - .offset:         78
        .size:           2
        .value_kind:     hidden_group_size_y
      - .offset:         80
        .size:           2
        .value_kind:     hidden_group_size_z
      - .offset:         82
        .size:           2
        .value_kind:     hidden_remainder_x
      - .offset:         84
        .size:           2
        .value_kind:     hidden_remainder_y
      - .offset:         86
        .size:           2
        .value_kind:     hidden_remainder_z
      - .offset:         104
        .size:           8
        .value_kind:     hidden_global_offset_x
      - .offset:         112
        .size:           8
        .value_kind:     hidden_global_offset_y
      - .offset:         120
        .size:           8
        .value_kind:     hidden_global_offset_z
      - .offset:         128
        .size:           2
        .value_kind:     hidden_grid_dims
      - .offset:         184
        .size:           4
        .value_kind:     hidden_dynamic_lds_size
    .group_segment_fixed_size: 0
    .kernarg_segment_align: 8
    .kernarg_segment_size: 320
    .language:       OpenCL C
    .language_version:
      - 2
      - 0
    .max_flat_workgroup_size: 1024
    .name:           _ZN5aiter19grouped_topk_kernelIN3c108BFloat16EDv1_fLi1ELb1ELb0ELb1EEEvPT_PKS4_PfPimiiiif
    .private_segment_fixed_size: 0
    .sgpr_count:     24
    .sgpr_spill_count: 0
    .symbol:         _ZN5aiter19grouped_topk_kernelIN3c108BFloat16EDv1_fLi1ELb1ELb0ELb1EEEvPT_PKS4_PfPimiiiif.kd
    .uniform_work_group_size: 1
    .uses_dynamic_stack: false
    .vgpr_count:     12
    .vgpr_spill_count: 0
    .wavefront_size: 64
  - .agpr_count:     0
    .args:
      - .actual_access:  read_only
        .address_space:  global
        .offset:         0
        .size:           8
        .value_kind:     global_buffer
      - .actual_access:  read_only
        .address_space:  global
        .offset:         8
        .size:           8
        .value_kind:     global_buffer
      - .actual_access:  write_only
        .address_space:  global
        .offset:         16
        .size:           8
        .value_kind:     global_buffer
      - .actual_access:  write_only
        .address_space:  global
        .offset:         24
        .size:           8
        .value_kind:     global_buffer
      - .offset:         32
        .size:           8
        .value_kind:     by_value
      - .offset:         40
        .size:           4
        .value_kind:     by_value
      - .offset:         44
        .size:           4
        .value_kind:     by_value
      - .offset:         48
        .size:           4
        .value_kind:     by_value
      - .offset:         52
        .size:           4
        .value_kind:     by_value
      - .offset:         56
        .size:           4
        .value_kind:     by_value
      - .offset:         64
        .size:           4
        .value_kind:     hidden_block_count_x
      - .offset:         68
        .size:           4
        .value_kind:     hidden_block_count_y
      - .offset:         72
        .size:           4
        .value_kind:     hidden_block_count_z
      - .offset:         76
        .size:           2
        .value_kind:     hidden_group_size_x
      - .offset:         78
        .size:           2
        .value_kind:     hidden_group_size_y
      - .offset:         80
        .size:           2
        .value_kind:     hidden_group_size_z
      - .offset:         82
        .size:           2
        .value_kind:     hidden_remainder_x
      - .offset:         84
        .size:           2
        .value_kind:     hidden_remainder_y
      - .offset:         86
        .size:           2
        .value_kind:     hidden_remainder_z
      - .offset:         104
        .size:           8
        .value_kind:     hidden_global_offset_x
      - .offset:         112
        .size:           8
        .value_kind:     hidden_global_offset_y
      - .offset:         120
        .size:           8
        .value_kind:     hidden_global_offset_z
      - .offset:         128
        .size:           2
        .value_kind:     hidden_grid_dims
      - .offset:         184
        .size:           4
        .value_kind:     hidden_dynamic_lds_size
    .group_segment_fixed_size: 0
    .kernarg_segment_align: 8
    .kernarg_segment_size: 320
    .language:       OpenCL C
    .language_version:
      - 2
      - 0
    .max_flat_workgroup_size: 1024
    .name:           _ZN5aiter19grouped_topk_kernelIfDv1_fLi1ELb1ELb0ELb0EEEvPT_PKS2_PfPimiiiif
    .private_segment_fixed_size: 0
    .sgpr_count:     28
    .sgpr_spill_count: 0
    .symbol:         _ZN5aiter19grouped_topk_kernelIfDv1_fLi1ELb1ELb0ELb0EEEvPT_PKS2_PfPimiiiif.kd
    .uniform_work_group_size: 1
    .uses_dynamic_stack: false
    .vgpr_count:     12
    .vgpr_spill_count: 0
    .wavefront_size: 64
  - .agpr_count:     0
    .args:
      - .actual_access:  read_only
        .address_space:  global
        .offset:         0
        .size:           8
        .value_kind:     global_buffer
      - .actual_access:  read_only
        .address_space:  global
        .offset:         8
        .size:           8
        .value_kind:     global_buffer
      - .actual_access:  write_only
        .address_space:  global
        .offset:         16
        .size:           8
        .value_kind:     global_buffer
      - .actual_access:  write_only
        .address_space:  global
        .offset:         24
        .size:           8
        .value_kind:     global_buffer
      - .offset:         32
        .size:           8
        .value_kind:     by_value
      - .offset:         40
        .size:           4
        .value_kind:     by_value
      - .offset:         44
        .size:           4
        .value_kind:     by_value
      - .offset:         48
        .size:           4
        .value_kind:     by_value
      - .offset:         52
        .size:           4
        .value_kind:     by_value
      - .offset:         56
        .size:           4
        .value_kind:     by_value
      - .offset:         64
        .size:           4
        .value_kind:     hidden_block_count_x
      - .offset:         68
        .size:           4
        .value_kind:     hidden_block_count_y
      - .offset:         72
        .size:           4
        .value_kind:     hidden_block_count_z
      - .offset:         76
        .size:           2
        .value_kind:     hidden_group_size_x
      - .offset:         78
        .size:           2
        .value_kind:     hidden_group_size_y
      - .offset:         80
        .size:           2
        .value_kind:     hidden_group_size_z
      - .offset:         82
        .size:           2
        .value_kind:     hidden_remainder_x
      - .offset:         84
        .size:           2
        .value_kind:     hidden_remainder_y
      - .offset:         86
        .size:           2
        .value_kind:     hidden_remainder_z
      - .offset:         104
        .size:           8
        .value_kind:     hidden_global_offset_x
      - .offset:         112
        .size:           8
        .value_kind:     hidden_global_offset_y
      - .offset:         120
        .size:           8
        .value_kind:     hidden_global_offset_z
      - .offset:         128
        .size:           2
        .value_kind:     hidden_grid_dims
      - .offset:         184
        .size:           4
        .value_kind:     hidden_dynamic_lds_size
    .group_segment_fixed_size: 0
    .kernarg_segment_align: 8
    .kernarg_segment_size: 320
    .language:       OpenCL C
    .language_version:
      - 2
      - 0
    .max_flat_workgroup_size: 1024
    .name:           _ZN5aiter19grouped_topk_kernelIN3c104HalfEDv1_fLi1ELb1ELb0ELb0EEEvPT_PKS4_PfPimiiiif
    .private_segment_fixed_size: 0
    .sgpr_count:     28
    .sgpr_spill_count: 0
    .symbol:         _ZN5aiter19grouped_topk_kernelIN3c104HalfEDv1_fLi1ELb1ELb0ELb0EEEvPT_PKS4_PfPimiiiif.kd
    .uniform_work_group_size: 1
    .uses_dynamic_stack: false
    .vgpr_count:     12
    .vgpr_spill_count: 0
    .wavefront_size: 64
  - .agpr_count:     0
    .args:
      - .actual_access:  read_only
        .address_space:  global
        .offset:         0
        .size:           8
        .value_kind:     global_buffer
      - .actual_access:  read_only
        .address_space:  global
        .offset:         8
        .size:           8
        .value_kind:     global_buffer
      - .actual_access:  write_only
        .address_space:  global
        .offset:         16
        .size:           8
        .value_kind:     global_buffer
      - .actual_access:  write_only
        .address_space:  global
        .offset:         24
        .size:           8
        .value_kind:     global_buffer
      - .offset:         32
        .size:           8
        .value_kind:     by_value
      - .offset:         40
        .size:           4
        .value_kind:     by_value
      - .offset:         44
        .size:           4
        .value_kind:     by_value
      - .offset:         48
        .size:           4
        .value_kind:     by_value
      - .offset:         52
        .size:           4
        .value_kind:     by_value
      - .offset:         56
        .size:           4
        .value_kind:     by_value
      - .offset:         64
        .size:           4
        .value_kind:     hidden_block_count_x
      - .offset:         68
        .size:           4
        .value_kind:     hidden_block_count_y
      - .offset:         72
        .size:           4
        .value_kind:     hidden_block_count_z
      - .offset:         76
        .size:           2
        .value_kind:     hidden_group_size_x
      - .offset:         78
        .size:           2
        .value_kind:     hidden_group_size_y
      - .offset:         80
        .size:           2
        .value_kind:     hidden_group_size_z
      - .offset:         82
        .size:           2
        .value_kind:     hidden_remainder_x
      - .offset:         84
        .size:           2
        .value_kind:     hidden_remainder_y
      - .offset:         86
        .size:           2
        .value_kind:     hidden_remainder_z
      - .offset:         104
        .size:           8
        .value_kind:     hidden_global_offset_x
      - .offset:         112
        .size:           8
        .value_kind:     hidden_global_offset_y
      - .offset:         120
        .size:           8
        .value_kind:     hidden_global_offset_z
      - .offset:         128
        .size:           2
        .value_kind:     hidden_grid_dims
      - .offset:         184
        .size:           4
        .value_kind:     hidden_dynamic_lds_size
    .group_segment_fixed_size: 0
    .kernarg_segment_align: 8
    .kernarg_segment_size: 320
    .language:       OpenCL C
    .language_version:
      - 2
      - 0
    .max_flat_workgroup_size: 1024
    .name:           _ZN5aiter19grouped_topk_kernelIN3c108BFloat16EDv1_fLi1ELb1ELb0ELb0EEEvPT_PKS4_PfPimiiiif
    .private_segment_fixed_size: 0
    .sgpr_count:     28
    .sgpr_spill_count: 0
    .symbol:         _ZN5aiter19grouped_topk_kernelIN3c108BFloat16EDv1_fLi1ELb1ELb0ELb0EEEvPT_PKS4_PfPimiiiif.kd
    .uniform_work_group_size: 1
    .uses_dynamic_stack: false
    .vgpr_count:     12
    .vgpr_spill_count: 0
    .wavefront_size: 64
  - .agpr_count:     0
    .args:
      - .actual_access:  read_only
        .address_space:  global
        .offset:         0
        .size:           8
        .value_kind:     global_buffer
      - .actual_access:  read_only
        .address_space:  global
        .offset:         8
        .size:           8
        .value_kind:     global_buffer
      - .actual_access:  read_only
        .address_space:  global
        .offset:         16
        .size:           8
        .value_kind:     global_buffer
      - .actual_access:  read_only
        .address_space:  global
        .offset:         24
        .size:           8
        .value_kind:     global_buffer
      - .offset:         32
        .size:           8
        .value_kind:     by_value
      - .offset:         40
        .size:           4
        .value_kind:     by_value
      - .offset:         44
        .size:           4
        .value_kind:     by_value
      - .offset:         48
        .size:           4
        .value_kind:     by_value
      - .offset:         52
        .size:           4
        .value_kind:     by_value
      - .offset:         56
        .size:           4
        .value_kind:     by_value
    .group_segment_fixed_size: 0
    .kernarg_segment_align: 8
    .kernarg_segment_size: 60
    .language:       OpenCL C
    .language_version:
      - 2
      - 0
    .max_flat_workgroup_size: 1024
    .name:           _ZN5aiter28grouped_topk_opt_sort_kernelIfDv1_fLi1ELb0ELb1ELb0EEEvPT_PKS2_PfPimiiiif
    .private_segment_fixed_size: 0
    .sgpr_count:     16
    .sgpr_spill_count: 0
    .symbol:         _ZN5aiter28grouped_topk_opt_sort_kernelIfDv1_fLi1ELb0ELb1ELb0EEEvPT_PKS2_PfPimiiiif.kd
    .uniform_work_group_size: 1
    .uses_dynamic_stack: false
    .vgpr_count:     5
    .vgpr_spill_count: 0
    .wavefront_size: 64
  - .agpr_count:     0
    .args:
      - .actual_access:  read_only
        .address_space:  global
        .offset:         0
        .size:           8
        .value_kind:     global_buffer
      - .actual_access:  read_only
        .address_space:  global
        .offset:         8
        .size:           8
        .value_kind:     global_buffer
      - .actual_access:  read_only
        .address_space:  global
        .offset:         16
        .size:           8
        .value_kind:     global_buffer
      - .actual_access:  read_only
        .address_space:  global
        .offset:         24
        .size:           8
        .value_kind:     global_buffer
      - .offset:         32
        .size:           8
        .value_kind:     by_value
      - .offset:         40
        .size:           4
        .value_kind:     by_value
      - .offset:         44
        .size:           4
        .value_kind:     by_value
      - .offset:         48
        .size:           4
        .value_kind:     by_value
      - .offset:         52
        .size:           4
        .value_kind:     by_value
      - .offset:         56
        .size:           4
        .value_kind:     by_value
    .group_segment_fixed_size: 0
    .kernarg_segment_align: 8
    .kernarg_segment_size: 60
    .language:       OpenCL C
    .language_version:
      - 2
      - 0
    .max_flat_workgroup_size: 1024
    .name:           _ZN5aiter28grouped_topk_opt_sort_kernelIN3c104HalfEDv1_fLi1ELb0ELb1ELb0EEEvPT_PKS4_PfPimiiiif
    .private_segment_fixed_size: 0
    .sgpr_count:     16
    .sgpr_spill_count: 0
    .symbol:         _ZN5aiter28grouped_topk_opt_sort_kernelIN3c104HalfEDv1_fLi1ELb0ELb1ELb0EEEvPT_PKS4_PfPimiiiif.kd
    .uniform_work_group_size: 1
    .uses_dynamic_stack: false
    .vgpr_count:     6
    .vgpr_spill_count: 0
    .wavefront_size: 64
  - .agpr_count:     0
    .args:
      - .actual_access:  read_only
        .address_space:  global
        .offset:         0
        .size:           8
        .value_kind:     global_buffer
      - .actual_access:  read_only
        .address_space:  global
        .offset:         8
        .size:           8
        .value_kind:     global_buffer
      - .actual_access:  read_only
        .address_space:  global
        .offset:         16
        .size:           8
        .value_kind:     global_buffer
      - .actual_access:  read_only
        .address_space:  global
        .offset:         24
        .size:           8
        .value_kind:     global_buffer
      - .offset:         32
        .size:           8
        .value_kind:     by_value
      - .offset:         40
        .size:           4
        .value_kind:     by_value
      - .offset:         44
        .size:           4
        .value_kind:     by_value
      - .offset:         48
        .size:           4
        .value_kind:     by_value
      - .offset:         52
        .size:           4
        .value_kind:     by_value
      - .offset:         56
        .size:           4
        .value_kind:     by_value
    .group_segment_fixed_size: 0
    .kernarg_segment_align: 8
    .kernarg_segment_size: 60
    .language:       OpenCL C
    .language_version:
      - 2
      - 0
    .max_flat_workgroup_size: 1024
    .name:           _ZN5aiter28grouped_topk_opt_sort_kernelIN3c108BFloat16EDv1_fLi1ELb0ELb1ELb0EEEvPT_PKS4_PfPimiiiif
    .private_segment_fixed_size: 0
    .sgpr_count:     16
    .sgpr_spill_count: 0
    .symbol:         _ZN5aiter28grouped_topk_opt_sort_kernelIN3c108BFloat16EDv1_fLi1ELb0ELb1ELb0EEEvPT_PKS4_PfPimiiiif.kd
    .uniform_work_group_size: 1
    .uses_dynamic_stack: false
    .vgpr_count:     5
    .vgpr_spill_count: 0
    .wavefront_size: 64
  - .agpr_count:     0
    .args:
      - .actual_access:  read_only
        .address_space:  global
        .offset:         0
        .size:           8
        .value_kind:     global_buffer
      - .actual_access:  read_only
        .address_space:  global
        .offset:         8
        .size:           8
        .value_kind:     global_buffer
      - .actual_access:  write_only
        .address_space:  global
        .offset:         16
        .size:           8
        .value_kind:     global_buffer
      - .actual_access:  write_only
        .address_space:  global
        .offset:         24
        .size:           8
        .value_kind:     global_buffer
      - .offset:         32
        .size:           8
        .value_kind:     by_value
      - .offset:         40
        .size:           4
        .value_kind:     by_value
      - .offset:         44
        .size:           4
        .value_kind:     by_value
      - .offset:         48
        .size:           4
        .value_kind:     by_value
      - .offset:         52
        .size:           4
        .value_kind:     by_value
      - .offset:         56
        .size:           4
        .value_kind:     by_value
      - .offset:         64
        .size:           4
        .value_kind:     hidden_block_count_x
      - .offset:         68
        .size:           4
        .value_kind:     hidden_block_count_y
      - .offset:         72
        .size:           4
        .value_kind:     hidden_block_count_z
      - .offset:         76
        .size:           2
        .value_kind:     hidden_group_size_x
      - .offset:         78
        .size:           2
        .value_kind:     hidden_group_size_y
      - .offset:         80
        .size:           2
        .value_kind:     hidden_group_size_z
      - .offset:         82
        .size:           2
        .value_kind:     hidden_remainder_x
      - .offset:         84
        .size:           2
        .value_kind:     hidden_remainder_y
      - .offset:         86
        .size:           2
        .value_kind:     hidden_remainder_z
      - .offset:         104
        .size:           8
        .value_kind:     hidden_global_offset_x
      - .offset:         112
        .size:           8
        .value_kind:     hidden_global_offset_y
      - .offset:         120
        .size:           8
        .value_kind:     hidden_global_offset_z
      - .offset:         128
        .size:           2
        .value_kind:     hidden_grid_dims
      - .offset:         184
        .size:           4
        .value_kind:     hidden_dynamic_lds_size
    .group_segment_fixed_size: 0
    .kernarg_segment_align: 8
    .kernarg_segment_size: 320
    .language:       OpenCL C
    .language_version:
      - 2
      - 0
    .max_flat_workgroup_size: 1024
    .name:           _ZN5aiter19grouped_topk_kernelIfDv1_fLi1ELb0ELb1ELb0EEEvPT_PKS2_PfPimiiiif
    .private_segment_fixed_size: 0
    .sgpr_count:     30
    .sgpr_spill_count: 0
    .symbol:         _ZN5aiter19grouped_topk_kernelIfDv1_fLi1ELb0ELb1ELb0EEEvPT_PKS2_PfPimiiiif.kd
    .uniform_work_group_size: 1
    .uses_dynamic_stack: false
    .vgpr_count:     14
    .vgpr_spill_count: 0
    .wavefront_size: 64
  - .agpr_count:     0
    .args:
      - .actual_access:  read_only
        .address_space:  global
        .offset:         0
        .size:           8
        .value_kind:     global_buffer
      - .actual_access:  read_only
        .address_space:  global
        .offset:         8
        .size:           8
        .value_kind:     global_buffer
      - .actual_access:  write_only
        .address_space:  global
        .offset:         16
        .size:           8
        .value_kind:     global_buffer
      - .actual_access:  write_only
        .address_space:  global
        .offset:         24
        .size:           8
        .value_kind:     global_buffer
      - .offset:         32
        .size:           8
        .value_kind:     by_value
      - .offset:         40
        .size:           4
        .value_kind:     by_value
      - .offset:         44
        .size:           4
        .value_kind:     by_value
      - .offset:         48
        .size:           4
        .value_kind:     by_value
      - .offset:         52
        .size:           4
        .value_kind:     by_value
      - .offset:         56
        .size:           4
        .value_kind:     by_value
      - .offset:         64
        .size:           4
        .value_kind:     hidden_block_count_x
      - .offset:         68
        .size:           4
        .value_kind:     hidden_block_count_y
      - .offset:         72
        .size:           4
        .value_kind:     hidden_block_count_z
      - .offset:         76
        .size:           2
        .value_kind:     hidden_group_size_x
      - .offset:         78
        .size:           2
        .value_kind:     hidden_group_size_y
      - .offset:         80
        .size:           2
        .value_kind:     hidden_group_size_z
      - .offset:         82
        .size:           2
        .value_kind:     hidden_remainder_x
      - .offset:         84
        .size:           2
        .value_kind:     hidden_remainder_y
      - .offset:         86
        .size:           2
        .value_kind:     hidden_remainder_z
      - .offset:         104
        .size:           8
        .value_kind:     hidden_global_offset_x
      - .offset:         112
        .size:           8
        .value_kind:     hidden_global_offset_y
      - .offset:         120
        .size:           8
        .value_kind:     hidden_global_offset_z
      - .offset:         128
        .size:           2
        .value_kind:     hidden_grid_dims
      - .offset:         184
        .size:           4
        .value_kind:     hidden_dynamic_lds_size
    .group_segment_fixed_size: 0
    .kernarg_segment_align: 8
    .kernarg_segment_size: 320
    .language:       OpenCL C
    .language_version:
      - 2
      - 0
    .max_flat_workgroup_size: 1024
    .name:           _ZN5aiter19grouped_topk_kernelIN3c104HalfEDv1_fLi1ELb0ELb1ELb0EEEvPT_PKS4_PfPimiiiif
    .private_segment_fixed_size: 0
    .sgpr_count:     30
    .sgpr_spill_count: 0
    .symbol:         _ZN5aiter19grouped_topk_kernelIN3c104HalfEDv1_fLi1ELb0ELb1ELb0EEEvPT_PKS4_PfPimiiiif.kd
    .uniform_work_group_size: 1
    .uses_dynamic_stack: false
    .vgpr_count:     14
    .vgpr_spill_count: 0
    .wavefront_size: 64
  - .agpr_count:     0
    .args:
      - .actual_access:  read_only
        .address_space:  global
        .offset:         0
        .size:           8
        .value_kind:     global_buffer
      - .actual_access:  read_only
        .address_space:  global
        .offset:         8
        .size:           8
        .value_kind:     global_buffer
      - .actual_access:  write_only
        .address_space:  global
        .offset:         16
        .size:           8
        .value_kind:     global_buffer
      - .actual_access:  write_only
        .address_space:  global
        .offset:         24
        .size:           8
        .value_kind:     global_buffer
      - .offset:         32
        .size:           8
        .value_kind:     by_value
      - .offset:         40
        .size:           4
        .value_kind:     by_value
      - .offset:         44
        .size:           4
        .value_kind:     by_value
      - .offset:         48
        .size:           4
        .value_kind:     by_value
      - .offset:         52
        .size:           4
        .value_kind:     by_value
      - .offset:         56
        .size:           4
        .value_kind:     by_value
      - .offset:         64
        .size:           4
        .value_kind:     hidden_block_count_x
      - .offset:         68
        .size:           4
        .value_kind:     hidden_block_count_y
      - .offset:         72
        .size:           4
        .value_kind:     hidden_block_count_z
      - .offset:         76
        .size:           2
        .value_kind:     hidden_group_size_x
      - .offset:         78
        .size:           2
        .value_kind:     hidden_group_size_y
      - .offset:         80
        .size:           2
        .value_kind:     hidden_group_size_z
      - .offset:         82
        .size:           2
        .value_kind:     hidden_remainder_x
      - .offset:         84
        .size:           2
        .value_kind:     hidden_remainder_y
      - .offset:         86
        .size:           2
        .value_kind:     hidden_remainder_z
      - .offset:         104
        .size:           8
        .value_kind:     hidden_global_offset_x
      - .offset:         112
        .size:           8
        .value_kind:     hidden_global_offset_y
      - .offset:         120
        .size:           8
        .value_kind:     hidden_global_offset_z
      - .offset:         128
        .size:           2
        .value_kind:     hidden_grid_dims
      - .offset:         184
        .size:           4
        .value_kind:     hidden_dynamic_lds_size
    .group_segment_fixed_size: 0
    .kernarg_segment_align: 8
    .kernarg_segment_size: 320
    .language:       OpenCL C
    .language_version:
      - 2
      - 0
    .max_flat_workgroup_size: 1024
    .name:           _ZN5aiter19grouped_topk_kernelIN3c108BFloat16EDv1_fLi1ELb0ELb1ELb0EEEvPT_PKS4_PfPimiiiif
    .private_segment_fixed_size: 0
    .sgpr_count:     30
    .sgpr_spill_count: 0
    .symbol:         _ZN5aiter19grouped_topk_kernelIN3c108BFloat16EDv1_fLi1ELb0ELb1ELb0EEEvPT_PKS4_PfPimiiiif.kd
    .uniform_work_group_size: 1
    .uses_dynamic_stack: false
    .vgpr_count:     14
    .vgpr_spill_count: 0
    .wavefront_size: 64
  - .agpr_count:     0
    .args:
      - .actual_access:  read_only
        .address_space:  global
        .offset:         0
        .size:           8
        .value_kind:     global_buffer
      - .actual_access:  read_only
        .address_space:  global
        .offset:         8
        .size:           8
        .value_kind:     global_buffer
      - .actual_access:  write_only
        .address_space:  global
        .offset:         16
        .size:           8
        .value_kind:     global_buffer
      - .actual_access:  write_only
        .address_space:  global
        .offset:         24
        .size:           8
        .value_kind:     global_buffer
      - .offset:         32
        .size:           8
        .value_kind:     by_value
      - .offset:         40
        .size:           4
        .value_kind:     by_value
      - .offset:         44
        .size:           4
        .value_kind:     by_value
      - .offset:         48
        .size:           4
        .value_kind:     by_value
      - .offset:         52
        .size:           4
        .value_kind:     by_value
      - .offset:         56
        .size:           4
        .value_kind:     by_value
      - .offset:         64
        .size:           4
        .value_kind:     hidden_block_count_x
      - .offset:         68
        .size:           4
        .value_kind:     hidden_block_count_y
      - .offset:         72
        .size:           4
        .value_kind:     hidden_block_count_z
      - .offset:         76
        .size:           2
        .value_kind:     hidden_group_size_x
      - .offset:         78
        .size:           2
        .value_kind:     hidden_group_size_y
      - .offset:         80
        .size:           2
        .value_kind:     hidden_group_size_z
      - .offset:         82
        .size:           2
        .value_kind:     hidden_remainder_x
      - .offset:         84
        .size:           2
        .value_kind:     hidden_remainder_y
      - .offset:         86
        .size:           2
        .value_kind:     hidden_remainder_z
      - .offset:         104
        .size:           8
        .value_kind:     hidden_global_offset_x
      - .offset:         112
        .size:           8
        .value_kind:     hidden_global_offset_y
      - .offset:         120
        .size:           8
        .value_kind:     hidden_global_offset_z
      - .offset:         128
        .size:           2
        .value_kind:     hidden_grid_dims
      - .offset:         184
        .size:           4
        .value_kind:     hidden_dynamic_lds_size
    .group_segment_fixed_size: 0
    .kernarg_segment_align: 8
    .kernarg_segment_size: 320
    .language:       OpenCL C
    .language_version:
      - 2
      - 0
    .max_flat_workgroup_size: 1024
    .name:           _ZN5aiter19grouped_topk_kernelIfDv1_fLi1ELb0ELb0ELb1EEEvPT_PKS2_PfPimiiiif
    .private_segment_fixed_size: 0
    .sgpr_count:     24
    .sgpr_spill_count: 0
    .symbol:         _ZN5aiter19grouped_topk_kernelIfDv1_fLi1ELb0ELb0ELb1EEEvPT_PKS2_PfPimiiiif.kd
    .uniform_work_group_size: 1
    .uses_dynamic_stack: false
    .vgpr_count:     12
    .vgpr_spill_count: 0
    .wavefront_size: 64
  - .agpr_count:     0
    .args:
      - .actual_access:  read_only
        .address_space:  global
        .offset:         0
        .size:           8
        .value_kind:     global_buffer
      - .actual_access:  read_only
        .address_space:  global
        .offset:         8
        .size:           8
        .value_kind:     global_buffer
      - .actual_access:  write_only
        .address_space:  global
        .offset:         16
        .size:           8
        .value_kind:     global_buffer
      - .actual_access:  write_only
        .address_space:  global
        .offset:         24
        .size:           8
        .value_kind:     global_buffer
      - .offset:         32
        .size:           8
        .value_kind:     by_value
      - .offset:         40
        .size:           4
        .value_kind:     by_value
      - .offset:         44
        .size:           4
        .value_kind:     by_value
      - .offset:         48
        .size:           4
        .value_kind:     by_value
      - .offset:         52
        .size:           4
        .value_kind:     by_value
      - .offset:         56
        .size:           4
        .value_kind:     by_value
      - .offset:         64
        .size:           4
        .value_kind:     hidden_block_count_x
      - .offset:         68
        .size:           4
        .value_kind:     hidden_block_count_y
      - .offset:         72
        .size:           4
        .value_kind:     hidden_block_count_z
      - .offset:         76
        .size:           2
        .value_kind:     hidden_group_size_x
      - .offset:         78
        .size:           2
        .value_kind:     hidden_group_size_y
      - .offset:         80
        .size:           2
        .value_kind:     hidden_group_size_z
      - .offset:         82
        .size:           2
        .value_kind:     hidden_remainder_x
      - .offset:         84
        .size:           2
        .value_kind:     hidden_remainder_y
      - .offset:         86
        .size:           2
        .value_kind:     hidden_remainder_z
      - .offset:         104
        .size:           8
        .value_kind:     hidden_global_offset_x
      - .offset:         112
        .size:           8
        .value_kind:     hidden_global_offset_y
      - .offset:         120
        .size:           8
        .value_kind:     hidden_global_offset_z
      - .offset:         128
        .size:           2
        .value_kind:     hidden_grid_dims
      - .offset:         184
        .size:           4
        .value_kind:     hidden_dynamic_lds_size
    .group_segment_fixed_size: 0
    .kernarg_segment_align: 8
    .kernarg_segment_size: 320
    .language:       OpenCL C
    .language_version:
      - 2
      - 0
    .max_flat_workgroup_size: 1024
    .name:           _ZN5aiter19grouped_topk_kernelIN3c104HalfEDv1_fLi1ELb0ELb0ELb1EEEvPT_PKS4_PfPimiiiif
    .private_segment_fixed_size: 0
    .sgpr_count:     24
    .sgpr_spill_count: 0
    .symbol:         _ZN5aiter19grouped_topk_kernelIN3c104HalfEDv1_fLi1ELb0ELb0ELb1EEEvPT_PKS4_PfPimiiiif.kd
    .uniform_work_group_size: 1
    .uses_dynamic_stack: false
    .vgpr_count:     12
    .vgpr_spill_count: 0
    .wavefront_size: 64
  - .agpr_count:     0
    .args:
      - .actual_access:  read_only
        .address_space:  global
        .offset:         0
        .size:           8
        .value_kind:     global_buffer
      - .actual_access:  read_only
        .address_space:  global
        .offset:         8
        .size:           8
        .value_kind:     global_buffer
      - .actual_access:  write_only
        .address_space:  global
        .offset:         16
        .size:           8
        .value_kind:     global_buffer
      - .actual_access:  write_only
        .address_space:  global
        .offset:         24
        .size:           8
        .value_kind:     global_buffer
      - .offset:         32
        .size:           8
        .value_kind:     by_value
      - .offset:         40
        .size:           4
        .value_kind:     by_value
      - .offset:         44
        .size:           4
        .value_kind:     by_value
      - .offset:         48
        .size:           4
        .value_kind:     by_value
      - .offset:         52
        .size:           4
        .value_kind:     by_value
      - .offset:         56
        .size:           4
        .value_kind:     by_value
      - .offset:         64
        .size:           4
        .value_kind:     hidden_block_count_x
      - .offset:         68
        .size:           4
        .value_kind:     hidden_block_count_y
      - .offset:         72
        .size:           4
        .value_kind:     hidden_block_count_z
      - .offset:         76
        .size:           2
        .value_kind:     hidden_group_size_x
      - .offset:         78
        .size:           2
        .value_kind:     hidden_group_size_y
      - .offset:         80
        .size:           2
        .value_kind:     hidden_group_size_z
      - .offset:         82
        .size:           2
        .value_kind:     hidden_remainder_x
      - .offset:         84
        .size:           2
        .value_kind:     hidden_remainder_y
      - .offset:         86
        .size:           2
        .value_kind:     hidden_remainder_z
      - .offset:         104
        .size:           8
        .value_kind:     hidden_global_offset_x
      - .offset:         112
        .size:           8
        .value_kind:     hidden_global_offset_y
      - .offset:         120
        .size:           8
        .value_kind:     hidden_global_offset_z
      - .offset:         128
        .size:           2
        .value_kind:     hidden_grid_dims
      - .offset:         184
        .size:           4
        .value_kind:     hidden_dynamic_lds_size
    .group_segment_fixed_size: 0
    .kernarg_segment_align: 8
    .kernarg_segment_size: 320
    .language:       OpenCL C
    .language_version:
      - 2
      - 0
    .max_flat_workgroup_size: 1024
    .name:           _ZN5aiter19grouped_topk_kernelIN3c108BFloat16EDv1_fLi1ELb0ELb0ELb1EEEvPT_PKS4_PfPimiiiif
    .private_segment_fixed_size: 0
    .sgpr_count:     24
    .sgpr_spill_count: 0
    .symbol:         _ZN5aiter19grouped_topk_kernelIN3c108BFloat16EDv1_fLi1ELb0ELb0ELb1EEEvPT_PKS4_PfPimiiiif.kd
    .uniform_work_group_size: 1
    .uses_dynamic_stack: false
    .vgpr_count:     12
    .vgpr_spill_count: 0
    .wavefront_size: 64
  - .agpr_count:     0
    .args:
      - .actual_access:  read_only
        .address_space:  global
        .offset:         0
        .size:           8
        .value_kind:     global_buffer
      - .actual_access:  read_only
        .address_space:  global
        .offset:         8
        .size:           8
        .value_kind:     global_buffer
      - .actual_access:  write_only
        .address_space:  global
        .offset:         16
        .size:           8
        .value_kind:     global_buffer
      - .actual_access:  write_only
        .address_space:  global
        .offset:         24
        .size:           8
        .value_kind:     global_buffer
      - .offset:         32
        .size:           8
        .value_kind:     by_value
      - .offset:         40
        .size:           4
        .value_kind:     by_value
      - .offset:         44
        .size:           4
        .value_kind:     by_value
      - .offset:         48
        .size:           4
        .value_kind:     by_value
      - .offset:         52
        .size:           4
        .value_kind:     by_value
      - .offset:         56
        .size:           4
        .value_kind:     by_value
      - .offset:         64
        .size:           4
        .value_kind:     hidden_block_count_x
      - .offset:         68
        .size:           4
        .value_kind:     hidden_block_count_y
      - .offset:         72
        .size:           4
        .value_kind:     hidden_block_count_z
      - .offset:         76
        .size:           2
        .value_kind:     hidden_group_size_x
      - .offset:         78
        .size:           2
        .value_kind:     hidden_group_size_y
      - .offset:         80
        .size:           2
        .value_kind:     hidden_group_size_z
      - .offset:         82
        .size:           2
        .value_kind:     hidden_remainder_x
      - .offset:         84
        .size:           2
        .value_kind:     hidden_remainder_y
      - .offset:         86
        .size:           2
        .value_kind:     hidden_remainder_z
      - .offset:         104
        .size:           8
        .value_kind:     hidden_global_offset_x
      - .offset:         112
        .size:           8
        .value_kind:     hidden_global_offset_y
      - .offset:         120
        .size:           8
        .value_kind:     hidden_global_offset_z
      - .offset:         128
        .size:           2
        .value_kind:     hidden_grid_dims
      - .offset:         184
        .size:           4
        .value_kind:     hidden_dynamic_lds_size
    .group_segment_fixed_size: 0
    .kernarg_segment_align: 8
    .kernarg_segment_size: 320
    .language:       OpenCL C
    .language_version:
      - 2
      - 0
    .max_flat_workgroup_size: 1024
    .name:           _ZN5aiter19grouped_topk_kernelIfDv1_fLi1ELb0ELb0ELb0EEEvPT_PKS2_PfPimiiiif
    .private_segment_fixed_size: 0
    .sgpr_count:     28
    .sgpr_spill_count: 0
    .symbol:         _ZN5aiter19grouped_topk_kernelIfDv1_fLi1ELb0ELb0ELb0EEEvPT_PKS2_PfPimiiiif.kd
    .uniform_work_group_size: 1
    .uses_dynamic_stack: false
    .vgpr_count:     12
    .vgpr_spill_count: 0
    .wavefront_size: 64
  - .agpr_count:     0
    .args:
      - .actual_access:  read_only
        .address_space:  global
        .offset:         0
        .size:           8
        .value_kind:     global_buffer
      - .actual_access:  read_only
        .address_space:  global
        .offset:         8
        .size:           8
        .value_kind:     global_buffer
      - .actual_access:  write_only
        .address_space:  global
        .offset:         16
        .size:           8
        .value_kind:     global_buffer
      - .actual_access:  write_only
        .address_space:  global
        .offset:         24
        .size:           8
        .value_kind:     global_buffer
      - .offset:         32
        .size:           8
        .value_kind:     by_value
      - .offset:         40
        .size:           4
        .value_kind:     by_value
      - .offset:         44
        .size:           4
        .value_kind:     by_value
      - .offset:         48
        .size:           4
        .value_kind:     by_value
      - .offset:         52
        .size:           4
        .value_kind:     by_value
      - .offset:         56
        .size:           4
        .value_kind:     by_value
      - .offset:         64
        .size:           4
        .value_kind:     hidden_block_count_x
      - .offset:         68
        .size:           4
        .value_kind:     hidden_block_count_y
      - .offset:         72
        .size:           4
        .value_kind:     hidden_block_count_z
      - .offset:         76
        .size:           2
        .value_kind:     hidden_group_size_x
      - .offset:         78
        .size:           2
        .value_kind:     hidden_group_size_y
      - .offset:         80
        .size:           2
        .value_kind:     hidden_group_size_z
      - .offset:         82
        .size:           2
        .value_kind:     hidden_remainder_x
      - .offset:         84
        .size:           2
        .value_kind:     hidden_remainder_y
      - .offset:         86
        .size:           2
        .value_kind:     hidden_remainder_z
      - .offset:         104
        .size:           8
        .value_kind:     hidden_global_offset_x
      - .offset:         112
        .size:           8
        .value_kind:     hidden_global_offset_y
      - .offset:         120
        .size:           8
        .value_kind:     hidden_global_offset_z
      - .offset:         128
        .size:           2
        .value_kind:     hidden_grid_dims
      - .offset:         184
        .size:           4
        .value_kind:     hidden_dynamic_lds_size
    .group_segment_fixed_size: 0
    .kernarg_segment_align: 8
    .kernarg_segment_size: 320
    .language:       OpenCL C
    .language_version:
      - 2
      - 0
    .max_flat_workgroup_size: 1024
    .name:           _ZN5aiter19grouped_topk_kernelIN3c104HalfEDv1_fLi1ELb0ELb0ELb0EEEvPT_PKS4_PfPimiiiif
    .private_segment_fixed_size: 0
    .sgpr_count:     28
    .sgpr_spill_count: 0
    .symbol:         _ZN5aiter19grouped_topk_kernelIN3c104HalfEDv1_fLi1ELb0ELb0ELb0EEEvPT_PKS4_PfPimiiiif.kd
    .uniform_work_group_size: 1
    .uses_dynamic_stack: false
    .vgpr_count:     12
    .vgpr_spill_count: 0
    .wavefront_size: 64
  - .agpr_count:     0
    .args:
      - .actual_access:  read_only
        .address_space:  global
        .offset:         0
        .size:           8
        .value_kind:     global_buffer
      - .actual_access:  read_only
        .address_space:  global
        .offset:         8
        .size:           8
        .value_kind:     global_buffer
      - .actual_access:  write_only
        .address_space:  global
        .offset:         16
        .size:           8
        .value_kind:     global_buffer
      - .actual_access:  write_only
        .address_space:  global
        .offset:         24
        .size:           8
        .value_kind:     global_buffer
      - .offset:         32
        .size:           8
        .value_kind:     by_value
      - .offset:         40
        .size:           4
        .value_kind:     by_value
      - .offset:         44
        .size:           4
        .value_kind:     by_value
      - .offset:         48
        .size:           4
        .value_kind:     by_value
      - .offset:         52
        .size:           4
        .value_kind:     by_value
      - .offset:         56
        .size:           4
        .value_kind:     by_value
      - .offset:         64
        .size:           4
        .value_kind:     hidden_block_count_x
      - .offset:         68
        .size:           4
        .value_kind:     hidden_block_count_y
      - .offset:         72
        .size:           4
        .value_kind:     hidden_block_count_z
      - .offset:         76
        .size:           2
        .value_kind:     hidden_group_size_x
      - .offset:         78
        .size:           2
        .value_kind:     hidden_group_size_y
      - .offset:         80
        .size:           2
        .value_kind:     hidden_group_size_z
      - .offset:         82
        .size:           2
        .value_kind:     hidden_remainder_x
      - .offset:         84
        .size:           2
        .value_kind:     hidden_remainder_y
      - .offset:         86
        .size:           2
        .value_kind:     hidden_remainder_z
      - .offset:         104
        .size:           8
        .value_kind:     hidden_global_offset_x
      - .offset:         112
        .size:           8
        .value_kind:     hidden_global_offset_y
      - .offset:         120
        .size:           8
        .value_kind:     hidden_global_offset_z
      - .offset:         128
        .size:           2
        .value_kind:     hidden_grid_dims
      - .offset:         184
        .size:           4
        .value_kind:     hidden_dynamic_lds_size
    .group_segment_fixed_size: 0
    .kernarg_segment_align: 8
    .kernarg_segment_size: 320
    .language:       OpenCL C
    .language_version:
      - 2
      - 0
    .max_flat_workgroup_size: 1024
    .name:           _ZN5aiter19grouped_topk_kernelIN3c108BFloat16EDv1_fLi1ELb0ELb0ELb0EEEvPT_PKS4_PfPimiiiif
    .private_segment_fixed_size: 0
    .sgpr_count:     28
    .sgpr_spill_count: 0
    .symbol:         _ZN5aiter19grouped_topk_kernelIN3c108BFloat16EDv1_fLi1ELb0ELb0ELb0EEEvPT_PKS4_PfPimiiiif.kd
    .uniform_work_group_size: 1
    .uses_dynamic_stack: false
    .vgpr_count:     12
    .vgpr_spill_count: 0
    .wavefront_size: 64
amdhsa.target:   amdgcn-amd-amdhsa--gfx90a
amdhsa.version:
  - 1
  - 2
...

	.end_amdgpu_metadata
